;; amdgpu-corpus repo=ROCm/rocBLAS kind=compiled arch=gfx950 opt=O3
	.amdgcn_target "amdgcn-amd-amdhsa--gfx950"
	.amdhsa_code_object_version 6
	.section	.text._ZL26rocblas_hemvn_kernel_upperILb1ELi64ELi4ELi33ELi32ELi16ElPK19rocblas_complex_numIfES3_PS1_EviT6_lT7_lT5_lS6_lS7_lS5_lT8_i,"axG",@progbits,_ZL26rocblas_hemvn_kernel_upperILb1ELi64ELi4ELi33ELi32ELi16ElPK19rocblas_complex_numIfES3_PS1_EviT6_lT7_lT5_lS6_lS7_lS5_lT8_i,comdat
	.globl	_ZL26rocblas_hemvn_kernel_upperILb1ELi64ELi4ELi33ELi32ELi16ElPK19rocblas_complex_numIfES3_PS1_EviT6_lT7_lT5_lS6_lS7_lS5_lT8_i ; -- Begin function _ZL26rocblas_hemvn_kernel_upperILb1ELi64ELi4ELi33ELi32ELi16ElPK19rocblas_complex_numIfES3_PS1_EviT6_lT7_lT5_lS6_lS7_lS5_lT8_i
	.p2align	8
	.type	_ZL26rocblas_hemvn_kernel_upperILb1ELi64ELi4ELi33ELi32ELi16ElPK19rocblas_complex_numIfES3_PS1_EviT6_lT7_lT5_lS6_lS7_lS5_lT8_i,@function
_ZL26rocblas_hemvn_kernel_upperILb1ELi64ELi4ELi33ELi32ELi16ElPK19rocblas_complex_numIfES3_PS1_EviT6_lT7_lT5_lS6_lS7_lS5_lT8_i: ; @_ZL26rocblas_hemvn_kernel_upperILb1ELi64ELi4ELi33ELi32ELi16ElPK19rocblas_complex_numIfES3_PS1_EviT6_lT7_lT5_lS6_lS7_lS5_lT8_i
; %bb.0:
	s_load_dwordx2 s[6:7], s[0:1], 0x84
	s_add_u32 s4, s0, 0x78
	s_addc_u32 s5, s1, 0
	s_waitcnt lgkmcnt(0)
	s_lshr_b32 s8, s6, 16
	s_and_b32 s6, s6, 0xffff
	s_and_b32 s7, s7, 0xffff
	s_mul_i32 s6, s8, s6
	s_mul_i32 s6, s6, s7
	s_cmpk_lg_i32 s6, 0x100
	s_cbranch_scc1 .LBB0_196
; %bb.1:
	s_load_dwordx16 s[8:23], s[0:1], 0x8
	s_waitcnt lgkmcnt(0)
	s_mul_i32 s7, s11, s3
	s_mul_hi_u32 s11, s10, s3
	s_mul_i32 s6, s10, s3
	s_add_i32 s7, s11, s7
	s_lshl_b64 s[6:7], s[6:7], 3
	s_add_u32 s6, s8, s6
	s_addc_u32 s7, s9, s7
	s_load_dwordx2 s[8:9], s[6:7], 0x0
	s_load_dwordx2 s[34:35], s[0:1], 0x68
	s_load_dwordx8 s[24:31], s[0:1], 0x48
	s_waitcnt lgkmcnt(0)
	s_or_b32 s6, s8, s9
	s_bitset0_b32 s6, 31
	s_cmp_lg_u32 s6, 0
	s_cselect_b64 s[6:7], -1, 0
	s_mov_b64 s[8:9], -1
	s_and_b64 vcc, exec, s[6:7]
	s_cbranch_vccnz .LBB0_3
; %bb.2:
	s_mul_i32 s8, s31, s3
	s_mul_hi_u32 s9, s30, s3
	s_add_i32 s9, s9, s8
	s_mul_i32 s8, s30, s3
	s_lshl_b64 s[8:9], s[8:9], 3
	s_add_u32 s8, s28, s8
	s_addc_u32 s9, s29, s9
	s_load_dwordx2 s[10:11], s[8:9], 0x0
	s_waitcnt lgkmcnt(0)
	v_cmp_neq_f32_e64 s[8:9], s10, 1.0
	v_cmp_neq_f32_e64 s[10:11], s11, 0
	s_or_b64 s[8:9], s[8:9], s[10:11]
.LBB0_3:
	s_andn2_b64 vcc, exec, s[8:9]
	s_cbranch_vccnz .LBB0_196
; %bb.4:
	s_andn2_b64 vcc, exec, s[6:7]
	s_cbranch_vccnz .LBB0_196
; %bb.5:
	s_load_dword s30, s[4:5], 0x0
	s_load_dword s33, s[0:1], 0x0
	s_mul_i32 s0, s27, s3
	s_mul_hi_u32 s1, s26, s3
	s_add_i32 s1, s1, s0
	s_mul_i32 s0, s26, s3
	s_lshl_b64 s[0:1], s[0:1], 3
	s_add_u32 s4, s20, s0
	s_addc_u32 s5, s21, s1
	s_lshl_b64 s[0:1], s[22:23], 3
	s_add_u32 s0, s4, s0
	s_addc_u32 s1, s5, s1
	s_waitcnt lgkmcnt(0)
	s_ashr_i32 s36, s33, 31
	s_lshr_b32 s5, s36, 26
	v_and_b32_e32 v122, 0x3ff, v0
	s_lshl_b32 s22, s2, 6
	s_add_i32 s5, s33, s5
	s_andn2_b32 s5, s5, 63
	v_add_u32_e32 v48, s22, v122
	s_add_i32 s4, s30, -1
	s_sub_i32 s31, s33, s5
	v_ashrrev_i32_e32 v49, 31, v48
	v_bfe_u32 v123, v0, 10, 10
	s_cmp_eq_u32 s2, s4
	v_mul_lo_u32 v2, s24, v49
	v_mul_lo_u32 v3, s25, v48
	v_mad_u64_u32 v[0:1], s[4:5], s24, v48, 0
	v_add3_u32 v1, v1, v2, v3
	s_cselect_b32 s20, s31, 0
	v_lshl_add_u64 v[12:13], v[0:1], 3, s[0:1]
	v_cmp_eq_u32_e64 s[0:1], 0, v123
	s_and_saveexec_b64 s[4:5], s[0:1]
	s_cbranch_execz .LBB0_10
; %bb.6:
	s_cmp_lg_u32 s20, 0
	s_cselect_b64 s[6:7], -1, 0
	v_cmp_le_i32_e32 vcc, s20, v122
	v_mov_b32_e32 v0, 0x2380
	s_and_b64 s[6:7], s[6:7], vcc
	v_lshl_add_u32 v0, v122, 3, v0
	s_and_saveexec_b64 s[8:9], s[6:7]
	s_xor_b64 s[6:7], exec, s[8:9]
; %bb.7:
	v_mov_b32_e32 v2, 0
	v_mov_b32_e32 v3, v2
	ds_write_b64 v0, v[2:3]
                                        ; implicit-def: $vgpr0
; %bb.8:
	s_andn2_saveexec_b64 s[6:7], s[6:7]
	s_cbranch_execz .LBB0_10
; %bb.9:
	global_load_dwordx2 v[2:3], v[12:13], off
	s_waitcnt vmcnt(0)
	ds_write_b64 v0, v[2:3]
.LBB0_10:
	s_or_b64 exec, exec, s[4:5]
	s_mul_i32 s4, s19, s3
	s_mul_hi_u32 s5, s18, s3
	s_add_i32 s5, s5, s4
	s_mul_i32 s4, s18, s3
	s_lshl_b64 s[4:5], s[4:5], 3
	s_add_u32 s6, s12, s4
	s_addc_u32 s7, s13, s5
	s_lshl_b64 s[4:5], s[14:15], 3
	s_add_u32 s6, s6, s4
	s_addc_u32 s7, s7, s5
	s_ashr_i32 s23, s22, 31
	v_lshl_add_u32 v22, v123, 6, v122
	s_lshl_b64 s[4:5], s[22:23], 3
	v_and_b32_e32 v2, 31, v122
	v_lshrrev_b32_e32 v10, 5, v22
	s_add_u32 s4, s6, s4
	v_mov_b32_e32 v3, 0
	s_addc_u32 s5, s7, s5
	v_mad_u64_u32 v[14:15], s[6:7], s16, v10, v[2:3]
	v_mov_b32_e32 v0, v15
	v_mad_u64_u32 v[0:1], s[6:7], s17, v10, v[0:1]
	v_mov_b32_e32 v15, v0
	v_lshl_add_u64 v[0:1], v[14:15], 3, s[4:5]
	s_mul_hi_u32 s4, s16, s22
	s_mul_i32 s5, s16, s23
	s_add_i32 s4, s4, s5
	s_mul_i32 s5, s17, s22
	s_add_i32 s5, s4, s5
	s_cmp_eq_u32 s20, 0
	s_cselect_b64 s[18:19], -1, 0
	s_cmp_lg_u32 s20, 0
	s_mul_i32 s4, s16, s22
	s_cselect_b64 s[26:27], -1, 0
	v_lshl_add_u64 v[6:7], s[4:5], 3, v[0:1]
	s_and_b64 vcc, exec, s[26:27]
	v_cmp_gt_i32_e64 s[4:5], s20, v2
	v_lshlrev_b32_e32 v0, 3, v2
	s_cbranch_vccz .LBB0_26
; %bb.11:
	v_sub_co_u32_e32 v4, vcc, v6, v0
	s_ashr_i32 s21, s20, 31
	s_nop 0
	v_subbrev_co_u32_e32 v5, vcc, 0, v7, vcc
	v_lshl_add_u64 v[4:5], s[20:21], 3, v[4:5]
	v_lshl_add_u64 v[4:5], v[4:5], 0, -8
	v_cndmask_b32_e64 v5, v5, v7, s[4:5]
	v_cndmask_b32_e64 v4, v4, v6, s[4:5]
	v_cmp_gt_i32_e32 vcc, s20, v10
	v_mov_b32_e32 v9, 0
	s_and_saveexec_b64 s[6:7], vcc
	s_cbranch_execz .LBB0_13
; %bb.12:
	global_load_dwordx2 v[8:9], v[4:5], off
	s_waitcnt vmcnt(0)
	v_mov_b32_e32 v3, v8
.LBB0_13:
	s_or_b64 exec, exec, s[6:7]
	v_lshlrev_b32_e32 v1, 3, v2
	s_movk_i32 s6, 0x108
	v_mov_b32_e32 v8, v3
	v_mad_u32_u24 v3, v10, s6, v1
	v_mul_u32_u24_e32 v11, 0x108, v10
	ds_write_b64 v3, v[8:9]
	v_add_u32_e32 v3, 8, v10
	v_cmp_le_i32_e32 vcc, s20, v3
	v_add_u32_e32 v1, v11, v1
	s_and_saveexec_b64 s[6:7], vcc
	s_xor_b64 s[6:7], exec, s[6:7]
; %bb.14:
	v_mov_b32_e32 v8, 0
	v_mov_b32_e32 v9, v8
	ds_write_b64 v1, v[8:9] offset:2112
; %bb.15:
	s_andn2_saveexec_b64 s[6:7], s[6:7]
	s_cbranch_execz .LBB0_17
; %bb.16:
	s_lshl_b64 s[8:9], s[16:17], 6
	v_lshl_add_u64 v[8:9], v[4:5], 0, s[8:9]
	global_load_dwordx2 v[8:9], v[8:9], off
	s_waitcnt vmcnt(0)
	ds_write_b64 v1, v[8:9] offset:2112
.LBB0_17:
	s_or_b64 exec, exec, s[6:7]
	v_add_u32_e32 v3, 16, v10
	v_cmp_le_i32_e32 vcc, s20, v3
	s_and_saveexec_b64 s[6:7], vcc
	s_xor_b64 s[6:7], exec, s[6:7]
; %bb.18:
	v_mov_b32_e32 v8, 0
	v_mov_b32_e32 v9, v8
	ds_write_b64 v1, v[8:9] offset:4224
; %bb.19:
	s_andn2_saveexec_b64 s[6:7], s[6:7]
	s_cbranch_execz .LBB0_21
; %bb.20:
	s_lshl_b64 s[8:9], s[16:17], 7
	v_lshl_add_u64 v[8:9], v[4:5], 0, s[8:9]
	global_load_dwordx2 v[8:9], v[8:9], off
	s_waitcnt vmcnt(0)
	ds_write_b64 v1, v[8:9] offset:4224
.LBB0_21:
	s_or_b64 exec, exec, s[6:7]
	v_add_u32_e32 v3, 24, v10
	v_cmp_le_i32_e32 vcc, s20, v3
	s_and_saveexec_b64 s[6:7], vcc
	s_xor_b64 s[6:7], exec, s[6:7]
; %bb.22:
	v_mov_b32_e32 v8, 0
	v_mov_b32_e32 v9, v8
	ds_write_b64 v1, v[8:9] offset:6336
                                        ; implicit-def: $vgpr1
; %bb.23:
	s_andn2_saveexec_b64 s[6:7], s[6:7]
	s_cbranch_execz .LBB0_25
; %bb.24:
	v_mov_b32_e32 v3, 0xc0
	v_mad_u64_u32 v[8:9], s[8:9], s16, v3, v[4:5]
	s_mul_i32 s8, s17, 0xc0
	s_nop 0
	v_add_u32_e32 v9, s8, v9
	global_load_dwordx2 v[8:9], v[8:9], off
	s_waitcnt vmcnt(0)
	ds_write_b64 v1, v[8:9] offset:6336
.LBB0_25:
	s_or_b64 exec, exec, s[6:7]
	v_mov_b32_e32 v1, 0
	v_lshl_add_u64 v[4:5], v[4:5], 0, v[0:1]
	s_lshl_b64 s[6:7], s[20:21], 3
	v_mov_b32_e32 v1, s7
	v_subrev_co_u32_e32 v4, vcc, s6, v4
	s_nop 1
	v_subb_co_u32_e32 v5, vcc, v5, v1, vcc
	v_lshl_add_u64 v[4:5], v[4:5], 0, 8
	v_cndmask_b32_e64 v5, v5, v7, s[4:5]
	v_cndmask_b32_e64 v4, v4, v6, s[4:5]
	s_branch .LBB0_28
.LBB0_26:
                                        ; implicit-def: $vgpr4_vgpr5
	s_cbranch_execz .LBB0_28
; %bb.27:
	s_lshl_b64 s[4:5], s[16:17], 6
	v_lshl_add_u64 v[4:5], v[6:7], 0, s[4:5]
	v_lshl_add_u64 v[8:9], v[4:5], 0, s[4:5]
	;; [unrolled: 1-line block ×3, first 2 shown]
	global_load_dwordx2 v[18:19], v[6:7], off
	global_load_dwordx2 v[20:21], v[4:5], off
	;; [unrolled: 1-line block ×4, first 2 shown]
	v_mul_u32_u24_e32 v1, 0x108, v10
	v_lshl_add_u32 v1, v2, 3, v1
	v_mov_b64_e32 v[4:5], v[6:7]
	s_waitcnt vmcnt(3)
	ds_write_b64 v1, v[18:19]
	s_waitcnt vmcnt(2)
	ds_write_b64 v1, v[20:21] offset:2112
	s_waitcnt vmcnt(1)
	ds_write_b64 v1, v[24:25] offset:4224
	s_waitcnt vmcnt(0)
	ds_write_b64 v1, v[26:27] offset:6336
.LBB0_28:
	v_lshlrev_b32_e32 v16, 2, v10
	v_lshlrev_b32_e32 v11, 3, v2
	v_mul_u32_u24_e32 v3, 0x108, v2
	v_cmp_le_u32_e64 s[4:5], v16, v2
	s_mov_b64 s[6:7], 0
	s_waitcnt lgkmcnt(0)
	s_barrier
                                        ; implicit-def: $vgpr6
	s_and_saveexec_b64 s[8:9], s[4:5]
	s_xor_b64 s[8:9], exec, s[8:9]
	s_cbranch_execz .LBB0_32
; %bb.29:
	v_cmp_eq_u32_e32 vcc, v16, v2
                                        ; implicit-def: $vgpr6
	s_and_saveexec_b64 s[10:11], vcc
	s_xor_b64 s[10:11], exec, s[10:11]
; %bb.30:
	s_mov_b64 s[6:7], exec
	v_add_u32_e32 v6, v11, v3
; %bb.31:
	s_or_b64 exec, exec, s[10:11]
	s_and_b64 s[6:7], s[6:7], exec
.LBB0_32:
	s_or_saveexec_b64 s[8:9], s[8:9]
	v_lshl_or_b32 v1, v2, 8, v11
	v_mov_b32_e32 v7, 0
	v_lshl_add_u32 v1, v16, 3, v1
	s_xor_b64 exec, exec, s[8:9]
	s_cbranch_execz .LBB0_34
; %bb.33:
	s_movk_i32 s10, 0x420
	v_mad_u32_u24 v6, v10, s10, v11
	ds_read_b64 v[6:7], v6
	s_or_b64 s[6:7], s[6:7], exec
	s_waitcnt lgkmcnt(0)
	v_xor_b32_e32 v7, 0x80000000, v7
	ds_write_b32 v1, v6
	v_mov_b32_e32 v6, v1
.LBB0_34:
	s_or_b64 exec, exec, s[8:9]
	s_and_saveexec_b64 s[8:9], s[6:7]
; %bb.35:
	ds_write_b32 v6, v7 offset:4
; %bb.36:
	s_or_b64 exec, exec, s[8:9]
	v_or_b32_e32 v17, 1, v16
	v_cmp_ge_u32_e64 s[6:7], v16, v2
	s_mov_b64 s[8:9], 0
                                        ; implicit-def: $vgpr7
                                        ; implicit-def: $vgpr6
	s_and_saveexec_b64 s[10:11], s[6:7]
	s_xor_b64 s[10:11], exec, s[10:11]
	s_cbranch_execnz .LBB0_66
; %bb.37:
	s_andn2_saveexec_b64 s[10:11], s[10:11]
	s_cbranch_execnz .LBB0_67
.LBB0_38:
	s_or_b64 exec, exec, s[10:11]
	s_and_saveexec_b64 s[10:11], s[8:9]
.LBB0_39:
	ds_write_b32 v6, v7 offset:4
.LBB0_40:
	s_or_b64 exec, exec, s[10:11]
	v_or_b32_e32 v18, 2, v16
	v_cmp_le_u32_e64 s[8:9], v18, v2
	s_mov_b64 s[10:11], 0
                                        ; implicit-def: $vgpr6
	s_and_saveexec_b64 s[12:13], s[8:9]
	s_xor_b64 s[12:13], exec, s[12:13]
	s_cbranch_execnz .LBB0_70
; %bb.41:
	s_or_saveexec_b64 s[12:13], s[12:13]
	v_mov_b32_e32 v7, 0
	s_xor_b64 exec, exec, s[12:13]
	s_cbranch_execnz .LBB0_73
.LBB0_42:
	s_or_b64 exec, exec, s[12:13]
	s_and_saveexec_b64 s[12:13], s[10:11]
.LBB0_43:
	ds_write_b32 v6, v7 offset:4
.LBB0_44:
	s_or_b64 exec, exec, s[12:13]
	v_or_b32_e32 v19, 3, v16
	v_cmp_le_u32_e64 s[10:11], v19, v2
	s_mov_b64 s[12:13], 0
                                        ; implicit-def: $vgpr6
	s_and_saveexec_b64 s[14:15], s[10:11]
	s_xor_b64 s[14:15], exec, s[14:15]
	s_cbranch_execnz .LBB0_74
; %bb.45:
	s_or_saveexec_b64 s[14:15], s[14:15]
	v_mov_b32_e32 v7, 0
	s_xor_b64 exec, exec, s[14:15]
	s_cbranch_execnz .LBB0_77
.LBB0_46:
	s_or_b64 exec, exec, s[14:15]
	s_and_saveexec_b64 s[14:15], s[12:13]
.LBB0_47:
	ds_write_b32 v6, v7 offset:4
.LBB0_48:
	s_or_b64 exec, exec, s[14:15]
	s_movk_i32 s12, 0x420
	v_mad_u32_u24 v1, v10, s12, v11
	s_movk_i32 s12, 0x108
	v_mad_u32_u24 v21, v17, s12, v11
	s_waitcnt lgkmcnt(0)
	s_barrier
	v_lshlrev_b32_e32 v20, 3, v16
	ds_read2_b64 v[6:9], v21 offset1:33
	ds_read_b64 v[34:35], v1
	ds_read_b128 v[26:29], v20 offset:9088
	ds_read_b64 v[36:37], v21 offset:528
	ds_read_b128 v[30:33], v20 offset:9104
	v_mul_u32_u24_e32 v23, 33, v2
	v_lshlrev_b32_e32 v23, 3, v23
	v_mov_b32_e32 v50, 0
	s_waitcnt lgkmcnt(2)
	v_pk_mul_f32 v[38:39], v[26:27], v[34:35] op_sel:[1,1] op_sel_hi:[0,1]
	v_pk_fma_f32 v[40:41], v[26:27], v[34:35], v[38:39] neg_lo:[0,0,1] neg_hi:[0,0,1]
	v_pk_fma_f32 v[26:27], v[26:27], v[34:35], v[38:39] op_sel_hi:[1,0,1]
	v_pk_mul_f32 v[34:35], v[28:29], v[6:7] op_sel:[1,1] op_sel_hi:[0,1]
	v_mov_b32_e32 v41, v27
	v_pk_fma_f32 v[38:39], v[28:29], v[6:7], v[34:35] neg_lo:[0,0,1] neg_hi:[0,0,1]
	v_pk_fma_f32 v[6:7], v[28:29], v[6:7], v[34:35] op_sel_hi:[1,0,1]
	v_pk_add_f32 v[26:27], v[40:41], 0 op_sel_hi:[1,0]
	v_mov_b32_e32 v39, v7
	v_pk_add_f32 v[6:7], v[26:27], v[38:39]
	s_waitcnt lgkmcnt(0)
	v_pk_mul_f32 v[26:27], v[30:31], v[8:9] op_sel:[1,1] op_sel_hi:[0,1]
	v_pk_fma_f32 v[28:29], v[30:31], v[8:9], v[26:27] neg_lo:[0,0,1] neg_hi:[0,0,1]
	v_pk_fma_f32 v[8:9], v[30:31], v[8:9], v[26:27] op_sel_hi:[1,0,1]
	v_lshl_add_u32 v24, v10, 3, v23
	v_mov_b32_e32 v29, v9
	v_pk_mul_f32 v[8:9], v[32:33], v[36:37] op_sel:[1,1] op_sel_hi:[0,1]
	v_pk_fma_f32 v[26:27], v[32:33], v[36:37], v[8:9] neg_lo:[0,0,1] neg_hi:[0,0,1]
	v_pk_fma_f32 v[8:9], v[32:33], v[36:37], v[8:9] op_sel_hi:[1,0,1]
	v_pk_add_f32 v[6:7], v[6:7], v[28:29]
	v_mov_b32_e32 v27, v9
	v_mov_b32_e32 v51, v50
	v_pk_add_f32 v[6:7], v[6:7], v[26:27]
	v_cmp_gt_u32_e64 s[12:13], 32, v22
	s_barrier
	ds_write_b64 v24, v[6:7]
	s_waitcnt lgkmcnt(0)
	s_barrier
	s_and_saveexec_b64 s[14:15], s[12:13]
	s_cbranch_execz .LBB0_50
; %bb.49:
	ds_read2_b64 v[6:9], v23 offset1:7
	ds_read2_b64 v[26:29], v23 offset0:1 offset1:2
	ds_read2_b64 v[30:33], v23 offset0:3 offset1:4
	s_waitcnt lgkmcnt(1)
	v_add_f32_e32 v1, v26, v6
	v_add_f32_e32 v6, v27, v7
	;; [unrolled: 1-line block ×4, first 2 shown]
	ds_read2_b64 v[26:29], v23 offset0:5 offset1:6
	s_waitcnt lgkmcnt(1)
	v_add_f32_e32 v1, v1, v30
	v_add_f32_e32 v6, v6, v31
	;; [unrolled: 1-line block ×4, first 2 shown]
	s_waitcnt lgkmcnt(0)
	v_add_f32_e32 v1, v1, v26
	v_add_f32_e32 v7, v6, v27
	;; [unrolled: 1-line block ×4, first 2 shown]
	v_pk_add_f32 v[50:51], v[6:7], v[8:9]
.LBB0_50:
	s_or_b64 exec, exec, s[14:15]
	s_lshl_b64 s[14:15], s[16:17], 8
	v_lshl_add_u64 v[8:9], v[4:5], 0, s[14:15]
	s_mov_b64 s[14:15], 0x100
	v_lshl_add_u64 v[6:7], v[8:9], 0, s[14:15]
	s_and_b64 vcc, exec, s[26:27]
	s_barrier
	s_cbranch_vccz .LBB0_78
; %bb.51:
	v_sub_co_u32_e32 v4, vcc, v8, v0
	s_ashr_i32 s21, s20, 31
	s_nop 0
	v_subbrev_co_u32_e32 v5, vcc, 0, v9, vcc
	v_or_b32_e32 v1, 32, v2
	v_lshl_add_u64 v[4:5], s[20:21], 3, v[4:5]
	v_mov_b32_e32 v26, 0
	v_lshl_add_u64 v[4:5], v[4:5], 0, -8
	v_cmp_gt_i32_e32 vcc, s20, v1
	s_sub_i32 s37, s20, 32
	v_cmp_gt_i32_e64 s[14:15], s37, v10
	v_cndmask_b32_e32 v5, v5, v7, vcc
	v_cndmask_b32_e32 v4, v4, v6, vcc
	v_mov_b32_e32 v27, v26
	s_and_saveexec_b64 s[28:29], s[14:15]
	s_cbranch_execz .LBB0_53
; %bb.52:
	global_load_dwordx2 v[26:27], v[4:5], off
.LBB0_53:
	s_or_b64 exec, exec, s[28:29]
	s_movk_i32 s14, 0x108
	v_mad_u32_u24 v21, v10, s14, v11
	v_mul_u32_u24_e32 v1, 0x108, v10
	s_waitcnt vmcnt(0)
	ds_write_b64 v21, v[26:27]
	v_add_u32_e32 v21, 8, v10
	v_cmp_le_i32_e64 s[14:15], s37, v21
	v_add_u32_e32 v1, v1, v11
	s_and_saveexec_b64 s[28:29], s[14:15]
	s_xor_b64 s[14:15], exec, s[28:29]
; %bb.54:
	v_mov_b32_e32 v26, 0
	v_mov_b32_e32 v27, v26
	ds_write_b64 v1, v[26:27] offset:2112
; %bb.55:
	s_andn2_saveexec_b64 s[14:15], s[14:15]
	s_cbranch_execz .LBB0_57
; %bb.56:
	s_lshl_b64 s[28:29], s[16:17], 6
	v_lshl_add_u64 v[26:27], v[4:5], 0, s[28:29]
	global_load_dwordx2 v[26:27], v[26:27], off
	s_waitcnt vmcnt(0)
	ds_write_b64 v1, v[26:27] offset:2112
.LBB0_57:
	s_or_b64 exec, exec, s[14:15]
	v_add_u32_e32 v21, 16, v10
	v_cmp_le_i32_e64 s[14:15], s37, v21
	s_and_saveexec_b64 s[28:29], s[14:15]
	s_xor_b64 s[14:15], exec, s[28:29]
; %bb.58:
	v_mov_b32_e32 v26, 0
	v_mov_b32_e32 v27, v26
	ds_write_b64 v1, v[26:27] offset:4224
; %bb.59:
	s_andn2_saveexec_b64 s[14:15], s[14:15]
	s_cbranch_execz .LBB0_61
; %bb.60:
	s_lshl_b64 s[28:29], s[16:17], 7
	v_lshl_add_u64 v[26:27], v[4:5], 0, s[28:29]
	global_load_dwordx2 v[26:27], v[26:27], off
	s_waitcnt vmcnt(0)
	ds_write_b64 v1, v[26:27] offset:4224
.LBB0_61:
	s_or_b64 exec, exec, s[14:15]
	v_add_u32_e32 v21, 24, v10
	v_cmp_le_i32_e64 s[14:15], s37, v21
	s_and_saveexec_b64 s[28:29], s[14:15]
	s_xor_b64 s[14:15], exec, s[28:29]
; %bb.62:
	v_mov_b32_e32 v26, 0
	v_mov_b32_e32 v27, v26
	ds_write_b64 v1, v[26:27] offset:6336
                                        ; implicit-def: $vgpr1
; %bb.63:
	s_andn2_saveexec_b64 s[14:15], s[14:15]
	s_cbranch_execz .LBB0_65
; %bb.64:
	v_mov_b32_e32 v21, 0xc0
	v_mad_u64_u32 v[26:27], s[28:29], s16, v21, v[4:5]
	s_mul_i32 s28, s17, 0xc0
	s_nop 0
	v_add_u32_e32 v27, s28, v27
	global_load_dwordx2 v[26:27], v[26:27], off
	s_waitcnt vmcnt(0)
	ds_write_b64 v1, v[26:27] offset:6336
.LBB0_65:
	s_or_b64 exec, exec, s[14:15]
	v_mov_b32_e32 v1, 0
	v_lshl_add_u64 v[4:5], v[4:5], 0, v[0:1]
	s_lshl_b64 s[14:15], s[20:21], 3
	v_mov_b32_e32 v1, s15
	v_subrev_co_u32_e64 v4, s[14:15], s14, v4
	s_nop 1
	v_subb_co_u32_e64 v5, s[14:15], v5, v1, s[14:15]
	s_mov_b64 s[14:15], 0x108
	s_nop 0
	v_lshl_add_u64 v[4:5], v[4:5], 0, s[14:15]
	v_cndmask_b32_e32 v5, v5, v7, vcc
	v_cndmask_b32_e32 v4, v4, v6, vcc
	s_branch .LBB0_80
.LBB0_66:
	s_movk_i32 s12, 0x108
	v_mad_u32_u24 v6, v17, s12, v11
	ds_read_b64 v[8:9], v6
	s_mov_b64 s[8:9], exec
	v_add_u32_e32 v6, 8, v1
	s_waitcnt lgkmcnt(0)
	v_xor_b32_e32 v7, 0x80000000, v9
	ds_write_b32 v1, v8 offset:8
	s_andn2_saveexec_b64 s[10:11], s[10:11]
	s_cbranch_execz .LBB0_38
.LBB0_67:
	v_cmp_eq_u32_e32 vcc, v17, v2
	s_mov_b64 s[12:13], s[8:9]
                                        ; implicit-def: $vgpr6
	s_and_saveexec_b64 s[14:15], vcc
; %bb.68:
	v_add_u32_e32 v6, v11, v3
	s_or_b64 s[12:13], s[8:9], exec
; %bb.69:
	s_or_b64 exec, exec, s[14:15]
	s_andn2_b64 s[8:9], s[8:9], exec
	s_and_b64 s[12:13], s[12:13], exec
	v_mov_b32_e32 v7, 0
	s_or_b64 s[8:9], s[8:9], s[12:13]
	s_or_b64 exec, exec, s[10:11]
	s_and_saveexec_b64 s[10:11], s[8:9]
	s_cbranch_execnz .LBB0_39
	s_branch .LBB0_40
.LBB0_70:
	v_cmp_eq_u32_e32 vcc, v18, v2
                                        ; implicit-def: $vgpr6
	s_and_saveexec_b64 s[14:15], vcc
; %bb.71:
	s_mov_b64 s[10:11], exec
	v_add_u32_e32 v6, v11, v3
; %bb.72:
	s_or_b64 exec, exec, s[14:15]
	s_and_b64 s[10:11], s[10:11], exec
	s_or_saveexec_b64 s[12:13], s[12:13]
	v_mov_b32_e32 v7, 0
	s_xor_b64 exec, exec, s[12:13]
	s_cbranch_execz .LBB0_42
.LBB0_73:
	s_movk_i32 s14, 0x108
	v_mad_u32_u24 v6, v18, s14, v11
	ds_read_b64 v[8:9], v6
	v_add_u32_e32 v6, 16, v1
	s_or_b64 s[10:11], s[10:11], exec
	s_waitcnt lgkmcnt(0)
	v_xor_b32_e32 v7, 0x80000000, v9
	ds_write_b32 v1, v8 offset:16
	s_or_b64 exec, exec, s[12:13]
	s_and_saveexec_b64 s[12:13], s[10:11]
	s_cbranch_execnz .LBB0_43
	s_branch .LBB0_44
.LBB0_74:
	v_cmp_eq_u32_e32 vcc, v19, v2
                                        ; implicit-def: $vgpr6
	s_and_saveexec_b64 s[28:29], vcc
; %bb.75:
	s_mov_b64 s[12:13], exec
	v_add_u32_e32 v6, v11, v3
; %bb.76:
	s_or_b64 exec, exec, s[28:29]
	s_and_b64 s[12:13], s[12:13], exec
                                        ; implicit-def: $vgpr1
	s_or_saveexec_b64 s[14:15], s[14:15]
	v_mov_b32_e32 v7, 0
	s_xor_b64 exec, exec, s[14:15]
	s_cbranch_execz .LBB0_46
.LBB0_77:
	s_movk_i32 s21, 0x108
	v_mad_u32_u24 v6, v19, s21, v11
	ds_read_b64 v[8:9], v6
	v_add_u32_e32 v6, 24, v1
	s_or_b64 s[12:13], s[12:13], exec
	s_waitcnt lgkmcnt(0)
	v_xor_b32_e32 v7, 0x80000000, v9
	ds_write_b32 v1, v8 offset:24
	s_or_b64 exec, exec, s[14:15]
	s_and_saveexec_b64 s[14:15], s[12:13]
	s_cbranch_execnz .LBB0_47
	s_branch .LBB0_48
.LBB0_78:
                                        ; implicit-def: $vgpr4_vgpr5
	s_cbranch_execz .LBB0_80
; %bb.79:
	s_lshl_b64 s[14:15], s[16:17], 6
	v_lshl_add_u64 v[4:5], v[8:9], 0, s[14:15]
	v_lshl_add_u64 v[26:27], v[4:5], 0, s[14:15]
	;; [unrolled: 1-line block ×3, first 2 shown]
	global_load_dwordx2 v[30:31], v[8:9], off offset:256
	global_load_dwordx2 v[32:33], v[4:5], off offset:256
	;; [unrolled: 1-line block ×4, first 2 shown]
	s_movk_i32 s14, 0x108
	v_mad_u32_u24 v1, v10, s14, v11
	v_mov_b64_e32 v[4:5], v[6:7]
	s_waitcnt vmcnt(3)
	ds_write_b64 v1, v[30:31]
	s_waitcnt vmcnt(2)
	ds_write_b64 v1, v[32:33] offset:2112
	s_waitcnt vmcnt(1)
	ds_write_b64 v1, v[34:35] offset:4224
	;; [unrolled: 2-line block ×3, first 2 shown]
.LBB0_80:
	v_mul_u32_u24_e32 v1, 0x420, v10
	s_mov_b64 s[14:15], 0
	s_waitcnt lgkmcnt(0)
	s_barrier
                                        ; implicit-def: $vgpr6
	s_and_saveexec_b64 s[28:29], s[4:5]
	s_xor_b64 s[4:5], exec, s[28:29]
	s_cbranch_execz .LBB0_84
; %bb.81:
	v_cmp_eq_u32_e32 vcc, v16, v2
                                        ; implicit-def: $vgpr6
	s_and_saveexec_b64 s[28:29], vcc
	s_xor_b64 s[28:29], exec, s[28:29]
; %bb.82:
	s_mov_b64 s[14:15], exec
	v_add_u32_e32 v6, v11, v3
; %bb.83:
	s_or_b64 exec, exec, s[28:29]
	s_and_b64 s[14:15], s[14:15], exec
.LBB0_84:
	s_or_saveexec_b64 s[4:5], s[4:5]
	v_mov_b32_e32 v7, 0
	v_add_u32_e32 v8, v11, v1
	v_lshl_add_u32 v1, v16, 3, v23
	s_xor_b64 exec, exec, s[4:5]
	s_cbranch_execz .LBB0_86
; %bb.85:
	ds_read_b64 v[6:7], v8
	s_or_b64 s[14:15], s[14:15], exec
	s_waitcnt lgkmcnt(0)
	v_xor_b32_e32 v7, 0x80000000, v7
	ds_write_b32 v1, v6
	v_mov_b32_e32 v6, v1
.LBB0_86:
	s_or_b64 exec, exec, s[4:5]
	v_mul_u32_u24_e32 v9, 0x108, v17
	s_and_saveexec_b64 s[4:5], s[14:15]
; %bb.87:
	ds_write_b32 v6, v7 offset:4
; %bb.88:
	s_or_b64 exec, exec, s[4:5]
	s_mov_b64 s[4:5], 0
	v_add_u32_e32 v9, v11, v9
                                        ; implicit-def: $vgpr7
                                        ; implicit-def: $vgpr6
	s_and_saveexec_b64 s[14:15], s[6:7]
	s_xor_b64 s[6:7], exec, s[14:15]
	s_cbranch_execnz .LBB0_118
; %bb.89:
	s_andn2_saveexec_b64 s[6:7], s[6:7]
	s_cbranch_execnz .LBB0_119
.LBB0_90:
	s_or_b64 exec, exec, s[6:7]
	s_and_saveexec_b64 s[6:7], s[4:5]
.LBB0_91:
	ds_write_b32 v6, v7 offset:4
.LBB0_92:
	s_or_b64 exec, exec, s[6:7]
	s_mov_b64 s[4:5], 0
                                        ; implicit-def: $vgpr6
	s_and_saveexec_b64 s[6:7], s[8:9]
	s_xor_b64 s[6:7], exec, s[6:7]
	s_cbranch_execnz .LBB0_122
; %bb.93:
	s_or_saveexec_b64 s[6:7], s[6:7]
	v_mov_b32_e32 v7, 0
	s_xor_b64 exec, exec, s[6:7]
	s_cbranch_execnz .LBB0_125
.LBB0_94:
	s_or_b64 exec, exec, s[6:7]
	s_and_saveexec_b64 s[6:7], s[4:5]
.LBB0_95:
	ds_write_b32 v6, v7 offset:4
.LBB0_96:
	s_or_b64 exec, exec, s[6:7]
	s_mov_b64 s[4:5], 0
                                        ; implicit-def: $vgpr6
	s_and_saveexec_b64 s[6:7], s[10:11]
	s_xor_b64 s[6:7], exec, s[6:7]
	s_cbranch_execnz .LBB0_126
; %bb.97:
	s_or_saveexec_b64 s[6:7], s[6:7]
	v_mov_b32_e32 v3, 0
	s_xor_b64 exec, exec, s[6:7]
	s_cbranch_execnz .LBB0_129
.LBB0_98:
	s_or_b64 exec, exec, s[6:7]
	v_add_u32_e32 v25, 0x2380, v20
	s_and_saveexec_b64 s[6:7], s[4:5]
.LBB0_99:
	ds_write_b32 v6, v3 offset:4
.LBB0_100:
	s_or_b64 exec, exec, s[6:7]
	s_waitcnt lgkmcnt(0)
	s_barrier
	ds_read_b64 v[6:7], v8
	ds_read_b128 v[16:19], v25 offset:256
	ds_read2_b64 v[26:29], v9 offset1:33
	ds_read_b64 v[20:21], v9 offset:528
	ds_read_b128 v[30:33], v25 offset:272
	v_cmp_eq_u32_e64 s[4:5], 1, v10
	s_waitcnt lgkmcnt(3)
	v_pk_mul_f32 v[34:35], v[16:17], v[6:7] op_sel:[1,1] op_sel_hi:[0,1]
	v_pk_fma_f32 v[36:37], v[16:17], v[6:7], v[34:35] neg_lo:[0,0,1] neg_hi:[0,0,1]
	v_pk_fma_f32 v[6:7], v[16:17], v[6:7], v[34:35] op_sel_hi:[1,0,1]
	s_waitcnt lgkmcnt(2)
	v_pk_mul_f32 v[16:17], v[18:19], v[26:27] op_sel:[1,1] op_sel_hi:[0,1]
	v_pk_fma_f32 v[34:35], v[18:19], v[26:27], v[16:17] neg_lo:[0,0,1] neg_hi:[0,0,1]
	v_pk_fma_f32 v[16:17], v[18:19], v[26:27], v[16:17] op_sel_hi:[1,0,1]
	v_mov_b32_e32 v37, v7
	v_mov_b32_e32 v35, v17
	s_waitcnt lgkmcnt(0)
	v_pk_mul_f32 v[16:17], v[30:31], v[28:29] op_sel:[1,1] op_sel_hi:[0,1]
	v_pk_add_f32 v[6:7], v[36:37], 0 op_sel_hi:[1,0]
	v_pk_fma_f32 v[18:19], v[30:31], v[28:29], v[16:17] neg_lo:[0,0,1] neg_hi:[0,0,1]
	v_pk_fma_f32 v[16:17], v[30:31], v[28:29], v[16:17] op_sel_hi:[1,0,1]
	v_pk_add_f32 v[6:7], v[6:7], v[34:35]
	v_mov_b32_e32 v19, v17
	v_pk_mul_f32 v[16:17], v[32:33], v[20:21] op_sel:[1,1] op_sel_hi:[0,1]
	v_pk_add_f32 v[6:7], v[6:7], v[18:19]
	v_pk_fma_f32 v[18:19], v[32:33], v[20:21], v[16:17] neg_lo:[0,0,1] neg_hi:[0,0,1]
	v_pk_fma_f32 v[16:17], v[32:33], v[20:21], v[16:17] op_sel_hi:[1,0,1]
	s_nop 0
	v_mov_b32_e32 v19, v17
	v_pk_add_f32 v[6:7], v[6:7], v[18:19]
	s_barrier
	ds_write_b64 v24, v[6:7]
	s_waitcnt lgkmcnt(0)
	s_barrier
	s_and_saveexec_b64 s[6:7], s[4:5]
	s_cbranch_execz .LBB0_102
; %bb.101:
	ds_read2_b64 v[16:19], v23 offset1:7
	ds_read2_b64 v[26:29], v23 offset0:1 offset1:2
	ds_read2_b64 v[30:33], v23 offset0:3 offset1:4
	s_waitcnt lgkmcnt(1)
	v_add_f32_e32 v1, v26, v16
	v_add_f32_e32 v3, v27, v17
	;; [unrolled: 1-line block ×4, first 2 shown]
	ds_read2_b64 v[26:29], v23 offset0:5 offset1:6
	s_waitcnt lgkmcnt(1)
	v_add_f32_e32 v1, v1, v30
	v_add_f32_e32 v3, v3, v31
	v_add_f32_e32 v1, v1, v32
	v_add_f32_e32 v3, v3, v33
	s_waitcnt lgkmcnt(0)
	v_add_f32_e32 v6, v1, v26
	v_add_f32_e32 v7, v3, v27
	v_pk_add_f32 v[6:7], v[6:7], v[28:29]
	s_nop 0
	v_pk_add_f32 v[50:51], v[6:7], v[18:19]
.LBB0_102:
	s_or_b64 exec, exec, s[6:7]
	s_movk_i32 s6, 0xff00
	s_mov_b32 s7, -1
	v_lshl_add_u64 v[6:7], v[4:5], 0, s[6:7]
	s_and_b64 vcc, exec, s[26:27]
	s_barrier
	s_cbranch_vccz .LBB0_130
; %bb.103:
	v_sub_co_u32_e32 v18, vcc, v4, v0
	s_ashr_i32 s21, s20, 31
	s_nop 0
	v_subbrev_co_u32_e32 v19, vcc, 0, v5, vcc
	s_movk_i32 s6, 0xfef8
	v_lshl_add_u64 v[18:19], s[20:21], 3, v[18:19]
	s_mov_b32 s7, -1
	v_mov_b32_e32 v16, 0
	v_lshl_add_u64 v[18:19], v[18:19], 0, s[6:7]
	v_cmp_gt_i32_e32 vcc, s20, v2
	s_sub_i32 s10, s20, 32
	v_cmp_gt_i32_e64 s[6:7], s10, v10
	v_cndmask_b32_e32 v3, v19, v7, vcc
	v_cndmask_b32_e32 v2, v18, v6, vcc
	v_mov_b32_e32 v17, v16
	s_and_saveexec_b64 s[8:9], s[6:7]
	s_cbranch_execz .LBB0_105
; %bb.104:
	global_load_dwordx2 v[16:17], v[2:3], off
.LBB0_105:
	s_or_b64 exec, exec, s[8:9]
	s_movk_i32 s6, 0x108
	v_mad_u32_u24 v18, v10, s6, v11
	v_mul_u32_u24_e32 v1, 0x108, v10
	s_waitcnt vmcnt(0)
	ds_write_b64 v18, v[16:17]
	v_add_u32_e32 v18, 8, v10
	v_cmp_le_i32_e64 s[6:7], s10, v18
	v_add_u32_e32 v1, v1, v11
	s_and_saveexec_b64 s[8:9], s[6:7]
	s_xor_b64 s[6:7], exec, s[8:9]
; %bb.106:
	v_mov_b32_e32 v16, 0
	v_mov_b32_e32 v17, v16
	ds_write_b64 v1, v[16:17] offset:2112
; %bb.107:
	s_andn2_saveexec_b64 s[6:7], s[6:7]
	s_cbranch_execz .LBB0_109
; %bb.108:
	s_lshl_b64 s[8:9], s[16:17], 6
	v_lshl_add_u64 v[16:17], v[2:3], 0, s[8:9]
	global_load_dwordx2 v[16:17], v[16:17], off
	s_waitcnt vmcnt(0)
	ds_write_b64 v1, v[16:17] offset:2112
.LBB0_109:
	s_or_b64 exec, exec, s[6:7]
	v_add_u32_e32 v19, 16, v10
	v_cmp_le_i32_e64 s[6:7], s10, v19
	s_and_saveexec_b64 s[8:9], s[6:7]
	s_xor_b64 s[6:7], exec, s[8:9]
; %bb.110:
	v_mov_b32_e32 v16, 0
	v_mov_b32_e32 v17, v16
	ds_write_b64 v1, v[16:17] offset:4224
; %bb.111:
	s_andn2_saveexec_b64 s[6:7], s[6:7]
	s_cbranch_execz .LBB0_113
; %bb.112:
	s_lshl_b64 s[8:9], s[16:17], 7
	v_lshl_add_u64 v[16:17], v[2:3], 0, s[8:9]
	global_load_dwordx2 v[16:17], v[16:17], off
	s_waitcnt vmcnt(0)
	ds_write_b64 v1, v[16:17] offset:4224
.LBB0_113:
	s_or_b64 exec, exec, s[6:7]
	v_add_u32_e32 v20, 24, v10
	v_cmp_le_i32_e64 s[6:7], s10, v20
	s_and_saveexec_b64 s[8:9], s[6:7]
	s_xor_b64 s[6:7], exec, s[8:9]
; %bb.114:
	v_mov_b32_e32 v16, 0
	v_mov_b32_e32 v17, v16
	ds_write_b64 v1, v[16:17] offset:6336
                                        ; implicit-def: $vgpr1
; %bb.115:
	s_andn2_saveexec_b64 s[6:7], s[6:7]
	s_cbranch_execz .LBB0_117
; %bb.116:
	v_mov_b32_e32 v16, 0xc0
	v_mad_u64_u32 v[16:17], s[8:9], s16, v16, v[2:3]
	s_mul_i32 s8, s17, 0xc0
	s_nop 0
	v_add_u32_e32 v17, s8, v17
	global_load_dwordx2 v[16:17], v[16:17], off
	s_waitcnt vmcnt(0)
	ds_write_b64 v1, v[16:17] offset:6336
.LBB0_117:
	s_or_b64 exec, exec, s[6:7]
	v_mov_b32_e32 v1, 0
	v_lshl_add_u64 v[0:1], v[2:3], 0, v[0:1]
	s_lshl_b64 s[6:7], s[20:21], 3
	v_mov_b32_e32 v2, s7
	v_subrev_co_u32_e64 v0, s[6:7], s6, v0
	s_nop 1
	v_subb_co_u32_e64 v1, s[6:7], v1, v2, s[6:7]
	v_lshl_add_u64 v[0:1], v[0:1], 0, 8
	v_cndmask_b32_e32 v17, v1, v7, vcc
	v_cndmask_b32_e32 v16, v0, v6, vcc
	s_branch .LBB0_132
.LBB0_118:
	ds_read_b64 v[16:17], v9
	s_mov_b64 s[4:5], exec
	v_add_u32_e32 v6, 8, v1
	s_waitcnt lgkmcnt(0)
	v_xor_b32_e32 v7, 0x80000000, v17
	ds_write_b32 v1, v16 offset:8
                                        ; implicit-def: $vgpr17
	s_andn2_saveexec_b64 s[6:7], s[6:7]
	s_cbranch_execz .LBB0_90
.LBB0_119:
	v_cmp_eq_u32_e32 vcc, v17, v2
	s_mov_b64 s[14:15], s[4:5]
                                        ; implicit-def: $vgpr6
	s_and_saveexec_b64 s[28:29], vcc
; %bb.120:
	v_add_u32_e32 v6, v11, v3
	s_or_b64 s[14:15], s[4:5], exec
; %bb.121:
	s_or_b64 exec, exec, s[28:29]
	s_andn2_b64 s[4:5], s[4:5], exec
	s_and_b64 s[14:15], s[14:15], exec
	v_mov_b32_e32 v7, 0
	s_or_b64 s[4:5], s[4:5], s[14:15]
	s_or_b64 exec, exec, s[6:7]
	s_and_saveexec_b64 s[6:7], s[4:5]
	s_cbranch_execnz .LBB0_91
	s_branch .LBB0_92
.LBB0_122:
	v_cmp_eq_u32_e32 vcc, v18, v2
                                        ; implicit-def: $vgpr6
	s_and_saveexec_b64 s[8:9], vcc
; %bb.123:
	s_mov_b64 s[4:5], exec
	v_add_u32_e32 v6, v11, v3
; %bb.124:
	s_or_b64 exec, exec, s[8:9]
	s_and_b64 s[4:5], s[4:5], exec
	s_or_saveexec_b64 s[6:7], s[6:7]
	v_mov_b32_e32 v7, 0
	s_xor_b64 exec, exec, s[6:7]
	s_cbranch_execz .LBB0_94
.LBB0_125:
	ds_read_b64 v[16:17], v9 offset:264
	v_add_u32_e32 v6, 16, v1
	s_or_b64 s[4:5], s[4:5], exec
	s_waitcnt lgkmcnt(0)
	v_xor_b32_e32 v7, 0x80000000, v17
	ds_write_b32 v1, v16 offset:16
	s_or_b64 exec, exec, s[6:7]
	s_and_saveexec_b64 s[6:7], s[4:5]
	s_cbranch_execnz .LBB0_95
	s_branch .LBB0_96
.LBB0_126:
	v_cmp_eq_u32_e32 vcc, v19, v2
                                        ; implicit-def: $vgpr6
	s_and_saveexec_b64 s[8:9], vcc
; %bb.127:
	s_mov_b64 s[4:5], exec
	v_add_u32_e32 v6, v11, v3
; %bb.128:
	s_or_b64 exec, exec, s[8:9]
	s_and_b64 s[4:5], s[4:5], exec
                                        ; implicit-def: $vgpr1
	s_or_saveexec_b64 s[6:7], s[6:7]
	v_mov_b32_e32 v3, 0
	s_xor_b64 exec, exec, s[6:7]
	s_cbranch_execz .LBB0_98
.LBB0_129:
	ds_read_b64 v[16:17], v9 offset:528
	v_add_u32_e32 v6, 24, v1
	s_or_b64 s[4:5], s[4:5], exec
	s_waitcnt lgkmcnt(0)
	v_xor_b32_e32 v3, 0x80000000, v17
	ds_write_b32 v1, v16 offset:24
	s_or_b64 exec, exec, s[6:7]
	v_add_u32_e32 v25, 0x2380, v20
	s_and_saveexec_b64 s[6:7], s[4:5]
	s_cbranch_execnz .LBB0_99
	s_branch .LBB0_100
.LBB0_130:
                                        ; implicit-def: $vgpr16_vgpr17
                                        ; implicit-def: $vgpr18
                                        ; implicit-def: $vgpr19
                                        ; implicit-def: $vgpr20
	s_cbranch_execz .LBB0_132
; %bb.131:
	s_lshl_b64 s[6:7], s[16:17], 6
	v_lshl_add_u64 v[0:1], v[4:5], 0, s[6:7]
	v_lshl_add_u64 v[2:3], v[0:1], 0, s[6:7]
	;; [unrolled: 1-line block ×3, first 2 shown]
	global_load_dwordx2 v[26:27], v[4:5], off offset:-256
	global_load_dwordx2 v[28:29], v[0:1], off offset:-256
	;; [unrolled: 1-line block ×4, first 2 shown]
	s_movk_i32 s6, 0x108
	v_add_u32_e32 v18, 8, v10
	v_add_u32_e32 v19, 16, v10
	;; [unrolled: 1-line block ×3, first 2 shown]
	v_mad_u32_u24 v0, v10, s6, v11
	v_mov_b64_e32 v[16:17], v[6:7]
	s_waitcnt vmcnt(3)
	ds_write_b64 v0, v[26:27]
	s_waitcnt vmcnt(2)
	ds_write_b64 v0, v[28:29] offset:2112
	s_waitcnt vmcnt(1)
	ds_write_b64 v0, v[30:31] offset:4224
	;; [unrolled: 2-line block ×3, first 2 shown]
.LBB0_132:
	v_lshlrev_b32_e32 v4, 3, v10
	v_lshlrev_b32_e32 v6, 3, v18
	;; [unrolled: 1-line block ×4, first 2 shown]
	v_add_u32_e32 v5, v23, v4
	v_add_u32_e32 v7, v23, v6
	;; [unrolled: 1-line block ×4, first 2 shown]
	s_waitcnt lgkmcnt(0)
	s_barrier
	ds_read2_b64 v[0:3], v9 offset1:33
	ds_read_b64 v[20:21], v8
	ds_read_b64 v[18:19], v9 offset:528
	ds_read_b64 v[26:27], v5
	ds_read_b64 v[28:29], v7
	ds_read_b64 v[30:31], v6 offset:9088
	ds_read_b64 v[32:33], v4 offset:9088
	ds_read_b64 v[34:35], v11
	ds_read_b64 v[36:37], v36
	ds_read_b64 v[38:39], v38 offset:9088
	ds_read_b64 v[40:41], v10 offset:9088
	ds_read_b128 v[8:11], v25 offset:256
	ds_read_b128 v[4:7], v25 offset:272
	s_waitcnt lgkmcnt(6)
	v_pk_mul_f32 v[42:43], v[26:27], v[32:33] op_sel:[1,1] op_sel_hi:[1,0]
	v_pk_mul_f32 v[44:45], v[28:29], v[30:31] op_sel:[1,1] op_sel_hi:[1,0]
	v_pk_fma_f32 v[54:55], v[26:27], v[32:33], v[42:43]
	v_pk_fma_f32 v[26:27], v[26:27], v[32:33], v[42:43] op_sel_hi:[0,1,1] neg_lo:[0,0,1] neg_hi:[0,0,1]
	s_waitcnt lgkmcnt(2)
	v_pk_mul_f32 v[46:47], v[34:35], v[40:41] op_sel:[1,1] op_sel_hi:[1,0]
	v_mov_b32_e32 v55, v27
	v_pk_fma_f32 v[32:33], v[28:29], v[30:31], v[44:45]
	v_pk_fma_f32 v[28:29], v[28:29], v[30:31], v[44:45] op_sel_hi:[0,1,1] neg_lo:[0,0,1] neg_hi:[0,0,1]
	v_pk_add_f32 v[26:27], v[54:55], 0 op_sel_hi:[1,0]
	v_mov_b32_e32 v33, v29
	v_pk_fma_f32 v[28:29], v[34:35], v[40:41], v[46:47]
	v_pk_fma_f32 v[30:31], v[34:35], v[40:41], v[46:47] op_sel_hi:[0,1,1] neg_lo:[0,0,1] neg_hi:[0,0,1]
	v_pk_mul_f32 v[52:53], v[36:37], v[38:39] op_sel:[1,1] op_sel_hi:[1,0]
	v_pk_add_f32 v[26:27], v[26:27], v[32:33]
	v_mov_b32_e32 v29, v31
	v_pk_add_f32 v[26:27], v[26:27], v[28:29]
	v_pk_fma_f32 v[28:29], v[36:37], v[38:39], v[52:53]
	v_pk_fma_f32 v[30:31], v[36:37], v[38:39], v[52:53] op_sel_hi:[0,1,1] neg_lo:[0,0,1] neg_hi:[0,0,1]
	v_mov_b32_e32 v29, v31
	v_pk_add_f32 v[26:27], v[26:27], v[28:29]
	s_waitcnt lgkmcnt(0)
	s_barrier
	ds_write_b64 v24, v[26:27]
	s_waitcnt lgkmcnt(0)
	s_barrier
	s_and_saveexec_b64 s[6:7], s[4:5]
	s_cbranch_execz .LBB0_134
; %bb.133:
	ds_read2_b64 v[26:29], v23 offset1:1
	ds_read2_b64 v[30:33], v23 offset0:2 offset1:3
	ds_read2_b64 v[34:37], v23 offset0:4 offset1:5
	s_waitcnt lgkmcnt(2)
	v_pk_add_f32 v[26:27], v[50:51], v[26:27]
	s_nop 0
	v_pk_add_f32 v[38:39], v[26:27], v[28:29]
	ds_read2_b64 v[26:29], v23 offset0:6 offset1:7
	s_waitcnt lgkmcnt(2)
	v_pk_add_f32 v[30:31], v[38:39], v[30:31]
	s_nop 0
	v_pk_add_f32 v[30:31], v[30:31], v[32:33]
	s_waitcnt lgkmcnt(1)
	v_pk_add_f32 v[30:31], v[30:31], v[34:35]
	s_nop 0
	v_pk_add_f32 v[30:31], v[30:31], v[36:37]
	;; [unrolled: 4-line block ×3, first 2 shown]
.LBB0_134:
	s_or_b64 exec, exec, s[6:7]
	v_pk_mul_f32 v[26:27], v[8:9], v[20:21] op_sel:[1,1] op_sel_hi:[0,1]
	v_pk_fma_f32 v[28:29], v[8:9], v[20:21], v[26:27] neg_lo:[0,0,1] neg_hi:[0,0,1]
	v_pk_fma_f32 v[8:9], v[8:9], v[20:21], v[26:27] op_sel_hi:[1,0,1]
	v_pk_mul_f32 v[20:21], v[10:11], v[0:1] op_sel:[1,1] op_sel_hi:[0,1]
	v_mov_b32_e32 v29, v9
	v_pk_fma_f32 v[26:27], v[10:11], v[0:1], v[20:21] neg_lo:[0,0,1] neg_hi:[0,0,1]
	v_pk_fma_f32 v[0:1], v[10:11], v[0:1], v[20:21] op_sel_hi:[1,0,1]
	v_pk_add_f32 v[8:9], v[28:29], 0 op_sel_hi:[1,0]
	v_mov_b32_e32 v27, v1
	v_pk_add_f32 v[0:1], v[8:9], v[26:27]
	v_pk_mul_f32 v[8:9], v[4:5], v[2:3] op_sel:[1,1] op_sel_hi:[0,1]
	v_pk_fma_f32 v[10:11], v[4:5], v[2:3], v[8:9] neg_lo:[0,0,1] neg_hi:[0,0,1]
	v_pk_fma_f32 v[2:3], v[4:5], v[2:3], v[8:9] op_sel_hi:[1,0,1]
	s_nop 0
	v_mov_b32_e32 v11, v3
	v_pk_mul_f32 v[2:3], v[6:7], v[18:19] op_sel:[1,1] op_sel_hi:[0,1]
	v_pk_fma_f32 v[4:5], v[6:7], v[18:19], v[2:3] neg_lo:[0,0,1] neg_hi:[0,0,1]
	v_pk_fma_f32 v[2:3], v[6:7], v[18:19], v[2:3] op_sel_hi:[1,0,1]
	v_pk_add_f32 v[0:1], v[0:1], v[10:11]
	v_mov_b32_e32 v5, v3
	v_pk_add_f32 v[0:1], v[0:1], v[4:5]
	s_barrier
	ds_write_b64 v24, v[0:1]
	s_waitcnt lgkmcnt(0)
	s_barrier
	s_and_saveexec_b64 s[4:5], s[12:13]
	s_cbranch_execz .LBB0_136
; %bb.135:
	ds_read2_b64 v[0:3], v23 offset1:1
	ds_read2_b64 v[4:7], v23 offset0:2 offset1:3
	ds_read2_b64 v[8:11], v23 offset0:4 offset1:5
	s_waitcnt lgkmcnt(2)
	v_pk_add_f32 v[0:1], v[50:51], v[0:1]
	s_nop 0
	v_pk_add_f32 v[18:19], v[0:1], v[2:3]
	ds_read2_b64 v[0:3], v23 offset0:6 offset1:7
	s_waitcnt lgkmcnt(2)
	v_pk_add_f32 v[4:5], v[18:19], v[4:5]
	s_nop 0
	v_pk_add_f32 v[4:5], v[4:5], v[6:7]
	s_waitcnt lgkmcnt(1)
	v_pk_add_f32 v[4:5], v[4:5], v[8:9]
	s_nop 0
	v_pk_add_f32 v[4:5], v[4:5], v[10:11]
	;; [unrolled: 4-line block ×3, first 2 shown]
.LBB0_136:
	s_or_b64 exec, exec, s[4:5]
	s_mul_hi_u32 s4, s33, s3
	s_mul_i32 s36, s36, s3
	s_add_i32 s4, s4, s36
	s_mul_i32 s3, s33, s3
	s_mul_i32 s4, s4, s30
	s_mul_hi_u32 s5, s3, s30
	s_add_i32 s5, s5, s4
	s_mul_i32 s4, s3, s30
	s_lshl_b64 s[4:5], s[4:5], 3
	s_add_u32 s3, s34, s4
	s_addc_u32 s6, s35, s5
	s_mul_hi_i32 s5, s33, s2
	s_mul_i32 s4, s33, s2
	s_lshl_b64 s[4:5], s[4:5], 3
	s_add_u32 s8, s3, s4
	s_addc_u32 s9, s6, s5
	s_add_i32 s3, s2, 1
	s_cmp_ge_u32 s3, s30
	v_lshlrev_b32_e32 v52, 3, v122
	s_barrier
	s_cbranch_scc1 .LBB0_194
; %bb.137:
	s_mul_i32 s3, s24, s23
	s_mul_hi_u32 s4, s24, s22
	s_add_i32 s3, s4, s3
	s_mul_i32 s4, s25, s22
	s_add_i32 s5, s3, s4
	s_mul_i32 s4, s24, s22
	s_lshl_b64 s[4:5], s[4:5], 3
	v_mov_b32_e32 v0, s5
	v_subrev_co_u32_e32 v54, vcc, s4, v12
	s_movk_i32 s4, 0x860
	s_nop 0
	v_subb_co_u32_e32 v55, vcc, v13, v0, vcc
	v_lshrrev_b32_e32 v0, 4, v22
	v_lshlrev_b32_e32 v2, 5, v0
	v_mul_i32_i24_e32 v38, 0xffffffe8, v0
	v_and_b32_e32 v0, 48, v122
	v_and_b32_e32 v1, 15, v122
	v_lshlrev_b32_e32 v36, 5, v123
	v_mad_u32_u24 v128, v123, s4, v52
	s_movk_i32 s4, 0x218
	v_lshlrev_b32_e32 v0, 3, v0
	v_mad_u32_u24 v130, v1, s4, v0
	v_or_b32_e32 v0, 0x78, v52
	v_add_u32_e32 v3, 0x100, v36
	v_mad_u32_u24 v129, v1, s4, v2
	v_mad_u32_u24 v131, v1, s4, v0
	v_mad_u64_u32 v[0:1], s[4:5], s16, v3, 0
	v_mov_b32_e32 v2, v1
	v_lshlrev_b64 v[4:5], 3, v[14:15]
	v_mad_u64_u32 v[2:3], s[4:5], s17, v3, v[2:3]
	v_sub_co_u32_e32 v0, vcc, v0, v4
	v_add_u32_e32 v7, 0x110, v36
	s_nop 0
	v_subb_co_u32_e32 v1, vcc, v2, v5, vcc
	v_mad_u64_u32 v[2:3], s[4:5], s16, v7, 0
	v_mov_b32_e32 v6, v3
	v_mad_u64_u32 v[6:7], s[4:5], s17, v7, v[6:7]
	v_sub_co_u32_e32 v2, vcc, v2, v4
	v_add_u32_e32 v9, 0x108, v36
	s_nop 0
	v_subb_co_u32_e32 v3, vcc, v6, v5, vcc
	v_mad_u64_u32 v[6:7], s[4:5], s16, v9, 0
	v_mov_b32_e32 v8, v7
	;; [unrolled: 7-line block ×7, first 2 shown]
	v_mad_u64_u32 v[20:21], s[4:5], s17, v21, v[20:21]
	v_sub_co_u32_e32 v18, vcc, v18, v4
	v_add_u32_e32 v23, 0x200, v36
	s_nop 0
	v_subb_co_u32_e32 v19, vcc, v20, v5, vcc
	v_mad_u64_u32 v[20:21], s[4:5], s16, v23, 0
	v_cmp_gt_u32_e64 s[6:7], 64, v22
	v_mov_b32_e32 v22, v21
	v_mad_u64_u32 v[22:23], s[4:5], s17, v23, v[22:23]
	v_sub_co_u32_e32 v20, vcc, v20, v4
	v_add_u32_e32 v25, 0x208, v36
	s_nop 0
	v_subb_co_u32_e32 v21, vcc, v22, v5, vcc
	v_mad_u64_u32 v[22:23], s[4:5], s16, v25, 0
	v_mov_b32_e32 v24, v23
	v_mad_u64_u32 v[24:25], s[4:5], s17, v25, v[24:25]
	v_sub_co_u32_e32 v22, vcc, v22, v4
	v_add_u32_e32 v27, 0x210, v36
	s_nop 0
	v_subb_co_u32_e32 v23, vcc, v24, v5, vcc
	v_mad_u64_u32 v[24:25], s[4:5], s16, v27, 0
	;; [unrolled: 7-line block ×7, first 2 shown]
	v_add_u32_e32 v126, 0x2180, v36
	v_mov_b32_e32 v36, v35
	v_mad_u64_u32 v[36:37], s[4:5], s17, v37, v[36:37]
	v_sub_co_u32_e32 v4, vcc, v34, v4
	v_lshlrev_b32_e32 v124, 2, v123
	s_nop 0
	v_subb_co_u32_e32 v5, vcc, v36, v5, vcc
	v_mov_b32_e32 v148, 0
	s_add_i32 s3, s30, -2
	v_add_u32_e32 v125, 0x2180, v52
	v_add_u32_e32 v127, 0x2380, v52
	v_or_b32_e32 v132, 1, v124
	v_or_b32_e32 v133, 2, v124
	;; [unrolled: 1-line block ×3, first 2 shown]
	v_add_u32_e32 v135, 16, v124
	v_add_u32_e32 v136, 17, v124
	;; [unrolled: 1-line block ×8, first 2 shown]
	s_add_i32 s21, s22, 64
	v_mov_b32_e32 v53, v148
	v_lshl_add_u64 v[56:57], v[16:17], 0, v[0:1]
	s_lshl_b64 s[10:11], s[16:17], 9
	v_lshl_add_u64 v[58:59], v[16:17], 0, v[2:3]
	v_lshl_add_u64 v[60:61], v[16:17], 0, v[6:7]
	;; [unrolled: 1-line block ×15, first 2 shown]
	v_add_u32_e32 v143, v129, v38
	v_mov_b32_e32 v88, 0
	v_mov_b32_e32 v89, v148
	v_add_u32_e32 v144, 48, v124
	v_add_u32_e32 v145, 49, v124
	;; [unrolled: 1-line block ×4, first 2 shown]
	s_cmp_eq_u32 s3, s2
	s_cselect_b32 s22, s31, 0
	s_and_saveexec_b64 s[4:5], s[0:1]
	s_cbranch_execz .LBB0_142
.LBB0_138:
	s_cmp_lg_u32 s22, 0
	s_cselect_b64 s[12:13], -1, 0
	v_cmp_le_i32_e32 vcc, s22, v122
	s_and_b64 s[12:13], s[12:13], vcc
	s_and_saveexec_b64 s[14:15], s[12:13]
	s_xor_b64 s[12:13], exec, s[14:15]
; %bb.139:
	ds_write_b64 v125, v[88:89]
; %bb.140:
	s_andn2_saveexec_b64 s[12:13], s[12:13]
	s_cbranch_execz .LBB0_142
; %bb.141:
	s_ashr_i32 s12, s21, 31
	s_mul_hi_u32 s13, s24, s21
	s_mul_i32 s12, s24, s12
	s_add_i32 s12, s13, s12
	s_mul_i32 s13, s25, s21
	s_add_i32 s13, s12, s13
	s_mul_i32 s12, s24, s21
	v_lshl_add_u64 v[0:1], s[12:13], 3, v[54:55]
	global_load_dwordx2 v[0:1], v[0:1], off
	s_waitcnt vmcnt(0)
	ds_write_b64 v125, v[0:1]
.LBB0_142:                              ; =>This Inner Loop Header: Depth=1
	s_or_b64 exec, exec, s[4:5]
	s_cmp_eq_u32 s22, 0
	s_cselect_b64 s[12:13], -1, 0
	s_cmp_lg_u32 s22, 0
	s_cselect_b64 s[14:15], -1, 0
	v_lshl_add_u64 v[0:1], v[56:57], 0, v[52:53]
	s_and_b64 vcc, exec, s[14:15]
	s_waitcnt lgkmcnt(0)
	s_barrier
	s_cbranch_vccz .LBB0_150
; %bb.143:                              ;   in Loop: Header=BB0_142 Depth=1
	v_mov_b32_e32 v90, 0
	v_mov_b32_e32 v91, v148
	v_cmp_gt_i32_e32 vcc, s22, v124
	v_mov_b64_e32 v[92:93], v[90:91]
	s_and_saveexec_b64 s[4:5], vcc
	s_cbranch_execz .LBB0_145
; %bb.144:                              ;   in Loop: Header=BB0_142 Depth=1
	global_load_dwordx2 v[92:93], v[0:1], off
.LBB0_145:                              ;   in Loop: Header=BB0_142 Depth=1
	s_or_b64 exec, exec, s[4:5]
	v_cmp_gt_i32_e32 vcc, s22, v132
	s_and_saveexec_b64 s[4:5], vcc
	s_cbranch_execz .LBB0_147
; %bb.146:                              ;   in Loop: Header=BB0_142 Depth=1
	v_lshl_add_u64 v[2:3], v[60:61], 0, v[52:53]
	global_load_dwordx2 v[90:91], v[2:3], off
.LBB0_147:                              ;   in Loop: Header=BB0_142 Depth=1
	s_or_b64 exec, exec, s[4:5]
	v_mov_b32_e32 v149, v148
	v_cmp_gt_i32_e32 vcc, s22, v133
	v_mov_b64_e32 v[94:95], v[148:149]
	s_and_saveexec_b64 s[4:5], vcc
	s_cbranch_execz .LBB0_149
; %bb.148:                              ;   in Loop: Header=BB0_142 Depth=1
	v_lshl_add_u64 v[2:3], v[58:59], 0, v[52:53]
	global_load_dwordx2 v[94:95], v[2:3], off
.LBB0_149:                              ;   in Loop: Header=BB0_142 Depth=1
	s_or_b64 exec, exec, s[4:5]
	v_cmp_gt_i32_e64 s[4:5], s22, v134
	s_branch .LBB0_152
.LBB0_150:                              ;   in Loop: Header=BB0_142 Depth=1
	s_mov_b64 s[4:5], 0
                                        ; implicit-def: $vgpr94_vgpr95
                                        ; implicit-def: $vgpr90_vgpr91
                                        ; implicit-def: $vgpr92_vgpr93
	s_cbranch_execz .LBB0_152
; %bb.151:                              ;   in Loop: Header=BB0_142 Depth=1
	global_load_dwordx2 v[92:93], v[0:1], off
	v_lshl_add_u64 v[0:1], v[60:61], 0, v[52:53]
	global_load_dwordx2 v[90:91], v[0:1], off
	v_lshl_add_u64 v[0:1], v[58:59], 0, v[52:53]
	global_load_dwordx2 v[94:95], v[0:1], off
	s_or_b64 s[4:5], s[4:5], exec
.LBB0_152:                              ;   in Loop: Header=BB0_142 Depth=1
	v_mov_b32_e32 v96, 0
	v_mov_b32_e32 v97, 0
	s_and_saveexec_b64 s[16:17], s[4:5]
	s_cbranch_execz .LBB0_154
; %bb.153:                              ;   in Loop: Header=BB0_142 Depth=1
	v_lshl_add_u64 v[0:1], v[62:63], 0, v[52:53]
	global_load_dwordx2 v[96:97], v[0:1], off
.LBB0_154:                              ;   in Loop: Header=BB0_142 Depth=1
	s_or_b64 exec, exec, s[16:17]
	ds_read_b64 v[0:1], v127
	s_andn2_b64 vcc, exec, s[14:15]
	s_waitcnt vmcnt(0) lgkmcnt(0)
	v_pk_mul_f32 v[2:3], v[92:93], v[0:1] op_sel:[1,0]
	v_pk_mul_f32 v[4:5], v[90:91], v[0:1] op_sel:[1,0]
	v_pk_fma_f32 v[6:7], v[92:93], v[0:1], v[2:3] op_sel:[0,0,1] op_sel_hi:[1,1,0]
	v_pk_fma_f32 v[2:3], v[92:93], v[0:1], v[2:3] op_sel:[0,0,1] op_sel_hi:[0,1,0] neg_lo:[0,0,1] neg_hi:[0,0,1]
	v_pk_fma_f32 v[8:9], v[90:91], v[0:1], v[4:5] op_sel:[0,0,1] op_sel_hi:[1,1,0]
	v_pk_fma_f32 v[4:5], v[90:91], v[0:1], v[4:5] op_sel:[0,0,1] op_sel_hi:[0,1,0] neg_lo:[0,0,1] neg_hi:[0,0,1]
	v_mov_b32_e32 v7, v3
	v_pk_mul_f32 v[2:3], v[94:95], v[0:1] op_sel:[1,0]
	v_mov_b32_e32 v9, v5
	v_pk_fma_f32 v[4:5], v[94:95], v[0:1], v[2:3] op_sel:[0,0,1] op_sel_hi:[1,1,0]
	v_pk_fma_f32 v[2:3], v[94:95], v[0:1], v[2:3] op_sel:[0,0,1] op_sel_hi:[0,1,0] neg_lo:[0,0,1] neg_hi:[0,0,1]
	v_mov_b32_e32 v5, v3
	v_pk_mul_f32 v[2:3], v[96:97], v[0:1] op_sel:[1,0]
	ds_write2_b64 v128, v[6:7], v[8:9] offset1:67
	v_pk_fma_f32 v[6:7], v[96:97], v[0:1], v[2:3] op_sel:[0,0,1] op_sel_hi:[1,1,0]
	v_pk_fma_f32 v[0:1], v[96:97], v[0:1], v[2:3] op_sel:[0,0,1] op_sel_hi:[0,1,0] neg_lo:[0,0,1] neg_hi:[0,0,1]
	v_mov_b32_e32 v7, v1
	ds_write2_b64 v128, v[4:5], v[6:7] offset0:134 offset1:201
	ds_read_b128 v[4:7], v126
	ds_read_b128 v[0:3], v126 offset:16
	s_waitcnt lgkmcnt(0)
	s_barrier
	ds_read2_b64 v[20:23], v129 offset1:1
	ds_read2_b64 v[16:19], v129 offset0:2 offset1:3
	v_cndmask_b32_e64 v8, 0, 1, s[14:15]
	v_cmp_ne_u32_e64 s[4:5], 1, v8
	v_lshl_add_u64 v[8:9], v[64:65], 0, v[52:53]
	s_waitcnt lgkmcnt(0)
	s_barrier
	s_cbranch_vccnz .LBB0_162
; %bb.155:                              ;   in Loop: Header=BB0_142 Depth=1
	v_mov_b32_e32 v98, 0
	v_mov_b32_e32 v99, v148
	v_cmp_gt_i32_e32 vcc, s22, v135
	v_mov_b64_e32 v[100:101], v[98:99]
	s_and_saveexec_b64 s[14:15], vcc
	s_cbranch_execz .LBB0_157
; %bb.156:                              ;   in Loop: Header=BB0_142 Depth=1
	global_load_dwordx2 v[100:101], v[8:9], off
.LBB0_157:                              ;   in Loop: Header=BB0_142 Depth=1
	s_or_b64 exec, exec, s[14:15]
	v_cmp_gt_i32_e32 vcc, s22, v136
	s_and_saveexec_b64 s[14:15], vcc
	s_cbranch_execz .LBB0_159
; %bb.158:                              ;   in Loop: Header=BB0_142 Depth=1
	v_lshl_add_u64 v[10:11], v[66:67], 0, v[52:53]
	global_load_dwordx2 v[98:99], v[10:11], off
.LBB0_159:                              ;   in Loop: Header=BB0_142 Depth=1
	s_or_b64 exec, exec, s[14:15]
	v_mov_b32_e32 v149, v148
	v_cmp_gt_i32_e32 vcc, s22, v137
	v_mov_b64_e32 v[102:103], v[148:149]
	s_and_saveexec_b64 s[14:15], vcc
	s_cbranch_execz .LBB0_161
; %bb.160:                              ;   in Loop: Header=BB0_142 Depth=1
	v_lshl_add_u64 v[10:11], v[68:69], 0, v[52:53]
	global_load_dwordx2 v[102:103], v[10:11], off
.LBB0_161:                              ;   in Loop: Header=BB0_142 Depth=1
	s_or_b64 exec, exec, s[14:15]
	v_cmp_gt_i32_e64 s[14:15], s22, v138
	s_branch .LBB0_164
.LBB0_162:                              ;   in Loop: Header=BB0_142 Depth=1
	s_mov_b64 s[14:15], 0
                                        ; implicit-def: $vgpr102_vgpr103
                                        ; implicit-def: $vgpr98_vgpr99
                                        ; implicit-def: $vgpr100_vgpr101
	s_cbranch_execz .LBB0_164
; %bb.163:                              ;   in Loop: Header=BB0_142 Depth=1
	global_load_dwordx2 v[100:101], v[8:9], off
	v_lshl_add_u64 v[8:9], v[66:67], 0, v[52:53]
	global_load_dwordx2 v[98:99], v[8:9], off
	v_lshl_add_u64 v[8:9], v[68:69], 0, v[52:53]
	global_load_dwordx2 v[102:103], v[8:9], off
	s_or_b64 s[14:15], s[14:15], exec
.LBB0_164:                              ;   in Loop: Header=BB0_142 Depth=1
	v_mov_b32_e32 v104, 0
	v_mov_b32_e32 v105, 0
	s_and_saveexec_b64 s[16:17], s[14:15]
	s_cbranch_execz .LBB0_166
; %bb.165:                              ;   in Loop: Header=BB0_142 Depth=1
	v_lshl_add_u64 v[8:9], v[70:71], 0, v[52:53]
	global_load_dwordx2 v[104:105], v[8:9], off
.LBB0_166:                              ;   in Loop: Header=BB0_142 Depth=1
	s_or_b64 exec, exec, s[16:17]
	ds_read_b64 v[24:25], v127
	ds_read_b128 v[12:15], v126 offset:128
	ds_read_b128 v[8:11], v126 offset:144
	s_and_b64 vcc, exec, s[4:5]
	s_waitcnt vmcnt(0) lgkmcnt(2)
	v_pk_mul_f32 v[26:27], v[100:101], v[24:25] op_sel:[1,1] op_sel_hi:[1,0]
	v_pk_mul_f32 v[28:29], v[98:99], v[24:25] op_sel:[1,1] op_sel_hi:[1,0]
	v_pk_fma_f32 v[30:31], v[100:101], v[24:25], v[26:27]
	v_pk_fma_f32 v[26:27], v[100:101], v[24:25], v[26:27] op_sel_hi:[0,1,1] neg_lo:[0,0,1] neg_hi:[0,0,1]
	v_mov_b32_e32 v31, v27
	v_pk_fma_f32 v[26:27], v[98:99], v[24:25], v[28:29]
	v_pk_fma_f32 v[28:29], v[98:99], v[24:25], v[28:29] op_sel_hi:[0,1,1] neg_lo:[0,0,1] neg_hi:[0,0,1]
	v_mov_b32_e32 v27, v29
	ds_write2_b64 v128, v[30:31], v[26:27] offset1:67
	v_pk_mul_f32 v[26:27], v[102:103], v[24:25] op_sel:[1,1] op_sel_hi:[1,0]
	s_nop 0
	v_pk_fma_f32 v[28:29], v[102:103], v[24:25], v[26:27]
	v_pk_fma_f32 v[26:27], v[102:103], v[24:25], v[26:27] op_sel_hi:[0,1,1] neg_lo:[0,0,1] neg_hi:[0,0,1]
	v_mov_b32_e32 v29, v27
	v_pk_mul_f32 v[26:27], v[104:105], v[24:25] op_sel:[1,1] op_sel_hi:[1,0]
	s_nop 0
	v_pk_fma_f32 v[30:31], v[104:105], v[24:25], v[26:27]
	v_pk_fma_f32 v[24:25], v[104:105], v[24:25], v[26:27] op_sel_hi:[0,1,1] neg_lo:[0,0,1] neg_hi:[0,0,1]
	v_mov_b32_e32 v31, v25
	ds_write2_b64 v128, v[28:29], v[30:31] offset0:134 offset1:201
	s_waitcnt lgkmcnt(0)
	s_barrier
	ds_read2_b64 v[36:39], v129 offset1:1
	ds_read2_b64 v[32:35], v129 offset0:2 offset1:3
	v_lshl_add_u64 v[24:25], v[72:73], 0, v[52:53]
	s_waitcnt lgkmcnt(0)
	s_barrier
	s_cbranch_vccnz .LBB0_174
; %bb.167:                              ;   in Loop: Header=BB0_142 Depth=1
	v_mov_b32_e32 v106, 0
	v_mov_b32_e32 v107, v148
	v_cmp_gt_i32_e32 vcc, s22, v139
	v_mov_b64_e32 v[108:109], v[106:107]
	s_and_saveexec_b64 s[14:15], vcc
	s_cbranch_execz .LBB0_169
; %bb.168:                              ;   in Loop: Header=BB0_142 Depth=1
	global_load_dwordx2 v[108:109], v[24:25], off
.LBB0_169:                              ;   in Loop: Header=BB0_142 Depth=1
	s_or_b64 exec, exec, s[14:15]
	v_cmp_gt_i32_e32 vcc, s22, v140
	s_and_saveexec_b64 s[14:15], vcc
	s_cbranch_execz .LBB0_171
; %bb.170:                              ;   in Loop: Header=BB0_142 Depth=1
	v_lshl_add_u64 v[26:27], v[74:75], 0, v[52:53]
	global_load_dwordx2 v[106:107], v[26:27], off
.LBB0_171:                              ;   in Loop: Header=BB0_142 Depth=1
	s_or_b64 exec, exec, s[14:15]
	v_mov_b32_e32 v149, v148
	v_cmp_gt_i32_e32 vcc, s22, v141
	v_mov_b64_e32 v[110:111], v[148:149]
	s_and_saveexec_b64 s[14:15], vcc
	s_cbranch_execz .LBB0_173
; %bb.172:                              ;   in Loop: Header=BB0_142 Depth=1
	v_lshl_add_u64 v[26:27], v[76:77], 0, v[52:53]
	global_load_dwordx2 v[110:111], v[26:27], off
.LBB0_173:                              ;   in Loop: Header=BB0_142 Depth=1
	s_or_b64 exec, exec, s[14:15]
	v_cmp_gt_i32_e64 s[14:15], s22, v142
	s_branch .LBB0_176
.LBB0_174:                              ;   in Loop: Header=BB0_142 Depth=1
	s_mov_b64 s[14:15], 0
                                        ; implicit-def: $vgpr110_vgpr111
                                        ; implicit-def: $vgpr106_vgpr107
                                        ; implicit-def: $vgpr108_vgpr109
	s_cbranch_execz .LBB0_176
; %bb.175:                              ;   in Loop: Header=BB0_142 Depth=1
	global_load_dwordx2 v[108:109], v[24:25], off
	v_lshl_add_u64 v[24:25], v[74:75], 0, v[52:53]
	global_load_dwordx2 v[106:107], v[24:25], off
	v_lshl_add_u64 v[24:25], v[76:77], 0, v[52:53]
	global_load_dwordx2 v[110:111], v[24:25], off
	s_or_b64 s[14:15], s[14:15], exec
.LBB0_176:                              ;   in Loop: Header=BB0_142 Depth=1
	v_mov_b32_e32 v112, 0
	v_mov_b32_e32 v113, 0
	s_and_saveexec_b64 s[16:17], s[14:15]
	s_cbranch_execz .LBB0_178
; %bb.177:                              ;   in Loop: Header=BB0_142 Depth=1
	v_lshl_add_u64 v[24:25], v[78:79], 0, v[52:53]
	global_load_dwordx2 v[112:113], v[24:25], off
.LBB0_178:                              ;   in Loop: Header=BB0_142 Depth=1
	s_or_b64 exec, exec, s[16:17]
	ds_read_b64 v[24:25], v127
	s_and_b64 vcc, exec, s[4:5]
	v_lshl_add_u64 v[120:121], v[80:81], 0, v[52:53]
	s_waitcnt vmcnt(0) lgkmcnt(0)
	v_pk_mul_f32 v[26:27], v[108:109], v[24:25] op_sel:[1,0]
	v_pk_mul_f32 v[28:29], v[106:107], v[24:25] op_sel:[1,0]
	v_pk_fma_f32 v[30:31], v[108:109], v[24:25], v[26:27] op_sel:[0,0,1] op_sel_hi:[1,1,0]
	v_pk_fma_f32 v[26:27], v[108:109], v[24:25], v[26:27] op_sel:[0,0,1] op_sel_hi:[0,1,0] neg_lo:[0,0,1] neg_hi:[0,0,1]
	v_pk_fma_f32 v[40:41], v[106:107], v[24:25], v[28:29] op_sel:[0,0,1] op_sel_hi:[1,1,0]
	v_pk_fma_f32 v[28:29], v[106:107], v[24:25], v[28:29] op_sel:[0,0,1] op_sel_hi:[0,1,0] neg_lo:[0,0,1] neg_hi:[0,0,1]
	v_mov_b32_e32 v31, v27
	v_pk_mul_f32 v[26:27], v[110:111], v[24:25] op_sel:[1,0]
	v_mov_b32_e32 v41, v29
	v_pk_fma_f32 v[28:29], v[110:111], v[24:25], v[26:27] op_sel:[0,0,1] op_sel_hi:[1,1,0]
	v_pk_fma_f32 v[26:27], v[110:111], v[24:25], v[26:27] op_sel:[0,0,1] op_sel_hi:[0,1,0] neg_lo:[0,0,1] neg_hi:[0,0,1]
	v_mov_b32_e32 v29, v27
	v_pk_mul_f32 v[26:27], v[112:113], v[24:25] op_sel:[1,0]
	ds_write2_b64 v128, v[30:31], v[40:41] offset1:67
	v_pk_fma_f32 v[30:31], v[112:113], v[24:25], v[26:27] op_sel:[0,0,1] op_sel_hi:[1,1,0]
	v_pk_fma_f32 v[24:25], v[112:113], v[24:25], v[26:27] op_sel:[0,0,1] op_sel_hi:[0,1,0] neg_lo:[0,0,1] neg_hi:[0,0,1]
	v_mov_b32_e32 v31, v25
	ds_write2_b64 v128, v[28:29], v[30:31] offset0:134 offset1:201
	ds_read_b128 v[28:31], v126 offset:256
	ds_read_b128 v[24:27], v126 offset:272
	s_waitcnt lgkmcnt(0)
	s_barrier
	ds_read2_b64 v[44:47], v129 offset1:1
	ds_read2_b64 v[40:43], v129 offset0:2 offset1:3
	s_waitcnt lgkmcnt(0)
	s_barrier
	s_cbranch_vccnz .LBB0_186
; %bb.179:                              ;   in Loop: Header=BB0_142 Depth=1
	v_mov_b32_e32 v114, 0
	v_mov_b32_e32 v115, v148
	v_cmp_gt_i32_e32 vcc, s22, v144
	v_mov_b64_e32 v[116:117], v[114:115]
	s_and_saveexec_b64 s[4:5], vcc
	s_cbranch_execz .LBB0_181
; %bb.180:                              ;   in Loop: Header=BB0_142 Depth=1
	global_load_dwordx2 v[116:117], v[120:121], off
.LBB0_181:                              ;   in Loop: Header=BB0_142 Depth=1
	s_or_b64 exec, exec, s[4:5]
	v_cmp_gt_i32_e32 vcc, s22, v145
	s_and_saveexec_b64 s[4:5], vcc
	s_cbranch_execz .LBB0_183
; %bb.182:                              ;   in Loop: Header=BB0_142 Depth=1
	v_lshl_add_u64 v[114:115], v[82:83], 0, v[52:53]
	global_load_dwordx2 v[114:115], v[114:115], off
.LBB0_183:                              ;   in Loop: Header=BB0_142 Depth=1
	s_or_b64 exec, exec, s[4:5]
	v_mov_b32_e32 v149, v148
	v_cmp_gt_i32_e32 vcc, s22, v146
	v_mov_b64_e32 v[118:119], v[148:149]
	s_and_saveexec_b64 s[4:5], vcc
	s_cbranch_execz .LBB0_185
; %bb.184:                              ;   in Loop: Header=BB0_142 Depth=1
	v_lshl_add_u64 v[118:119], v[84:85], 0, v[52:53]
	global_load_dwordx2 v[118:119], v[118:119], off
.LBB0_185:                              ;   in Loop: Header=BB0_142 Depth=1
	s_or_b64 exec, exec, s[4:5]
	v_cmp_gt_i32_e64 s[4:5], s22, v147
	s_branch .LBB0_188
.LBB0_186:                              ;   in Loop: Header=BB0_142 Depth=1
	s_mov_b64 s[4:5], 0
                                        ; implicit-def: $vgpr118_vgpr119
                                        ; implicit-def: $vgpr114_vgpr115
                                        ; implicit-def: $vgpr116_vgpr117
	s_cbranch_execz .LBB0_188
; %bb.187:                              ;   in Loop: Header=BB0_142 Depth=1
	s_waitcnt vmcnt(0)
	v_lshl_add_u64 v[114:115], v[82:83], 0, v[52:53]
	v_lshl_add_u64 v[118:119], v[84:85], 0, v[52:53]
	global_load_dwordx2 v[116:117], v[120:121], off
	s_or_b64 s[4:5], s[4:5], exec
	global_load_dwordx2 v[114:115], v[114:115], off
	s_nop 0
	global_load_dwordx2 v[118:119], v[118:119], off
.LBB0_188:                              ;   in Loop: Header=BB0_142 Depth=1
	v_mov_b32_e32 v120, 0
	v_mov_b32_e32 v121, 0
	s_and_saveexec_b64 s[14:15], s[4:5]
	s_cbranch_execz .LBB0_190
; %bb.189:                              ;   in Loop: Header=BB0_142 Depth=1
	v_lshl_add_u64 v[120:121], v[86:87], 0, v[52:53]
	global_load_dwordx2 v[120:121], v[120:121], off
.LBB0_190:                              ;   in Loop: Header=BB0_142 Depth=1
	s_or_b64 exec, exec, s[14:15]
	v_pk_add_f32 v[44:45], v[44:45], 0 op_sel_hi:[1,0]
	v_pk_add_f32 v[36:37], v[36:37], 0 op_sel_hi:[1,0]
	v_pk_add_f32 v[44:45], v[44:45], v[46:47]
	v_pk_add_f32 v[36:37], v[36:37], v[38:39]
	;; [unrolled: 1-line block ×5, first 2 shown]
	ds_read_b64 v[40:41], v127
	v_pk_add_f32 v[46:47], v[32:33], v[34:35]
	v_pk_add_f32 v[20:21], v[20:21], 0 op_sel_hi:[1,0]
	v_cmp_gt_i32_e32 vcc, s22, v122
	v_pk_add_f32 v[150:151], v[20:21], v[22:23]
	s_waitcnt vmcnt(0) lgkmcnt(0)
	v_pk_mul_f32 v[32:33], v[116:117], v[40:41] op_sel:[1,0]
	v_pk_add_f32 v[16:17], v[150:151], v[16:17]
	v_pk_fma_f32 v[34:35], v[116:117], v[40:41], v[32:33] op_sel:[0,0,1] op_sel_hi:[1,1,0]
	v_pk_fma_f32 v[32:33], v[116:117], v[40:41], v[32:33] op_sel:[0,0,1] op_sel_hi:[0,1,0] neg_lo:[0,0,1] neg_hi:[0,0,1]
	v_mov_b32_e32 v35, v33
	v_pk_mul_f32 v[32:33], v[114:115], v[40:41] op_sel:[1,0]
	v_pk_add_f32 v[16:17], v[16:17], v[18:19]
	v_pk_fma_f32 v[36:37], v[114:115], v[40:41], v[32:33] op_sel:[0,0,1] op_sel_hi:[1,1,0]
	v_pk_fma_f32 v[32:33], v[114:115], v[40:41], v[32:33] op_sel:[0,0,1] op_sel_hi:[0,1,0] neg_lo:[0,0,1] neg_hi:[0,0,1]
	v_mov_b32_e32 v37, v33
	v_pk_mul_f32 v[32:33], v[118:119], v[40:41] op_sel:[1,0]
	ds_write2_b64 v128, v[34:35], v[36:37] offset1:67
	v_pk_fma_f32 v[34:35], v[118:119], v[40:41], v[32:33] op_sel:[0,0,1] op_sel_hi:[1,1,0]
	v_pk_fma_f32 v[32:33], v[118:119], v[40:41], v[32:33] op_sel:[0,0,1] op_sel_hi:[0,1,0] neg_lo:[0,0,1] neg_hi:[0,0,1]
	v_mov_b32_e32 v35, v33
	v_pk_mul_f32 v[32:33], v[120:121], v[40:41] op_sel:[1,0]
	s_or_b64 s[4:5], s[12:13], vcc
	v_pk_fma_f32 v[36:37], v[120:121], v[40:41], v[32:33] op_sel:[0,0,1] op_sel_hi:[1,1,0]
	v_pk_fma_f32 v[32:33], v[120:121], v[40:41], v[32:33] op_sel:[0,0,1] op_sel_hi:[0,1,0] neg_lo:[0,0,1] neg_hi:[0,0,1]
	v_mov_b32_e32 v37, v33
	ds_write2_b64 v128, v[34:35], v[36:37] offset0:134 offset1:201
	ds_read_b128 v[36:39], v126 offset:384
	ds_read_b128 v[32:35], v126 offset:400
	s_waitcnt lgkmcnt(0)
	s_barrier
	ds_read2_b64 v[40:43], v129 offset1:1
	ds_read2_b64 v[20:23], v129 offset0:2 offset1:3
	s_and_b64 s[12:13], s[6:7], s[4:5]
	s_waitcnt lgkmcnt(0)
	s_barrier
	v_pk_add_f32 v[18:19], v[40:41], 0 op_sel_hi:[1,0]
	s_nop 0
	v_pk_add_f32 v[18:19], v[18:19], v[42:43]
	s_nop 0
	v_pk_add_f32 v[18:19], v[18:19], v[20:21]
	;; [unrolled: 2-line block ×3, first 2 shown]
	ds_write2_b64 v143, v[16:17], v[46:47] offset1:16
	ds_write2_b64 v143, v[44:45], v[18:19] offset0:32 offset1:48
	s_waitcnt lgkmcnt(0)
	s_barrier
	s_and_saveexec_b64 s[4:5], s[12:13]
	s_cbranch_execz .LBB0_192
; %bb.191:                              ;   in Loop: Header=BB0_142 Depth=1
	ds_read_b64 v[40:41], v130
	ds_read2_b64 v[16:19], v130 offset0:1 offset1:2
	ds_read2_b64 v[20:23], v130 offset0:3 offset1:4
	v_add_u32_e32 v42, s21, v122
	v_ashrrev_i32_e32 v43, 31, v42
	v_lshl_add_u64 v[44:45], v[42:43], 3, s[8:9]
	s_waitcnt lgkmcnt(1)
	v_add_f32_e32 v16, v16, v40
	v_add_f32_e32 v17, v17, v41
	;; [unrolled: 1-line block ×4, first 2 shown]
	ds_read2_b64 v[16:19], v130 offset0:5 offset1:6
	s_waitcnt lgkmcnt(1)
	v_add_f32_e32 v20, v40, v20
	v_add_f32_e32 v21, v41, v21
	;; [unrolled: 1-line block ×4, first 2 shown]
	ds_read2_b64 v[20:23], v130 offset0:7 offset1:8
	s_waitcnt lgkmcnt(1)
	v_pk_add_f32 v[16:17], v[40:41], v[16:17]
	ds_read2_b64 v[40:43], v130 offset0:9 offset1:10
	v_pk_add_f32 v[16:17], v[16:17], v[18:19]
	s_waitcnt lgkmcnt(1)
	v_pk_add_f32 v[16:17], v[16:17], v[20:21]
	s_nop 0
	v_pk_add_f32 v[20:21], v[16:17], v[22:23]
	ds_read2_b64 v[16:19], v130 offset0:11 offset1:12
	s_waitcnt lgkmcnt(1)
	v_pk_add_f32 v[40:41], v[20:21], v[40:41]
	ds_read2_b64 v[20:23], v130 offset0:13 offset1:14
	v_pk_add_f32 v[40:41], v[40:41], v[42:43]
	ds_read_b64 v[42:43], v131
	s_waitcnt lgkmcnt(2)
	v_pk_add_f32 v[16:17], v[40:41], v[16:17]
	s_nop 0
	v_pk_add_f32 v[16:17], v[16:17], v[18:19]
	s_waitcnt lgkmcnt(1)
	v_pk_add_f32 v[16:17], v[16:17], v[20:21]
	s_nop 0
	v_pk_add_f32 v[16:17], v[16:17], v[22:23]
	s_waitcnt lgkmcnt(0)
	v_pk_add_f32 v[16:17], v[16:17], v[42:43]
	global_store_dwordx2 v[44:45], v[16:17], off
.LBB0_192:                              ;   in Loop: Header=BB0_142 Depth=1
	s_or_b64 exec, exec, s[4:5]
	v_mov_b32_e32 v16, v92
	v_mov_b32_e32 v17, v92
	;; [unrolled: 1-line block ×3, first 2 shown]
	v_pk_mul_f32 v[92:93], v[92:93], v[4:5]
	v_mov_b32_e32 v18, v90
	v_mov_b32_e32 v19, v90
	;; [unrolled: 1-line block ×3, first 2 shown]
	v_pk_fma_f32 v[158:159], v[16:17], v[4:5], v[92:93] op_sel:[0,0,1] op_sel_hi:[1,1,0] neg_lo:[0,0,1] neg_hi:[0,0,1]
	v_pk_fma_f32 v[4:5], v[16:17], v[4:5], v[92:93] op_sel:[0,0,1] op_sel_hi:[1,1,0]
	v_pk_mul_f32 v[16:17], v[90:91], v[6:7]
	v_mov_b32_e32 v159, v5
	v_mov_b32_e32 v20, v94
	;; [unrolled: 1-line block ×4, first 2 shown]
	v_pk_add_f32 v[4:5], v[50:51], v[158:159]
	v_pk_fma_f32 v[50:51], v[18:19], v[6:7], v[16:17] op_sel:[0,0,1] op_sel_hi:[1,1,0] neg_lo:[0,0,1] neg_hi:[0,0,1]
	v_pk_fma_f32 v[6:7], v[18:19], v[6:7], v[16:17] op_sel:[0,0,1] op_sel_hi:[1,1,0]
	v_mov_b32_e32 v22, v96
	v_mov_b32_e32 v51, v7
	v_pk_mul_f32 v[6:7], v[94:95], v[0:1]
	v_mov_b32_e32 v23, v96
	v_pk_fma_f32 v[16:17], v[20:21], v[0:1], v[6:7] op_sel:[0,0,1] op_sel_hi:[1,1,0] neg_lo:[0,0,1] neg_hi:[0,0,1]
	v_pk_fma_f32 v[0:1], v[20:21], v[0:1], v[6:7] op_sel:[0,0,1] op_sel_hi:[1,1,0]
	v_mov_b32_e32 v96, v97
	v_pk_add_f32 v[4:5], v[4:5], v[50:51]
	v_mov_b32_e32 v17, v1
	v_pk_add_f32 v[0:1], v[4:5], v[16:17]
	v_pk_mul_f32 v[4:5], v[96:97], v[2:3]
	v_mov_b32_e32 v40, v108
	v_pk_fma_f32 v[6:7], v[22:23], v[2:3], v[4:5] op_sel:[0,0,1] op_sel_hi:[1,1,0] neg_lo:[0,0,1] neg_hi:[0,0,1]
	v_pk_fma_f32 v[2:3], v[22:23], v[2:3], v[4:5] op_sel:[0,0,1] op_sel_hi:[1,1,0]
	v_mov_b32_e32 v4, v15
	v_mov_b32_e32 v7, v3
	v_pk_mul_f32 v[2:3], v[100:101], v[12:13] op_sel:[1,1] op_sel_hi:[0,1]
	v_pk_add_f32 v[0:1], v[0:1], v[6:7]
	v_pk_mul_f32 v[4:5], v[98:99], v[4:5] op_sel:[1,0] op_sel_hi:[0,0]
	v_pk_fma_f32 v[6:7], v[100:101], v[12:13], v[2:3] neg_lo:[0,0,1] neg_hi:[0,0,1]
	v_pk_fma_f32 v[2:3], v[100:101], v[12:13], v[2:3] op_sel_hi:[1,0,1]
	v_mov_b32_e32 v41, v108
	v_mov_b32_e32 v7, v3
	v_pk_fma_f32 v[2:3], v[98:99], v[14:15], v[4:5] neg_lo:[0,0,1] neg_hi:[0,0,1]
	v_pk_fma_f32 v[4:5], v[98:99], v[14:15], v[4:5] op_sel_hi:[1,0,1]
	v_pk_add_f32 v[0:1], v[0:1], v[6:7]
	v_mov_b32_e32 v3, v5
	v_pk_add_f32 v[0:1], v[0:1], v[2:3]
	v_pk_mul_f32 v[2:3], v[102:103], v[8:9] op_sel:[1,1] op_sel_hi:[0,1]
	v_pk_fma_f32 v[4:5], v[102:103], v[8:9], v[2:3] neg_lo:[0,0,1] neg_hi:[0,0,1]
	v_pk_fma_f32 v[2:3], v[102:103], v[8:9], v[2:3] op_sel_hi:[1,0,1]
	v_mov_b32_e32 v108, v109
	v_mov_b32_e32 v2, v11
	;; [unrolled: 1-line block ×3, first 2 shown]
	v_pk_mul_f32 v[2:3], v[104:105], v[2:3] op_sel:[1,0] op_sel_hi:[0,0]
	v_pk_add_f32 v[0:1], v[0:1], v[4:5]
	v_pk_fma_f32 v[4:5], v[104:105], v[10:11], v[2:3] neg_lo:[0,0,1] neg_hi:[0,0,1]
	v_pk_fma_f32 v[2:3], v[104:105], v[10:11], v[2:3] op_sel_hi:[1,0,1]
	v_mov_b32_e32 v42, v106
	v_mov_b32_e32 v5, v3
	v_pk_mul_f32 v[2:3], v[108:109], v[28:29]
	v_mov_b32_e32 v43, v106
	v_mov_b32_e32 v106, v107
	v_pk_add_f32 v[0:1], v[0:1], v[4:5]
	v_pk_fma_f32 v[4:5], v[40:41], v[28:29], v[2:3] op_sel:[0,0,1] op_sel_hi:[1,1,0] neg_lo:[0,0,1] neg_hi:[0,0,1]
	v_pk_fma_f32 v[2:3], v[40:41], v[28:29], v[2:3] op_sel:[0,0,1] op_sel_hi:[1,1,0]
	v_mov_b32_e32 v44, v110
	v_mov_b32_e32 v5, v3
	v_pk_mul_f32 v[2:3], v[106:107], v[30:31]
	v_mov_b32_e32 v45, v110
	v_mov_b32_e32 v110, v111
	v_pk_add_f32 v[0:1], v[0:1], v[4:5]
	v_pk_fma_f32 v[4:5], v[42:43], v[30:31], v[2:3] op_sel:[0,0,1] op_sel_hi:[1,1,0] neg_lo:[0,0,1] neg_hi:[0,0,1]
	v_pk_fma_f32 v[2:3], v[42:43], v[30:31], v[2:3] op_sel:[0,0,1] op_sel_hi:[1,1,0]
	;; [unrolled: 8-line block ×5, first 2 shown]
	v_mov_b32_e32 v154, v118
	v_mov_b32_e32 v5, v3
	v_pk_mul_f32 v[2:3], v[114:115], v[38:39]
	v_mov_b32_e32 v155, v118
	v_mov_b32_e32 v118, v119
	v_pk_fma_f32 v[6:7], v[152:153], v[38:39], v[2:3] op_sel:[0,0,1] op_sel_hi:[1,1,0] neg_lo:[0,0,1] neg_hi:[0,0,1]
	v_pk_fma_f32 v[2:3], v[152:153], v[38:39], v[2:3] op_sel:[0,0,1] op_sel_hi:[1,1,0]
	v_mov_b32_e32 v156, v120
	v_mov_b32_e32 v7, v3
	v_pk_mul_f32 v[2:3], v[118:119], v[32:33]
	v_mov_b32_e32 v157, v120
	v_mov_b32_e32 v120, v121
	v_pk_fma_f32 v[8:9], v[154:155], v[32:33], v[2:3] op_sel:[0,0,1] op_sel_hi:[1,1,0] neg_lo:[0,0,1] neg_hi:[0,0,1]
	v_pk_fma_f32 v[2:3], v[154:155], v[32:33], v[2:3] op_sel:[0,0,1] op_sel_hi:[1,1,0]
	v_pk_add_f32 v[0:1], v[0:1], v[4:5]
	v_mov_b32_e32 v9, v3
	v_pk_mul_f32 v[2:3], v[120:121], v[34:35]
	v_pk_add_f32 v[0:1], v[0:1], v[6:7]
	v_pk_fma_f32 v[10:11], v[156:157], v[34:35], v[2:3] op_sel:[0,0,1] op_sel_hi:[1,1,0] neg_lo:[0,0,1] neg_hi:[0,0,1]
	v_pk_fma_f32 v[2:3], v[156:157], v[34:35], v[2:3] op_sel:[0,0,1] op_sel_hi:[1,1,0]
	v_pk_add_f32 v[0:1], v[0:1], v[8:9]
	v_mov_b32_e32 v11, v3
	s_add_i32 s4, s2, 1
	s_add_i32 s21, s21, 64
	;; [unrolled: 1-line block ×3, first 2 shown]
	v_pk_add_f32 v[50:51], v[0:1], v[10:11]
	v_lshl_add_u64 v[56:57], v[56:57], 0, s[10:11]
	v_lshl_add_u64 v[58:59], v[58:59], 0, s[10:11]
	;; [unrolled: 1-line block ×15, first 2 shown]
	s_cmp_ge_u32 s2, s30
	v_lshl_add_u64 v[86:87], v[86:87], 0, s[10:11]
	s_barrier
	s_cbranch_scc1 .LBB0_194
; %bb.193:                              ;   in Loop: Header=BB0_142 Depth=1
	s_mov_b32 s2, s4
	s_cmp_eq_u32 s3, s2
	s_cselect_b32 s22, s31, 0
	s_and_saveexec_b64 s[4:5], s[0:1]
	s_cbranch_execnz .LBB0_138
	s_branch .LBB0_142
.LBB0_194:
	s_movk_i32 s2, 0x218
	v_cmp_gt_i32_e32 vcc, s20, v122
	v_mad_u32_u24 v0, v123, s2, v52
	s_or_b64 s[2:3], s[18:19], vcc
	s_and_b64 s[0:1], s[0:1], s[2:3]
	ds_write_b64 v0, v[50:51]
	s_waitcnt lgkmcnt(0)
	s_barrier
	s_and_saveexec_b64 s[2:3], s[0:1]
	s_cbranch_execz .LBB0_196
; %bb.195:
	ds_read2_b64 v[0:3], v52 offset1:67
	ds_read2_b64 v[4:7], v52 offset0:134 offset1:201
	v_lshl_add_u64 v[8:9], v[48:49], 3, s[8:9]
	s_waitcnt lgkmcnt(1)
	v_pk_add_f32 v[0:1], v[2:3], v[0:1]
	s_waitcnt lgkmcnt(0)
	v_pk_add_f32 v[0:1], v[4:5], v[0:1]
	s_nop 0
	v_pk_add_f32 v[0:1], v[0:1], v[6:7]
	global_store_dwordx2 v[8:9], v[0:1], off
.LBB0_196:
	s_endpgm
	.section	.rodata,"a",@progbits
	.p2align	6, 0x0
	.amdhsa_kernel _ZL26rocblas_hemvn_kernel_upperILb1ELi64ELi4ELi33ELi32ELi16ElPK19rocblas_complex_numIfES3_PS1_EviT6_lT7_lT5_lS6_lS7_lS5_lT8_i
		.amdhsa_group_segment_fixed_size 9600
		.amdhsa_private_segment_fixed_size 0
		.amdhsa_kernarg_size 376
		.amdhsa_user_sgpr_count 2
		.amdhsa_user_sgpr_dispatch_ptr 0
		.amdhsa_user_sgpr_queue_ptr 0
		.amdhsa_user_sgpr_kernarg_segment_ptr 1
		.amdhsa_user_sgpr_dispatch_id 0
		.amdhsa_user_sgpr_kernarg_preload_length 0
		.amdhsa_user_sgpr_kernarg_preload_offset 0
		.amdhsa_user_sgpr_private_segment_size 0
		.amdhsa_uses_dynamic_stack 0
		.amdhsa_enable_private_segment 0
		.amdhsa_system_sgpr_workgroup_id_x 1
		.amdhsa_system_sgpr_workgroup_id_y 0
		.amdhsa_system_sgpr_workgroup_id_z 1
		.amdhsa_system_sgpr_workgroup_info 0
		.amdhsa_system_vgpr_workitem_id 1
		.amdhsa_next_free_vgpr 160
		.amdhsa_next_free_sgpr 38
		.amdhsa_accum_offset 160
		.amdhsa_reserve_vcc 1
		.amdhsa_float_round_mode_32 0
		.amdhsa_float_round_mode_16_64 0
		.amdhsa_float_denorm_mode_32 3
		.amdhsa_float_denorm_mode_16_64 3
		.amdhsa_dx10_clamp 1
		.amdhsa_ieee_mode 1
		.amdhsa_fp16_overflow 0
		.amdhsa_tg_split 0
		.amdhsa_exception_fp_ieee_invalid_op 0
		.amdhsa_exception_fp_denorm_src 0
		.amdhsa_exception_fp_ieee_div_zero 0
		.amdhsa_exception_fp_ieee_overflow 0
		.amdhsa_exception_fp_ieee_underflow 0
		.amdhsa_exception_fp_ieee_inexact 0
		.amdhsa_exception_int_div_zero 0
	.end_amdhsa_kernel
	.section	.text._ZL26rocblas_hemvn_kernel_upperILb1ELi64ELi4ELi33ELi32ELi16ElPK19rocblas_complex_numIfES3_PS1_EviT6_lT7_lT5_lS6_lS7_lS5_lT8_i,"axG",@progbits,_ZL26rocblas_hemvn_kernel_upperILb1ELi64ELi4ELi33ELi32ELi16ElPK19rocblas_complex_numIfES3_PS1_EviT6_lT7_lT5_lS6_lS7_lS5_lT8_i,comdat
.Lfunc_end0:
	.size	_ZL26rocblas_hemvn_kernel_upperILb1ELi64ELi4ELi33ELi32ELi16ElPK19rocblas_complex_numIfES3_PS1_EviT6_lT7_lT5_lS6_lS7_lS5_lT8_i, .Lfunc_end0-_ZL26rocblas_hemvn_kernel_upperILb1ELi64ELi4ELi33ELi32ELi16ElPK19rocblas_complex_numIfES3_PS1_EviT6_lT7_lT5_lS6_lS7_lS5_lT8_i
                                        ; -- End function
	.set _ZL26rocblas_hemvn_kernel_upperILb1ELi64ELi4ELi33ELi32ELi16ElPK19rocblas_complex_numIfES3_PS1_EviT6_lT7_lT5_lS6_lS7_lS5_lT8_i.num_vgpr, 160
	.set _ZL26rocblas_hemvn_kernel_upperILb1ELi64ELi4ELi33ELi32ELi16ElPK19rocblas_complex_numIfES3_PS1_EviT6_lT7_lT5_lS6_lS7_lS5_lT8_i.num_agpr, 0
	.set _ZL26rocblas_hemvn_kernel_upperILb1ELi64ELi4ELi33ELi32ELi16ElPK19rocblas_complex_numIfES3_PS1_EviT6_lT7_lT5_lS6_lS7_lS5_lT8_i.numbered_sgpr, 38
	.set _ZL26rocblas_hemvn_kernel_upperILb1ELi64ELi4ELi33ELi32ELi16ElPK19rocblas_complex_numIfES3_PS1_EviT6_lT7_lT5_lS6_lS7_lS5_lT8_i.num_named_barrier, 0
	.set _ZL26rocblas_hemvn_kernel_upperILb1ELi64ELi4ELi33ELi32ELi16ElPK19rocblas_complex_numIfES3_PS1_EviT6_lT7_lT5_lS6_lS7_lS5_lT8_i.private_seg_size, 0
	.set _ZL26rocblas_hemvn_kernel_upperILb1ELi64ELi4ELi33ELi32ELi16ElPK19rocblas_complex_numIfES3_PS1_EviT6_lT7_lT5_lS6_lS7_lS5_lT8_i.uses_vcc, 1
	.set _ZL26rocblas_hemvn_kernel_upperILb1ELi64ELi4ELi33ELi32ELi16ElPK19rocblas_complex_numIfES3_PS1_EviT6_lT7_lT5_lS6_lS7_lS5_lT8_i.uses_flat_scratch, 0
	.set _ZL26rocblas_hemvn_kernel_upperILb1ELi64ELi4ELi33ELi32ELi16ElPK19rocblas_complex_numIfES3_PS1_EviT6_lT7_lT5_lS6_lS7_lS5_lT8_i.has_dyn_sized_stack, 0
	.set _ZL26rocblas_hemvn_kernel_upperILb1ELi64ELi4ELi33ELi32ELi16ElPK19rocblas_complex_numIfES3_PS1_EviT6_lT7_lT5_lS6_lS7_lS5_lT8_i.has_recursion, 0
	.set _ZL26rocblas_hemvn_kernel_upperILb1ELi64ELi4ELi33ELi32ELi16ElPK19rocblas_complex_numIfES3_PS1_EviT6_lT7_lT5_lS6_lS7_lS5_lT8_i.has_indirect_call, 0
	.section	.AMDGPU.csdata,"",@progbits
; Kernel info:
; codeLenInByte = 9676
; TotalNumSgprs: 44
; NumVgprs: 160
; NumAgprs: 0
; TotalNumVgprs: 160
; ScratchSize: 0
; MemoryBound: 1
; FloatMode: 240
; IeeeMode: 1
; LDSByteSize: 9600 bytes/workgroup (compile time only)
; SGPRBlocks: 5
; VGPRBlocks: 19
; NumSGPRsForWavesPerEU: 44
; NumVGPRsForWavesPerEU: 160
; AccumOffset: 160
; Occupancy: 3
; WaveLimiterHint : 0
; COMPUTE_PGM_RSRC2:SCRATCH_EN: 0
; COMPUTE_PGM_RSRC2:USER_SGPR: 2
; COMPUTE_PGM_RSRC2:TRAP_HANDLER: 0
; COMPUTE_PGM_RSRC2:TGID_X_EN: 1
; COMPUTE_PGM_RSRC2:TGID_Y_EN: 0
; COMPUTE_PGM_RSRC2:TGID_Z_EN: 1
; COMPUTE_PGM_RSRC2:TIDIG_COMP_CNT: 1
; COMPUTE_PGM_RSRC3_GFX90A:ACCUM_OFFSET: 39
; COMPUTE_PGM_RSRC3_GFX90A:TG_SPLIT: 0
	.section	.text._ZL36rocblas_hemvn_kernel_upper_block_sumILi64ElPK19rocblas_complex_numIfEPS1_S1_EviT1_lS5_lT2_lT0_lPT3_i,"axG",@progbits,_ZL36rocblas_hemvn_kernel_upper_block_sumILi64ElPK19rocblas_complex_numIfEPS1_S1_EviT1_lS5_lT2_lT0_lPT3_i,comdat
	.globl	_ZL36rocblas_hemvn_kernel_upper_block_sumILi64ElPK19rocblas_complex_numIfEPS1_S1_EviT1_lS5_lT2_lT0_lPT3_i ; -- Begin function _ZL36rocblas_hemvn_kernel_upper_block_sumILi64ElPK19rocblas_complex_numIfEPS1_S1_EviT1_lS5_lT2_lT0_lPT3_i
	.p2align	8
	.type	_ZL36rocblas_hemvn_kernel_upper_block_sumILi64ElPK19rocblas_complex_numIfEPS1_S1_EviT1_lS5_lT2_lT0_lPT3_i,@function
_ZL36rocblas_hemvn_kernel_upper_block_sumILi64ElPK19rocblas_complex_numIfEPS1_S1_EviT1_lS5_lT2_lT0_lPT3_i: ; @_ZL36rocblas_hemvn_kernel_upper_block_sumILi64ElPK19rocblas_complex_numIfEPS1_S1_EviT1_lS5_lT2_lT0_lPT3_i
; %bb.0:
	s_load_dwordx8 s[4:11], s[0:1], 0x8
	s_waitcnt lgkmcnt(0)
	s_mul_i32 s7, s7, s3
	s_mul_hi_u32 s12, s6, s3
	s_add_i32 s7, s12, s7
	s_mul_i32 s6, s6, s3
	s_lshl_b64 s[6:7], s[6:7], 3
	s_add_u32 s4, s4, s6
	s_addc_u32 s5, s5, s7
	s_mul_i32 s6, s11, s3
	s_mul_hi_u32 s7, s10, s3
	s_add_i32 s7, s7, s6
	s_mul_i32 s6, s10, s3
	s_load_dwordx2 s[12:13], s[4:5], 0x0
	s_lshl_b64 s[4:5], s[6:7], 3
	s_add_u32 s4, s8, s4
	s_addc_u32 s5, s9, s5
	s_load_dwordx2 s[14:15], s[4:5], 0x0
	s_waitcnt lgkmcnt(0)
	s_or_b32 s4, s12, s13
	s_bitset0_b32 s4, 31
	s_cmp_eq_u32 s4, 0
	s_cselect_b64 s[18:19], -1, 0
	v_cmp_eq_f32_e64 s[4:5], s14, 1.0
	v_cmp_eq_f32_e64 s[6:7], s15, 0
	s_and_b64 s[4:5], s[4:5], s[6:7]
	s_and_b64 s[4:5], s[18:19], s[4:5]
	s_and_b64 vcc, exec, s[4:5]
	s_cbranch_vccnz .LBB1_17
; %bb.1:
	s_load_dwordx8 s[4:11], s[0:1], 0x30
	s_load_dwordx2 s[20:21], s[0:1], 0x28
	s_load_dword s16, s[0:1], 0x0
	v_lshl_or_b32 v0, s2, 6, v0
	s_waitcnt lgkmcnt(0)
	s_mul_i32 s9, s9, s3
	s_mul_hi_u32 s17, s8, s3
	s_mul_i32 s8, s8, s3
	s_add_i32 s9, s17, s9
	s_lshl_b64 s[8:9], s[8:9], 3
	s_add_u32 s8, s20, s8
	s_addc_u32 s9, s21, s9
	s_lshl_b64 s[4:5], s[4:5], 3
	s_add_u32 s8, s8, s4
	s_addc_u32 s9, s9, s5
	s_mov_b64 s[20:21], -1
	s_andn2_b64 vcc, exec, s[18:19]
	v_cmp_gt_i32_e64 s[4:5], s16, v0
	s_cbranch_vccnz .LBB1_7
; %bb.2:
	s_and_saveexec_b64 s[18:19], s[4:5]
	s_cbranch_execz .LBB1_6
; %bb.3:
	v_ashrrev_i32_e32 v1, 31, v0
	v_cmp_neq_f32_e64 s[4:5], s14, 0
	v_cmp_neq_f32_e64 s[20:21], s15, 0
	v_mul_lo_u32 v2, s7, v0
	v_mul_lo_u32 v1, s6, v1
	v_mad_u64_u32 v[4:5], s[22:23], s6, v0, 0
	v_add3_u32 v5, v5, v1, v2
	s_or_b64 s[4:5], s[4:5], s[20:21]
	v_mov_b32_e32 v2, 0
	s_andn2_b64 vcc, exec, s[4:5]
	v_lshl_add_u64 v[4:5], v[4:5], 3, s[8:9]
	v_mov_b32_e32 v3, 0
	s_cbranch_vccnz .LBB1_5
; %bb.4:
	global_load_dwordx2 v[6:7], v[4:5], off
	s_waitcnt vmcnt(0)
	v_pk_mul_f32 v[8:9], v[6:7], s[14:15] op_sel:[1,1] op_sel_hi:[1,0]
	s_nop 0
	v_pk_fma_f32 v[2:3], v[6:7], s[14:15], v[8:9] neg_lo:[0,0,1] neg_hi:[0,0,1]
	v_pk_fma_f32 v[6:7], v[6:7], s[14:15], v[8:9] op_sel_hi:[0,1,1]
	v_mov_b32_e32 v3, v7
.LBB1_5:
	global_store_dwordx2 v[4:5], v[2:3], off
.LBB1_6:
	s_or_b64 exec, exec, s[18:19]
	s_mov_b64 s[20:21], 0
.LBB1_7:
	s_andn2_b64 vcc, exec, s[20:21]
	s_cbranch_vccnz .LBB1_17
; %bb.8:
	v_cmp_gt_i32_e32 vcc, s16, v0
	s_and_saveexec_b64 s[4:5], vcc
	s_cbranch_execz .LBB1_17
; %bb.9:
	v_mov_b32_e32 v3, 0
	v_ashrrev_i32_e32 v1, 31, v0
	s_cmp_lt_i32 s2, 0
	v_mov_b32_e32 v2, v3
	s_cbranch_scc1 .LBB1_12
; %bb.10:
	s_load_dword s0, s[0:1], 0x58
	s_ashr_i32 s17, s16, 31
	s_mul_hi_u32 s1, s16, s3
	s_mul_i32 s4, s17, s3
	s_add_i32 s1, s1, s4
	s_mul_i32 s3, s16, s3
	s_waitcnt lgkmcnt(0)
	s_mul_i32 s1, s1, s0
	s_mul_hi_u32 s4, s3, s0
	s_add_i32 s1, s4, s1
	s_mul_i32 s0, s3, s0
	s_lshl_b64 s[0:1], s[0:1], 3
	s_add_u32 s0, s10, s0
	s_addc_u32 s1, s11, s1
	v_mov_b32_e32 v2, 0
	v_lshl_add_u64 v[4:5], v[0:1], 3, s[0:1]
	s_add_i32 s2, s2, 1
	s_lshl_b64 s[0:1], s[16:17], 3
	v_mov_b32_e32 v3, v2
.LBB1_11:                               ; =>This Inner Loop Header: Depth=1
	global_load_dwordx2 v[6:7], v[4:5], off
	s_add_i32 s2, s2, -1
	v_lshl_add_u64 v[4:5], v[4:5], 0, s[0:1]
	s_cmp_eq_u32 s2, 0
	s_waitcnt vmcnt(0)
	v_pk_add_f32 v[2:3], v[2:3], v[6:7]
	s_cbranch_scc0 .LBB1_11
.LBB1_12:
	v_cmp_neq_f32_e64 s[0:1], s14, 0
	v_cmp_neq_f32_e64 s[2:3], s15, 0
	s_or_b64 s[0:1], s[0:1], s[2:3]
	v_pk_mul_f32 v[8:9], v[2:3], s[12:13] op_sel:[1,1] op_sel_hi:[1,0]
	s_andn2_b64 vcc, exec, s[0:1]
	v_pk_fma_f32 v[4:5], v[2:3], s[12:13], v[8:9] op_sel_hi:[0,1,1]
	v_mul_lo_u32 v10, s7, v0
	v_mul_lo_u32 v1, s6, v1
	s_cbranch_vccz .LBB1_14
; %bb.13:
	v_pk_mul_f32 v[12:13], v[2:3], s[12:13]
	v_mad_u64_u32 v[6:7], s[0:1], s6, v0, 0
	v_add3_u32 v7, v7, v1, v10
	v_sub_f32_e32 v4, v12, v8
	s_cbranch_execz .LBB1_15
	s_branch .LBB1_16
.LBB1_14:
                                        ; implicit-def: $vgpr6_vgpr7
.LBB1_15:
	v_mad_u64_u32 v[6:7], s[0:1], s6, v0, 0
	v_add3_u32 v7, v7, v1, v10
	v_lshl_add_u64 v[0:1], v[6:7], 3, s[8:9]
	global_load_dwordx2 v[0:1], v[0:1], off
	v_pk_fma_f32 v[2:3], v[2:3], s[12:13], v[8:9] neg_lo:[0,0,1] neg_hi:[0,0,1]
	s_waitcnt vmcnt(0)
	v_pk_mul_f32 v[8:9], v[0:1], s[14:15] op_sel:[1,1] op_sel_hi:[1,0]
	s_nop 0
	v_pk_fma_f32 v[10:11], v[0:1], s[14:15], v[8:9] neg_lo:[0,0,1] neg_hi:[0,0,1]
	v_pk_fma_f32 v[0:1], v[0:1], s[14:15], v[8:9] op_sel_hi:[0,1,1]
	v_mov_b32_e32 v11, v1
	v_mov_b32_e32 v3, v5
	v_pk_add_f32 v[4:5], v[2:3], v[10:11]
.LBB1_16:
	v_lshl_add_u64 v[0:1], v[6:7], 3, s[8:9]
	global_store_dwordx2 v[0:1], v[4:5], off
.LBB1_17:
	s_endpgm
	.section	.rodata,"a",@progbits
	.p2align	6, 0x0
	.amdhsa_kernel _ZL36rocblas_hemvn_kernel_upper_block_sumILi64ElPK19rocblas_complex_numIfEPS1_S1_EviT1_lS5_lT2_lT0_lPT3_i
		.amdhsa_group_segment_fixed_size 0
		.amdhsa_private_segment_fixed_size 0
		.amdhsa_kernarg_size 344
		.amdhsa_user_sgpr_count 2
		.amdhsa_user_sgpr_dispatch_ptr 0
		.amdhsa_user_sgpr_queue_ptr 0
		.amdhsa_user_sgpr_kernarg_segment_ptr 1
		.amdhsa_user_sgpr_dispatch_id 0
		.amdhsa_user_sgpr_kernarg_preload_length 0
		.amdhsa_user_sgpr_kernarg_preload_offset 0
		.amdhsa_user_sgpr_private_segment_size 0
		.amdhsa_uses_dynamic_stack 0
		.amdhsa_enable_private_segment 0
		.amdhsa_system_sgpr_workgroup_id_x 1
		.amdhsa_system_sgpr_workgroup_id_y 0
		.amdhsa_system_sgpr_workgroup_id_z 1
		.amdhsa_system_sgpr_workgroup_info 0
		.amdhsa_system_vgpr_workitem_id 0
		.amdhsa_next_free_vgpr 14
		.amdhsa_next_free_sgpr 24
		.amdhsa_accum_offset 16
		.amdhsa_reserve_vcc 1
		.amdhsa_float_round_mode_32 0
		.amdhsa_float_round_mode_16_64 0
		.amdhsa_float_denorm_mode_32 3
		.amdhsa_float_denorm_mode_16_64 3
		.amdhsa_dx10_clamp 1
		.amdhsa_ieee_mode 1
		.amdhsa_fp16_overflow 0
		.amdhsa_tg_split 0
		.amdhsa_exception_fp_ieee_invalid_op 0
		.amdhsa_exception_fp_denorm_src 0
		.amdhsa_exception_fp_ieee_div_zero 0
		.amdhsa_exception_fp_ieee_overflow 0
		.amdhsa_exception_fp_ieee_underflow 0
		.amdhsa_exception_fp_ieee_inexact 0
		.amdhsa_exception_int_div_zero 0
	.end_amdhsa_kernel
	.section	.text._ZL36rocblas_hemvn_kernel_upper_block_sumILi64ElPK19rocblas_complex_numIfEPS1_S1_EviT1_lS5_lT2_lT0_lPT3_i,"axG",@progbits,_ZL36rocblas_hemvn_kernel_upper_block_sumILi64ElPK19rocblas_complex_numIfEPS1_S1_EviT1_lS5_lT2_lT0_lPT3_i,comdat
.Lfunc_end1:
	.size	_ZL36rocblas_hemvn_kernel_upper_block_sumILi64ElPK19rocblas_complex_numIfEPS1_S1_EviT1_lS5_lT2_lT0_lPT3_i, .Lfunc_end1-_ZL36rocblas_hemvn_kernel_upper_block_sumILi64ElPK19rocblas_complex_numIfEPS1_S1_EviT1_lS5_lT2_lT0_lPT3_i
                                        ; -- End function
	.set _ZL36rocblas_hemvn_kernel_upper_block_sumILi64ElPK19rocblas_complex_numIfEPS1_S1_EviT1_lS5_lT2_lT0_lPT3_i.num_vgpr, 14
	.set _ZL36rocblas_hemvn_kernel_upper_block_sumILi64ElPK19rocblas_complex_numIfEPS1_S1_EviT1_lS5_lT2_lT0_lPT3_i.num_agpr, 0
	.set _ZL36rocblas_hemvn_kernel_upper_block_sumILi64ElPK19rocblas_complex_numIfEPS1_S1_EviT1_lS5_lT2_lT0_lPT3_i.numbered_sgpr, 24
	.set _ZL36rocblas_hemvn_kernel_upper_block_sumILi64ElPK19rocblas_complex_numIfEPS1_S1_EviT1_lS5_lT2_lT0_lPT3_i.num_named_barrier, 0
	.set _ZL36rocblas_hemvn_kernel_upper_block_sumILi64ElPK19rocblas_complex_numIfEPS1_S1_EviT1_lS5_lT2_lT0_lPT3_i.private_seg_size, 0
	.set _ZL36rocblas_hemvn_kernel_upper_block_sumILi64ElPK19rocblas_complex_numIfEPS1_S1_EviT1_lS5_lT2_lT0_lPT3_i.uses_vcc, 1
	.set _ZL36rocblas_hemvn_kernel_upper_block_sumILi64ElPK19rocblas_complex_numIfEPS1_S1_EviT1_lS5_lT2_lT0_lPT3_i.uses_flat_scratch, 0
	.set _ZL36rocblas_hemvn_kernel_upper_block_sumILi64ElPK19rocblas_complex_numIfEPS1_S1_EviT1_lS5_lT2_lT0_lPT3_i.has_dyn_sized_stack, 0
	.set _ZL36rocblas_hemvn_kernel_upper_block_sumILi64ElPK19rocblas_complex_numIfEPS1_S1_EviT1_lS5_lT2_lT0_lPT3_i.has_recursion, 0
	.set _ZL36rocblas_hemvn_kernel_upper_block_sumILi64ElPK19rocblas_complex_numIfEPS1_S1_EviT1_lS5_lT2_lT0_lPT3_i.has_indirect_call, 0
	.section	.AMDGPU.csdata,"",@progbits
; Kernel info:
; codeLenInByte = 748
; TotalNumSgprs: 30
; NumVgprs: 14
; NumAgprs: 0
; TotalNumVgprs: 14
; ScratchSize: 0
; MemoryBound: 0
; FloatMode: 240
; IeeeMode: 1
; LDSByteSize: 0 bytes/workgroup (compile time only)
; SGPRBlocks: 3
; VGPRBlocks: 1
; NumSGPRsForWavesPerEU: 30
; NumVGPRsForWavesPerEU: 14
; AccumOffset: 16
; Occupancy: 8
; WaveLimiterHint : 0
; COMPUTE_PGM_RSRC2:SCRATCH_EN: 0
; COMPUTE_PGM_RSRC2:USER_SGPR: 2
; COMPUTE_PGM_RSRC2:TRAP_HANDLER: 0
; COMPUTE_PGM_RSRC2:TGID_X_EN: 1
; COMPUTE_PGM_RSRC2:TGID_Y_EN: 0
; COMPUTE_PGM_RSRC2:TGID_Z_EN: 1
; COMPUTE_PGM_RSRC2:TIDIG_COMP_CNT: 0
; COMPUTE_PGM_RSRC3_GFX90A:ACCUM_OFFSET: 3
; COMPUTE_PGM_RSRC3_GFX90A:TG_SPLIT: 0
	.section	.text._ZL26rocblas_hemvn_kernel_upperILb1ELi64ELi4ELi33ELi32ELi16EiPK19rocblas_complex_numIfES3_PS1_EviT6_lT7_lT5_lS6_lS7_lS5_lT8_i,"axG",@progbits,_ZL26rocblas_hemvn_kernel_upperILb1ELi64ELi4ELi33ELi32ELi16EiPK19rocblas_complex_numIfES3_PS1_EviT6_lT7_lT5_lS6_lS7_lS5_lT8_i,comdat
	.globl	_ZL26rocblas_hemvn_kernel_upperILb1ELi64ELi4ELi33ELi32ELi16EiPK19rocblas_complex_numIfES3_PS1_EviT6_lT7_lT5_lS6_lS7_lS5_lT8_i ; -- Begin function _ZL26rocblas_hemvn_kernel_upperILb1ELi64ELi4ELi33ELi32ELi16EiPK19rocblas_complex_numIfES3_PS1_EviT6_lT7_lT5_lS6_lS7_lS5_lT8_i
	.p2align	8
	.type	_ZL26rocblas_hemvn_kernel_upperILb1ELi64ELi4ELi33ELi32ELi16EiPK19rocblas_complex_numIfES3_PS1_EviT6_lT7_lT5_lS6_lS7_lS5_lT8_i,@function
_ZL26rocblas_hemvn_kernel_upperILb1ELi64ELi4ELi33ELi32ELi16EiPK19rocblas_complex_numIfES3_PS1_EviT6_lT7_lT5_lS6_lS7_lS5_lT8_i: ; @_ZL26rocblas_hemvn_kernel_upperILb1ELi64ELi4ELi33ELi32ELi16EiPK19rocblas_complex_numIfES3_PS1_EviT6_lT7_lT5_lS6_lS7_lS5_lT8_i
; %bb.0:
	s_load_dwordx2 s[4:5], s[0:1], 0x84
	s_add_u32 s20, s0, 0x78
	s_addc_u32 s21, s1, 0
	s_waitcnt lgkmcnt(0)
	s_lshr_b32 s6, s4, 16
	s_and_b32 s4, s4, 0xffff
	s_and_b32 s5, s5, 0xffff
	s_mul_i32 s4, s6, s4
	s_mul_i32 s4, s4, s5
	s_cmpk_lg_i32 s4, 0x100
	s_cbranch_scc1 .LBB2_196
; %bb.1:
	s_load_dwordx8 s[4:11], s[0:1], 0x8
	s_waitcnt lgkmcnt(0)
	s_mul_i32 s7, s7, s3
	s_mul_hi_u32 s12, s6, s3
	s_mul_i32 s6, s6, s3
	s_add_i32 s7, s12, s7
	s_lshl_b64 s[6:7], s[6:7], 3
	s_add_u32 s4, s4, s6
	s_addc_u32 s5, s5, s7
	s_load_dwordx2 s[6:7], s[4:5], 0x0
	s_load_dwordx8 s[12:19], s[0:1], 0x50
	s_waitcnt lgkmcnt(0)
	s_or_b32 s4, s6, s7
	s_bitset0_b32 s4, 31
	s_cmp_lg_u32 s4, 0
	s_cselect_b64 s[4:5], -1, 0
	s_mov_b64 s[6:7], -1
	s_and_b64 vcc, exec, s[4:5]
	s_cbranch_vccnz .LBB2_3
; %bb.2:
	s_mul_i32 s6, s17, s3
	s_mul_hi_u32 s7, s16, s3
	s_add_i32 s7, s7, s6
	s_mul_i32 s6, s16, s3
	s_lshl_b64 s[6:7], s[6:7], 3
	s_add_u32 s6, s14, s6
	s_addc_u32 s7, s15, s7
	s_load_dwordx2 s[14:15], s[6:7], 0x0
	s_waitcnt lgkmcnt(0)
	v_cmp_neq_f32_e64 s[6:7], s14, 1.0
	v_cmp_neq_f32_e64 s[14:15], s15, 0
	s_or_b64 s[6:7], s[6:7], s[14:15]
.LBB2_3:
	s_andn2_b64 vcc, exec, s[6:7]
	s_cbranch_vccnz .LBB2_196
; %bb.4:
	s_andn2_b64 vcc, exec, s[4:5]
	s_cbranch_vccnz .LBB2_196
; %bb.5:
	s_load_dword s33, s[20:21], 0x0
	s_load_dword s36, s[0:1], 0x0
	s_load_dwordx4 s[4:7], s[0:1], 0x30
	s_load_dwordx2 s[14:15], s[0:1], 0x40
	s_load_dword s35, s[0:1], 0x48
	s_mul_i32 s13, s13, s3
	s_mul_hi_u32 s16, s12, s3
	s_add_i32 s13, s16, s13
	s_mul_i32 s12, s12, s3
	s_lshl_b64 s[12:13], s[12:13], 3
	s_waitcnt lgkmcnt(0)
	s_add_u32 s12, s6, s12
	s_addc_u32 s13, s7, s13
	s_lshl_b64 s[6:7], s[14:15], 3
	s_add_u32 s6, s12, s6
	s_addc_u32 s7, s13, s7
	s_ashr_i32 s37, s36, 31
	s_lshr_b32 s13, s37, 26
	v_and_b32_e32 v50, 0x3ff, v0
	s_lshl_b32 s24, s2, 6
	s_add_i32 s13, s36, s13
	s_andn2_b32 s13, s13, 63
	v_add_u32_e32 v48, s24, v50
	v_bfe_u32 v49, v0, 10, 10
	s_add_i32 s12, s33, -1
	s_sub_i32 s34, s36, s13
	v_mul_lo_u32 v0, s35, v48
	s_cmp_eq_u32 s2, s12
	v_ashrrev_i32_e32 v1, 31, v0
	s_cselect_b32 s16, s34, 0
	v_lshl_add_u64 v[12:13], v[0:1], 3, s[6:7]
	v_cmp_eq_u32_e64 s[12:13], 0, v49
	s_and_saveexec_b64 s[6:7], s[12:13]
	s_cbranch_execz .LBB2_10
; %bb.6:
	s_cmp_lg_u32 s16, 0
	s_cselect_b64 s[14:15], -1, 0
	v_cmp_le_i32_e32 vcc, s16, v50
	v_mov_b32_e32 v0, 0x2380
	s_and_b64 s[14:15], s[14:15], vcc
	v_lshl_add_u32 v0, v50, 3, v0
	s_and_saveexec_b64 s[20:21], s[14:15]
	s_xor_b64 s[14:15], exec, s[20:21]
; %bb.7:
	v_mov_b32_e32 v2, 0
	v_mov_b32_e32 v3, v2
	ds_write_b64 v0, v[2:3]
                                        ; implicit-def: $vgpr0
; %bb.8:
	s_andn2_saveexec_b64 s[14:15], s[14:15]
	s_cbranch_execz .LBB2_10
; %bb.9:
	global_load_dwordx2 v[2:3], v[12:13], off
	s_waitcnt vmcnt(0)
	ds_write_b64 v0, v[2:3]
.LBB2_10:
	s_or_b64 exec, exec, s[6:7]
	s_mul_i32 s5, s5, s3
	s_mul_hi_u32 s6, s4, s3
	s_add_i32 s5, s6, s5
	s_mul_i32 s4, s4, s3
	s_lshl_b64 s[4:5], s[4:5], 3
	s_add_u32 s6, s8, s4
	s_addc_u32 s7, s9, s5
	s_lshl_b64 s[4:5], s[10:11], 3
	s_load_dword s22, s[0:1], 0x28
	s_add_u32 s4, s6, s4
	s_addc_u32 s5, s7, s5
	s_ashr_i32 s25, s24, 31
	v_lshl_add_u32 v22, v49, 6, v50
	s_lshl_b64 s[0:1], s[24:25], 3
	v_and_b32_e32 v2, 31, v50
	v_lshrrev_b32_e32 v10, 5, v22
	s_add_u32 s0, s4, s0
	s_addc_u32 s1, s5, s1
	s_waitcnt lgkmcnt(0)
	v_mad_u64_u32 v[14:15], s[4:5], s22, v10, v[2:3]
	v_ashrrev_i32_e32 v15, 31, v14
	v_lshl_add_u64 v[0:1], v[14:15], 3, s[0:1]
	s_mul_i32 s0, s22, s24
	s_ashr_i32 s1, s0, 31
	s_cmp_eq_u32 s16, 0
	s_cselect_b64 s[20:21], -1, 0
	s_cmp_lg_u32 s16, 0
	s_cselect_b64 s[26:27], -1, 0
	v_lshl_add_u64 v[6:7], s[0:1], 3, v[0:1]
	s_and_b64 vcc, exec, s[26:27]
	v_cmp_gt_i32_e64 s[0:1], s16, v2
	v_lshlrev_b32_e32 v0, 3, v2
	s_cbranch_vccz .LBB2_26
; %bb.11:
	v_sub_co_u32_e32 v4, vcc, v6, v0
	s_ashr_i32 s17, s16, 31
	s_nop 0
	v_subbrev_co_u32_e32 v5, vcc, 0, v7, vcc
	v_lshl_add_u64 v[4:5], s[16:17], 3, v[4:5]
	v_mov_b32_e32 v8, 0
	v_lshl_add_u64 v[4:5], v[4:5], 0, -8
	v_cndmask_b32_e64 v5, v5, v7, s[0:1]
	v_cndmask_b32_e64 v4, v4, v6, s[0:1]
	v_cmp_gt_i32_e32 vcc, s16, v10
	v_mov_b32_e32 v9, v8
	s_and_saveexec_b64 s[4:5], vcc
	s_cbranch_execz .LBB2_13
; %bb.12:
	global_load_dwordx2 v[8:9], v[4:5], off
.LBB2_13:
	s_or_b64 exec, exec, s[4:5]
	s_movk_i32 s4, 0x108
	v_mad_u32_u24 v3, v10, s4, v0
	v_mul_u32_u24_e32 v1, 0x108, v10
	s_waitcnt vmcnt(0)
	ds_write_b64 v3, v[8:9]
	v_add_u32_e32 v3, 8, v10
	v_cmp_le_i32_e32 vcc, s16, v3
	v_add_u32_e32 v1, v1, v0
	s_and_saveexec_b64 s[4:5], vcc
	s_xor_b64 s[4:5], exec, s[4:5]
; %bb.14:
	v_mov_b32_e32 v8, 0
	v_mov_b32_e32 v9, v8
	ds_write_b64 v1, v[8:9] offset:2112
; %bb.15:
	s_andn2_saveexec_b64 s[4:5], s[4:5]
	s_cbranch_execz .LBB2_17
; %bb.16:
	s_lshl_b32 s6, s22, 3
	s_ashr_i32 s7, s6, 31
	v_lshl_add_u64 v[8:9], s[6:7], 3, v[4:5]
	global_load_dwordx2 v[8:9], v[8:9], off
	s_waitcnt vmcnt(0)
	ds_write_b64 v1, v[8:9] offset:2112
.LBB2_17:
	s_or_b64 exec, exec, s[4:5]
	v_add_u32_e32 v3, 16, v10
	v_cmp_le_i32_e32 vcc, s16, v3
	s_and_saveexec_b64 s[4:5], vcc
	s_xor_b64 s[4:5], exec, s[4:5]
; %bb.18:
	v_mov_b32_e32 v8, 0
	v_mov_b32_e32 v9, v8
	ds_write_b64 v1, v[8:9] offset:4224
; %bb.19:
	s_andn2_saveexec_b64 s[4:5], s[4:5]
	s_cbranch_execz .LBB2_21
; %bb.20:
	s_lshl_b32 s6, s22, 4
	s_ashr_i32 s7, s6, 31
	v_lshl_add_u64 v[8:9], s[6:7], 3, v[4:5]
	global_load_dwordx2 v[8:9], v[8:9], off
	s_waitcnt vmcnt(0)
	ds_write_b64 v1, v[8:9] offset:4224
.LBB2_21:
	s_or_b64 exec, exec, s[4:5]
	v_add_u32_e32 v3, 24, v10
	v_cmp_le_i32_e32 vcc, s16, v3
	s_and_saveexec_b64 s[4:5], vcc
	s_xor_b64 s[4:5], exec, s[4:5]
; %bb.22:
	v_mov_b32_e32 v8, 0
	v_mov_b32_e32 v9, v8
	ds_write_b64 v1, v[8:9] offset:6336
                                        ; implicit-def: $vgpr1
; %bb.23:
	s_andn2_saveexec_b64 s[4:5], s[4:5]
	s_cbranch_execz .LBB2_25
; %bb.24:
	s_mul_i32 s6, s22, 24
	s_ashr_i32 s7, s6, 31
	v_lshl_add_u64 v[8:9], s[6:7], 3, v[4:5]
	global_load_dwordx2 v[8:9], v[8:9], off
	s_waitcnt vmcnt(0)
	ds_write_b64 v1, v[8:9] offset:6336
.LBB2_25:
	s_or_b64 exec, exec, s[4:5]
	v_mov_b32_e32 v1, 0
	v_lshl_add_u64 v[4:5], v[4:5], 0, v[0:1]
	s_lshl_b64 s[4:5], s[16:17], 3
	v_mov_b32_e32 v1, s5
	v_subrev_co_u32_e32 v4, vcc, s4, v4
	s_nop 1
	v_subb_co_u32_e32 v5, vcc, v5, v1, vcc
	v_lshl_add_u64 v[4:5], v[4:5], 0, 8
	v_cndmask_b32_e64 v5, v5, v7, s[0:1]
	v_cndmask_b32_e64 v4, v4, v6, s[0:1]
	s_branch .LBB2_28
.LBB2_26:
                                        ; implicit-def: $vgpr4_vgpr5
	s_cbranch_execz .LBB2_28
; %bb.27:
	s_lshl_b32 s0, s22, 3
	s_ashr_i32 s1, s0, 31
	s_ashr_i32 s23, s22, 31
	v_lshl_add_u64 v[4:5], s[0:1], 3, v[6:7]
	s_lshl_b64 s[0:1], s[22:23], 6
	v_lshl_add_u64 v[8:9], v[4:5], 0, s[0:1]
	v_lshl_add_u64 v[16:17], v[8:9], 0, s[0:1]
	global_load_dwordx2 v[18:19], v[6:7], off
	global_load_dwordx2 v[20:21], v[4:5], off
	;; [unrolled: 1-line block ×4, first 2 shown]
	v_mul_u32_u24_e32 v1, 0x108, v10
	v_lshl_add_u32 v1, v2, 3, v1
	v_mov_b64_e32 v[4:5], v[6:7]
	s_waitcnt vmcnt(3)
	ds_write_b64 v1, v[18:19]
	s_waitcnt vmcnt(2)
	ds_write_b64 v1, v[20:21] offset:2112
	s_waitcnt vmcnt(1)
	ds_write_b64 v1, v[24:25] offset:4224
	;; [unrolled: 2-line block ×3, first 2 shown]
.LBB2_28:
	v_lshlrev_b32_e32 v11, 2, v10
	v_mul_u32_u24_e32 v3, 0x108, v2
	v_cmp_le_u32_e64 s[4:5], v11, v2
	s_mov_b64 s[0:1], 0
	s_waitcnt lgkmcnt(0)
	s_barrier
                                        ; implicit-def: $vgpr6
	s_and_saveexec_b64 s[6:7], s[4:5]
	s_xor_b64 s[6:7], exec, s[6:7]
	s_cbranch_execz .LBB2_32
; %bb.29:
	v_cmp_eq_u32_e32 vcc, v11, v2
                                        ; implicit-def: $vgpr6
	s_and_saveexec_b64 s[8:9], vcc
	s_xor_b64 s[8:9], exec, s[8:9]
; %bb.30:
	s_mov_b64 s[0:1], exec
	v_add_u32_e32 v6, v0, v3
; %bb.31:
	s_or_b64 exec, exec, s[8:9]
	s_and_b64 s[0:1], s[0:1], exec
.LBB2_32:
	s_or_saveexec_b64 s[6:7], s[6:7]
	v_lshl_or_b32 v1, v2, 8, v0
	v_mov_b32_e32 v7, 0
	v_lshl_add_u32 v1, v11, 3, v1
	s_xor_b64 exec, exec, s[6:7]
	s_cbranch_execz .LBB2_34
; %bb.33:
	s_movk_i32 s8, 0x420
	v_mad_u32_u24 v6, v10, s8, v0
	ds_read_b64 v[6:7], v6
	s_or_b64 s[0:1], s[0:1], exec
	s_waitcnt lgkmcnt(0)
	v_xor_b32_e32 v7, 0x80000000, v7
	ds_write_b32 v1, v6
	v_mov_b32_e32 v6, v1
.LBB2_34:
	s_or_b64 exec, exec, s[6:7]
	s_and_saveexec_b64 s[6:7], s[0:1]
; %bb.35:
	ds_write_b32 v6, v7 offset:4
; %bb.36:
	s_or_b64 exec, exec, s[6:7]
	v_or_b32_e32 v16, 1, v11
	v_cmp_ge_u32_e64 s[6:7], v11, v2
	s_mov_b64 s[0:1], 0
                                        ; implicit-def: $vgpr7
                                        ; implicit-def: $vgpr6
	s_and_saveexec_b64 s[8:9], s[6:7]
	s_xor_b64 s[8:9], exec, s[8:9]
	s_cbranch_execnz .LBB2_66
; %bb.37:
	s_andn2_saveexec_b64 s[8:9], s[8:9]
	s_cbranch_execnz .LBB2_67
.LBB2_38:
	s_or_b64 exec, exec, s[8:9]
	s_and_saveexec_b64 s[8:9], s[0:1]
.LBB2_39:
	ds_write_b32 v6, v7 offset:4
.LBB2_40:
	s_or_b64 exec, exec, s[8:9]
	v_or_b32_e32 v17, 2, v11
	v_cmp_le_u32_e64 s[8:9], v17, v2
	s_mov_b64 s[0:1], 0
                                        ; implicit-def: $vgpr6
	s_and_saveexec_b64 s[10:11], s[8:9]
	s_xor_b64 s[10:11], exec, s[10:11]
	s_cbranch_execnz .LBB2_70
; %bb.41:
	s_or_saveexec_b64 s[10:11], s[10:11]
	v_mov_b32_e32 v7, 0
	s_xor_b64 exec, exec, s[10:11]
	s_cbranch_execnz .LBB2_73
.LBB2_42:
	s_or_b64 exec, exec, s[10:11]
	s_and_saveexec_b64 s[10:11], s[0:1]
.LBB2_43:
	ds_write_b32 v6, v7 offset:4
.LBB2_44:
	s_or_b64 exec, exec, s[10:11]
	v_or_b32_e32 v18, 3, v11
	v_cmp_le_u32_e64 s[10:11], v18, v2
	s_mov_b64 s[0:1], 0
                                        ; implicit-def: $vgpr6
	s_and_saveexec_b64 s[14:15], s[10:11]
	s_xor_b64 s[14:15], exec, s[14:15]
	s_cbranch_execnz .LBB2_74
; %bb.45:
	s_or_saveexec_b64 s[14:15], s[14:15]
	v_mov_b32_e32 v7, 0
	s_xor_b64 exec, exec, s[14:15]
	s_cbranch_execnz .LBB2_77
.LBB2_46:
	s_or_b64 exec, exec, s[14:15]
	s_and_saveexec_b64 s[14:15], s[0:1]
.LBB2_47:
	ds_write_b32 v6, v7 offset:4
.LBB2_48:
	s_or_b64 exec, exec, s[14:15]
	s_movk_i32 s0, 0x420
	v_mad_u32_u24 v1, v10, s0, v0
	s_movk_i32 s0, 0x108
	v_mad_u32_u24 v25, v16, s0, v0
	s_waitcnt lgkmcnt(0)
	s_barrier
	v_lshlrev_b32_e32 v19, 3, v11
	ds_read2_b64 v[6:9], v25 offset1:33
	ds_read_b64 v[20:21], v1
	ds_read_b128 v[26:29], v19 offset:9088
	ds_read_b64 v[34:35], v25 offset:528
	ds_read_b128 v[30:33], v19 offset:9104
	v_mul_u32_u24_e32 v23, 33, v2
	v_lshlrev_b32_e32 v23, 3, v23
	v_mov_b32_e32 v52, 0
	s_waitcnt lgkmcnt(2)
	v_pk_mul_f32 v[36:37], v[26:27], v[20:21] op_sel:[1,1] op_sel_hi:[0,1]
	v_pk_fma_f32 v[38:39], v[26:27], v[20:21], v[36:37] neg_lo:[0,0,1] neg_hi:[0,0,1]
	v_pk_fma_f32 v[20:21], v[26:27], v[20:21], v[36:37] op_sel_hi:[1,0,1]
	v_pk_mul_f32 v[26:27], v[28:29], v[6:7] op_sel:[1,1] op_sel_hi:[0,1]
	v_mov_b32_e32 v39, v21
	v_pk_fma_f32 v[36:37], v[28:29], v[6:7], v[26:27] neg_lo:[0,0,1] neg_hi:[0,0,1]
	v_pk_fma_f32 v[6:7], v[28:29], v[6:7], v[26:27] op_sel_hi:[1,0,1]
	v_pk_add_f32 v[20:21], v[38:39], 0 op_sel_hi:[1,0]
	v_mov_b32_e32 v37, v7
	v_pk_add_f32 v[6:7], v[20:21], v[36:37]
	s_waitcnt lgkmcnt(0)
	v_pk_mul_f32 v[20:21], v[30:31], v[8:9] op_sel:[1,1] op_sel_hi:[0,1]
	v_pk_fma_f32 v[26:27], v[30:31], v[8:9], v[20:21] neg_lo:[0,0,1] neg_hi:[0,0,1]
	v_pk_fma_f32 v[8:9], v[30:31], v[8:9], v[20:21] op_sel_hi:[1,0,1]
	v_lshl_add_u32 v24, v10, 3, v23
	v_mov_b32_e32 v27, v9
	v_pk_mul_f32 v[8:9], v[32:33], v[34:35] op_sel:[1,1] op_sel_hi:[0,1]
	v_pk_fma_f32 v[20:21], v[32:33], v[34:35], v[8:9] neg_lo:[0,0,1] neg_hi:[0,0,1]
	v_pk_fma_f32 v[8:9], v[32:33], v[34:35], v[8:9] op_sel_hi:[1,0,1]
	v_pk_add_f32 v[6:7], v[6:7], v[26:27]
	v_mov_b32_e32 v21, v9
	v_mov_b32_e32 v53, v52
	v_pk_add_f32 v[6:7], v[6:7], v[20:21]
	v_cmp_gt_u32_e64 s[0:1], 32, v22
	s_barrier
	ds_write_b64 v24, v[6:7]
	s_waitcnt lgkmcnt(0)
	s_barrier
	s_and_saveexec_b64 s[14:15], s[0:1]
	s_cbranch_execz .LBB2_50
; %bb.49:
	ds_read2_b64 v[6:9], v23 offset1:7
	ds_read2_b64 v[26:29], v23 offset0:1 offset1:2
	ds_read2_b64 v[30:33], v23 offset0:3 offset1:4
	s_waitcnt lgkmcnt(1)
	v_add_f32_e32 v1, v26, v6
	v_add_f32_e32 v6, v27, v7
	;; [unrolled: 1-line block ×4, first 2 shown]
	ds_read2_b64 v[26:29], v23 offset0:5 offset1:6
	s_waitcnt lgkmcnt(1)
	v_add_f32_e32 v1, v1, v30
	v_add_f32_e32 v6, v6, v31
	v_add_f32_e32 v1, v1, v32
	v_add_f32_e32 v6, v6, v33
	s_waitcnt lgkmcnt(0)
	v_add_f32_e32 v1, v1, v26
	v_add_f32_e32 v7, v6, v27
	;; [unrolled: 1-line block ×4, first 2 shown]
	v_pk_add_f32 v[52:53], v[6:7], v[8:9]
.LBB2_50:
	s_or_b64 exec, exec, s[14:15]
	s_lshl_b32 s28, s22, 5
	s_ashr_i32 s29, s28, 31
	v_lshl_add_u64 v[8:9], s[28:29], 3, v[4:5]
	s_mov_b64 s[14:15], 0x100
	v_lshl_add_u64 v[6:7], v[8:9], 0, s[14:15]
	s_and_b64 vcc, exec, s[26:27]
	s_barrier
	s_cbranch_vccz .LBB2_78
; %bb.51:
	v_sub_co_u32_e32 v4, vcc, v8, v0
	s_ashr_i32 s17, s16, 31
	s_nop 0
	v_subbrev_co_u32_e32 v5, vcc, 0, v9, vcc
	v_or_b32_e32 v1, 32, v2
	v_lshl_add_u64 v[4:5], s[16:17], 3, v[4:5]
	v_mov_b32_e32 v20, 0
	v_lshl_add_u64 v[4:5], v[4:5], 0, -8
	v_cmp_gt_i32_e32 vcc, s16, v1
	s_sub_i32 s23, s16, 32
	v_cmp_gt_i32_e64 s[14:15], s23, v10
	v_cndmask_b32_e32 v5, v5, v7, vcc
	v_cndmask_b32_e32 v4, v4, v6, vcc
	v_mov_b32_e32 v21, v20
	s_and_saveexec_b64 s[30:31], s[14:15]
	s_cbranch_execz .LBB2_53
; %bb.52:
	global_load_dwordx2 v[20:21], v[4:5], off
.LBB2_53:
	s_or_b64 exec, exec, s[30:31]
	s_movk_i32 s14, 0x108
	v_mad_u32_u24 v25, v10, s14, v0
	v_mul_u32_u24_e32 v1, 0x108, v10
	s_waitcnt vmcnt(0)
	ds_write_b64 v25, v[20:21]
	v_add_u32_e32 v20, 8, v10
	v_cmp_le_i32_e64 s[14:15], s23, v20
	v_add_u32_e32 v1, v1, v0
	s_and_saveexec_b64 s[30:31], s[14:15]
	s_xor_b64 s[14:15], exec, s[30:31]
; %bb.54:
	v_mov_b32_e32 v20, 0
	v_mov_b32_e32 v21, v20
	ds_write_b64 v1, v[20:21] offset:2112
; %bb.55:
	s_andn2_saveexec_b64 s[14:15], s[14:15]
	s_cbranch_execz .LBB2_57
; %bb.56:
	s_lshl_b32 s30, s22, 3
	s_ashr_i32 s31, s30, 31
	v_lshl_add_u64 v[20:21], s[30:31], 3, v[4:5]
	global_load_dwordx2 v[20:21], v[20:21], off
	s_waitcnt vmcnt(0)
	ds_write_b64 v1, v[20:21] offset:2112
.LBB2_57:
	s_or_b64 exec, exec, s[14:15]
	v_add_u32_e32 v20, 16, v10
	v_cmp_le_i32_e64 s[14:15], s23, v20
	s_and_saveexec_b64 s[30:31], s[14:15]
	s_xor_b64 s[14:15], exec, s[30:31]
; %bb.58:
	v_mov_b32_e32 v20, 0
	v_mov_b32_e32 v21, v20
	ds_write_b64 v1, v[20:21] offset:4224
; %bb.59:
	s_andn2_saveexec_b64 s[14:15], s[14:15]
	s_cbranch_execz .LBB2_61
; %bb.60:
	s_lshl_b32 s30, s22, 4
	s_ashr_i32 s31, s30, 31
	v_lshl_add_u64 v[20:21], s[30:31], 3, v[4:5]
	global_load_dwordx2 v[20:21], v[20:21], off
	s_waitcnt vmcnt(0)
	ds_write_b64 v1, v[20:21] offset:4224
.LBB2_61:
	s_or_b64 exec, exec, s[14:15]
	v_add_u32_e32 v20, 24, v10
	v_cmp_le_i32_e64 s[14:15], s23, v20
	s_and_saveexec_b64 s[30:31], s[14:15]
	s_xor_b64 s[14:15], exec, s[30:31]
; %bb.62:
	v_mov_b32_e32 v20, 0
	v_mov_b32_e32 v21, v20
	ds_write_b64 v1, v[20:21] offset:6336
                                        ; implicit-def: $vgpr1
; %bb.63:
	s_andn2_saveexec_b64 s[14:15], s[14:15]
	s_cbranch_execz .LBB2_65
; %bb.64:
	s_mul_i32 s30, s22, 24
	s_ashr_i32 s31, s30, 31
	v_lshl_add_u64 v[20:21], s[30:31], 3, v[4:5]
	global_load_dwordx2 v[20:21], v[20:21], off
	s_waitcnt vmcnt(0)
	ds_write_b64 v1, v[20:21] offset:6336
.LBB2_65:
	s_or_b64 exec, exec, s[14:15]
	v_mov_b32_e32 v1, 0
	v_lshl_add_u64 v[4:5], v[4:5], 0, v[0:1]
	s_lshl_b64 s[14:15], s[16:17], 3
	v_mov_b32_e32 v1, s15
	v_subrev_co_u32_e64 v4, s[14:15], s14, v4
	s_nop 1
	v_subb_co_u32_e64 v5, s[14:15], v5, v1, s[14:15]
	s_mov_b64 s[14:15], 0x108
	s_nop 0
	v_lshl_add_u64 v[4:5], v[4:5], 0, s[14:15]
	v_cndmask_b32_e32 v5, v5, v7, vcc
	v_cndmask_b32_e32 v4, v4, v6, vcc
	s_branch .LBB2_80
.LBB2_66:
	s_movk_i32 s10, 0x108
	v_mad_u32_u24 v6, v16, s10, v0
	ds_read_b64 v[8:9], v6
	s_mov_b64 s[0:1], exec
	v_add_u32_e32 v6, 8, v1
	s_waitcnt lgkmcnt(0)
	v_xor_b32_e32 v7, 0x80000000, v9
	ds_write_b32 v1, v8 offset:8
	s_andn2_saveexec_b64 s[8:9], s[8:9]
	s_cbranch_execz .LBB2_38
.LBB2_67:
	v_cmp_eq_u32_e32 vcc, v16, v2
	s_mov_b64 s[10:11], s[0:1]
                                        ; implicit-def: $vgpr6
	s_and_saveexec_b64 s[14:15], vcc
; %bb.68:
	v_add_u32_e32 v6, v0, v3
	s_or_b64 s[10:11], s[0:1], exec
; %bb.69:
	s_or_b64 exec, exec, s[14:15]
	s_andn2_b64 s[0:1], s[0:1], exec
	s_and_b64 s[10:11], s[10:11], exec
	v_mov_b32_e32 v7, 0
	s_or_b64 s[0:1], s[0:1], s[10:11]
	s_or_b64 exec, exec, s[8:9]
	s_and_saveexec_b64 s[8:9], s[0:1]
	s_cbranch_execnz .LBB2_39
	s_branch .LBB2_40
.LBB2_70:
	v_cmp_eq_u32_e32 vcc, v17, v2
                                        ; implicit-def: $vgpr6
	s_and_saveexec_b64 s[14:15], vcc
; %bb.71:
	s_mov_b64 s[0:1], exec
	v_add_u32_e32 v6, v0, v3
; %bb.72:
	s_or_b64 exec, exec, s[14:15]
	s_and_b64 s[0:1], s[0:1], exec
	s_or_saveexec_b64 s[10:11], s[10:11]
	v_mov_b32_e32 v7, 0
	s_xor_b64 exec, exec, s[10:11]
	s_cbranch_execz .LBB2_42
.LBB2_73:
	s_movk_i32 s14, 0x108
	v_mad_u32_u24 v6, v17, s14, v0
	ds_read_b64 v[8:9], v6
	v_add_u32_e32 v6, 16, v1
	s_or_b64 s[0:1], s[0:1], exec
	s_waitcnt lgkmcnt(0)
	v_xor_b32_e32 v7, 0x80000000, v9
	ds_write_b32 v1, v8 offset:16
	s_or_b64 exec, exec, s[10:11]
	s_and_saveexec_b64 s[10:11], s[0:1]
	s_cbranch_execnz .LBB2_43
	s_branch .LBB2_44
.LBB2_74:
	v_cmp_eq_u32_e32 vcc, v18, v2
                                        ; implicit-def: $vgpr6
	s_and_saveexec_b64 s[28:29], vcc
; %bb.75:
	s_mov_b64 s[0:1], exec
	v_add_u32_e32 v6, v0, v3
; %bb.76:
	s_or_b64 exec, exec, s[28:29]
	s_and_b64 s[0:1], s[0:1], exec
                                        ; implicit-def: $vgpr1
	s_or_saveexec_b64 s[14:15], s[14:15]
	v_mov_b32_e32 v7, 0
	s_xor_b64 exec, exec, s[14:15]
	s_cbranch_execz .LBB2_46
.LBB2_77:
	s_movk_i32 s17, 0x108
	v_mad_u32_u24 v6, v18, s17, v0
	ds_read_b64 v[8:9], v6
	v_add_u32_e32 v6, 24, v1
	s_or_b64 s[0:1], s[0:1], exec
	s_waitcnt lgkmcnt(0)
	v_xor_b32_e32 v7, 0x80000000, v9
	ds_write_b32 v1, v8 offset:24
	s_or_b64 exec, exec, s[14:15]
	s_and_saveexec_b64 s[14:15], s[0:1]
	s_cbranch_execnz .LBB2_47
	s_branch .LBB2_48
.LBB2_78:
                                        ; implicit-def: $vgpr4_vgpr5
	s_cbranch_execz .LBB2_80
; %bb.79:
	s_lshl_b32 s14, s22, 3
	s_ashr_i32 s15, s14, 31
	s_ashr_i32 s23, s22, 31
	v_lshl_add_u64 v[4:5], s[14:15], 3, v[8:9]
	s_lshl_b64 s[14:15], s[22:23], 6
	v_lshl_add_u64 v[20:21], v[4:5], 0, s[14:15]
	v_lshl_add_u64 v[26:27], v[20:21], 0, s[14:15]
	global_load_dwordx2 v[28:29], v[8:9], off offset:256
	global_load_dwordx2 v[30:31], v[4:5], off offset:256
	;; [unrolled: 1-line block ×4, first 2 shown]
	s_movk_i32 s14, 0x108
	v_mad_u32_u24 v1, v10, s14, v0
	v_mov_b64_e32 v[4:5], v[6:7]
	s_waitcnt vmcnt(3)
	ds_write_b64 v1, v[28:29]
	s_waitcnt vmcnt(2)
	ds_write_b64 v1, v[30:31] offset:2112
	s_waitcnt vmcnt(1)
	ds_write_b64 v1, v[32:33] offset:4224
	;; [unrolled: 2-line block ×3, first 2 shown]
.LBB2_80:
	v_mul_u32_u24_e32 v1, 0x420, v10
	s_mov_b64 s[14:15], 0
	s_waitcnt lgkmcnt(0)
	s_barrier
                                        ; implicit-def: $vgpr6
	s_and_saveexec_b64 s[30:31], s[4:5]
	s_xor_b64 s[4:5], exec, s[30:31]
	s_cbranch_execz .LBB2_84
; %bb.81:
	v_cmp_eq_u32_e32 vcc, v11, v2
                                        ; implicit-def: $vgpr6
	s_and_saveexec_b64 s[30:31], vcc
	s_xor_b64 s[30:31], exec, s[30:31]
; %bb.82:
	s_mov_b64 s[14:15], exec
	v_add_u32_e32 v6, v0, v3
; %bb.83:
	s_or_b64 exec, exec, s[30:31]
	s_and_b64 s[14:15], s[14:15], exec
.LBB2_84:
	s_or_saveexec_b64 s[4:5], s[4:5]
	v_mov_b32_e32 v7, 0
	v_add_u32_e32 v8, v0, v1
	v_lshl_add_u32 v1, v11, 3, v23
	s_xor_b64 exec, exec, s[4:5]
	s_cbranch_execz .LBB2_86
; %bb.85:
	ds_read_b64 v[6:7], v8
	s_or_b64 s[14:15], s[14:15], exec
	s_waitcnt lgkmcnt(0)
	v_xor_b32_e32 v7, 0x80000000, v7
	ds_write_b32 v1, v6
	v_mov_b32_e32 v6, v1
.LBB2_86:
	s_or_b64 exec, exec, s[4:5]
	v_mul_u32_u24_e32 v9, 0x108, v16
	s_and_saveexec_b64 s[4:5], s[14:15]
; %bb.87:
	ds_write_b32 v6, v7 offset:4
; %bb.88:
	s_or_b64 exec, exec, s[4:5]
	s_mov_b64 s[4:5], 0
	v_add_u32_e32 v9, v0, v9
                                        ; implicit-def: $vgpr7
                                        ; implicit-def: $vgpr6
	s_and_saveexec_b64 s[14:15], s[6:7]
	s_xor_b64 s[6:7], exec, s[14:15]
	s_cbranch_execnz .LBB2_118
; %bb.89:
	s_andn2_saveexec_b64 s[6:7], s[6:7]
	s_cbranch_execnz .LBB2_119
.LBB2_90:
	s_or_b64 exec, exec, s[6:7]
	s_and_saveexec_b64 s[6:7], s[4:5]
.LBB2_91:
	ds_write_b32 v6, v7 offset:4
.LBB2_92:
	s_or_b64 exec, exec, s[6:7]
	s_mov_b64 s[4:5], 0
                                        ; implicit-def: $vgpr6
	s_and_saveexec_b64 s[6:7], s[8:9]
	s_xor_b64 s[6:7], exec, s[6:7]
	s_cbranch_execnz .LBB2_122
; %bb.93:
	s_or_saveexec_b64 s[6:7], s[6:7]
	v_mov_b32_e32 v7, 0
	s_xor_b64 exec, exec, s[6:7]
	s_cbranch_execnz .LBB2_125
.LBB2_94:
	s_or_b64 exec, exec, s[6:7]
	s_and_saveexec_b64 s[6:7], s[4:5]
.LBB2_95:
	ds_write_b32 v6, v7 offset:4
.LBB2_96:
	s_or_b64 exec, exec, s[6:7]
	s_mov_b64 s[4:5], 0
                                        ; implicit-def: $vgpr6
	s_and_saveexec_b64 s[6:7], s[10:11]
	s_xor_b64 s[6:7], exec, s[6:7]
	s_cbranch_execnz .LBB2_126
; %bb.97:
	s_or_saveexec_b64 s[6:7], s[6:7]
	v_mov_b32_e32 v3, 0
	s_xor_b64 exec, exec, s[6:7]
	s_cbranch_execnz .LBB2_129
.LBB2_98:
	s_or_b64 exec, exec, s[6:7]
	v_add_u32_e32 v25, 0x2380, v19
	s_and_saveexec_b64 s[6:7], s[4:5]
.LBB2_99:
	ds_write_b32 v6, v3 offset:4
.LBB2_100:
	s_or_b64 exec, exec, s[6:7]
	s_waitcnt lgkmcnt(0)
	s_barrier
	ds_read_b64 v[6:7], v8
	ds_read_b128 v[16:19], v25 offset:256
	ds_read2_b64 v[26:29], v9 offset1:33
	ds_read_b64 v[20:21], v9 offset:528
	ds_read_b128 v[30:33], v25 offset:272
	v_cmp_eq_u32_e64 s[4:5], 1, v10
	s_waitcnt lgkmcnt(3)
	v_pk_mul_f32 v[34:35], v[16:17], v[6:7] op_sel:[1,1] op_sel_hi:[0,1]
	v_pk_fma_f32 v[36:37], v[16:17], v[6:7], v[34:35] neg_lo:[0,0,1] neg_hi:[0,0,1]
	v_pk_fma_f32 v[6:7], v[16:17], v[6:7], v[34:35] op_sel_hi:[1,0,1]
	s_waitcnt lgkmcnt(2)
	v_pk_mul_f32 v[16:17], v[18:19], v[26:27] op_sel:[1,1] op_sel_hi:[0,1]
	v_pk_fma_f32 v[34:35], v[18:19], v[26:27], v[16:17] neg_lo:[0,0,1] neg_hi:[0,0,1]
	v_pk_fma_f32 v[16:17], v[18:19], v[26:27], v[16:17] op_sel_hi:[1,0,1]
	v_mov_b32_e32 v37, v7
	v_mov_b32_e32 v35, v17
	s_waitcnt lgkmcnt(0)
	v_pk_mul_f32 v[16:17], v[30:31], v[28:29] op_sel:[1,1] op_sel_hi:[0,1]
	v_pk_add_f32 v[6:7], v[36:37], 0 op_sel_hi:[1,0]
	v_pk_fma_f32 v[18:19], v[30:31], v[28:29], v[16:17] neg_lo:[0,0,1] neg_hi:[0,0,1]
	v_pk_fma_f32 v[16:17], v[30:31], v[28:29], v[16:17] op_sel_hi:[1,0,1]
	v_pk_add_f32 v[6:7], v[6:7], v[34:35]
	v_mov_b32_e32 v19, v17
	v_pk_mul_f32 v[16:17], v[32:33], v[20:21] op_sel:[1,1] op_sel_hi:[0,1]
	v_pk_add_f32 v[6:7], v[6:7], v[18:19]
	v_pk_fma_f32 v[18:19], v[32:33], v[20:21], v[16:17] neg_lo:[0,0,1] neg_hi:[0,0,1]
	v_pk_fma_f32 v[16:17], v[32:33], v[20:21], v[16:17] op_sel_hi:[1,0,1]
	s_nop 0
	v_mov_b32_e32 v19, v17
	v_pk_add_f32 v[6:7], v[6:7], v[18:19]
	s_barrier
	ds_write_b64 v24, v[6:7]
	s_waitcnt lgkmcnt(0)
	s_barrier
	s_and_saveexec_b64 s[6:7], s[4:5]
	s_cbranch_execz .LBB2_102
; %bb.101:
	ds_read2_b64 v[16:19], v23 offset1:7
	ds_read2_b64 v[26:29], v23 offset0:1 offset1:2
	ds_read2_b64 v[30:33], v23 offset0:3 offset1:4
	s_waitcnt lgkmcnt(1)
	v_add_f32_e32 v1, v26, v16
	v_add_f32_e32 v3, v27, v17
	;; [unrolled: 1-line block ×4, first 2 shown]
	ds_read2_b64 v[26:29], v23 offset0:5 offset1:6
	s_waitcnt lgkmcnt(1)
	v_add_f32_e32 v1, v1, v30
	v_add_f32_e32 v3, v3, v31
	;; [unrolled: 1-line block ×4, first 2 shown]
	s_waitcnt lgkmcnt(0)
	v_add_f32_e32 v6, v1, v26
	v_add_f32_e32 v7, v3, v27
	v_pk_add_f32 v[6:7], v[6:7], v[28:29]
	s_nop 0
	v_pk_add_f32 v[52:53], v[6:7], v[18:19]
.LBB2_102:
	s_or_b64 exec, exec, s[6:7]
	s_movk_i32 s6, 0xff00
	s_mov_b32 s7, -1
	v_lshl_add_u64 v[6:7], v[4:5], 0, s[6:7]
	s_and_b64 vcc, exec, s[26:27]
	s_barrier
	s_cbranch_vccz .LBB2_130
; %bb.103:
	v_sub_co_u32_e32 v18, vcc, v4, v0
	s_ashr_i32 s17, s16, 31
	s_nop 0
	v_subbrev_co_u32_e32 v19, vcc, 0, v5, vcc
	s_movk_i32 s6, 0xfef8
	v_lshl_add_u64 v[18:19], s[16:17], 3, v[18:19]
	s_mov_b32 s7, -1
	v_mov_b32_e32 v16, 0
	v_lshl_add_u64 v[18:19], v[18:19], 0, s[6:7]
	v_cmp_gt_i32_e32 vcc, s16, v2
	s_sub_i32 s10, s16, 32
	v_cmp_gt_i32_e64 s[6:7], s10, v10
	v_cndmask_b32_e32 v3, v19, v7, vcc
	v_cndmask_b32_e32 v2, v18, v6, vcc
	v_mov_b32_e32 v17, v16
	s_and_saveexec_b64 s[8:9], s[6:7]
	s_cbranch_execz .LBB2_105
; %bb.104:
	global_load_dwordx2 v[16:17], v[2:3], off
.LBB2_105:
	s_or_b64 exec, exec, s[8:9]
	s_movk_i32 s6, 0x108
	v_mad_u32_u24 v11, v10, s6, v0
	v_mul_u32_u24_e32 v1, 0x108, v10
	s_waitcnt vmcnt(0)
	ds_write_b64 v11, v[16:17]
	v_add_u32_e32 v11, 8, v10
	v_cmp_le_i32_e64 s[6:7], s10, v11
	v_add_u32_e32 v1, v1, v0
	s_and_saveexec_b64 s[8:9], s[6:7]
	s_xor_b64 s[6:7], exec, s[8:9]
; %bb.106:
	v_mov_b32_e32 v16, 0
	v_mov_b32_e32 v17, v16
	ds_write_b64 v1, v[16:17] offset:2112
; %bb.107:
	s_andn2_saveexec_b64 s[6:7], s[6:7]
	s_cbranch_execz .LBB2_109
; %bb.108:
	s_lshl_b32 s8, s22, 3
	s_ashr_i32 s9, s8, 31
	v_lshl_add_u64 v[16:17], s[8:9], 3, v[2:3]
	global_load_dwordx2 v[16:17], v[16:17], off
	s_waitcnt vmcnt(0)
	ds_write_b64 v1, v[16:17] offset:2112
.LBB2_109:
	s_or_b64 exec, exec, s[6:7]
	v_add_u32_e32 v18, 16, v10
	v_cmp_le_i32_e64 s[6:7], s10, v18
	s_and_saveexec_b64 s[8:9], s[6:7]
	s_xor_b64 s[6:7], exec, s[8:9]
; %bb.110:
	v_mov_b32_e32 v16, 0
	v_mov_b32_e32 v17, v16
	ds_write_b64 v1, v[16:17] offset:4224
; %bb.111:
	s_andn2_saveexec_b64 s[6:7], s[6:7]
	s_cbranch_execz .LBB2_113
; %bb.112:
	s_lshl_b32 s8, s22, 4
	s_ashr_i32 s9, s8, 31
	v_lshl_add_u64 v[16:17], s[8:9], 3, v[2:3]
	global_load_dwordx2 v[16:17], v[16:17], off
	s_waitcnt vmcnt(0)
	ds_write_b64 v1, v[16:17] offset:4224
.LBB2_113:
	s_or_b64 exec, exec, s[6:7]
	v_add_u32_e32 v19, 24, v10
	v_cmp_le_i32_e64 s[6:7], s10, v19
	s_and_saveexec_b64 s[8:9], s[6:7]
	s_xor_b64 s[6:7], exec, s[8:9]
; %bb.114:
	v_mov_b32_e32 v16, 0
	v_mov_b32_e32 v17, v16
	ds_write_b64 v1, v[16:17] offset:6336
                                        ; implicit-def: $vgpr1
; %bb.115:
	s_andn2_saveexec_b64 s[6:7], s[6:7]
	s_cbranch_execz .LBB2_117
; %bb.116:
	s_mul_i32 s8, s22, 24
	s_ashr_i32 s9, s8, 31
	v_lshl_add_u64 v[16:17], s[8:9], 3, v[2:3]
	global_load_dwordx2 v[16:17], v[16:17], off
	s_waitcnt vmcnt(0)
	ds_write_b64 v1, v[16:17] offset:6336
.LBB2_117:
	s_or_b64 exec, exec, s[6:7]
	v_mov_b32_e32 v1, 0
	v_lshl_add_u64 v[2:3], v[2:3], 0, v[0:1]
	s_lshl_b64 s[6:7], s[16:17], 3
	v_mov_b32_e32 v1, s7
	v_subrev_co_u32_e64 v2, s[6:7], s6, v2
	s_nop 1
	v_subb_co_u32_e64 v3, s[6:7], v3, v1, s[6:7]
	v_lshl_add_u64 v[2:3], v[2:3], 0, 8
	v_cndmask_b32_e32 v17, v3, v7, vcc
	v_cndmask_b32_e32 v16, v2, v6, vcc
	s_branch .LBB2_132
.LBB2_118:
	ds_read_b64 v[20:21], v9
	s_mov_b64 s[4:5], exec
	v_add_u32_e32 v6, 8, v1
                                        ; implicit-def: $vgpr16
	s_waitcnt lgkmcnt(0)
	v_xor_b32_e32 v7, 0x80000000, v21
	ds_write_b32 v1, v20 offset:8
	s_andn2_saveexec_b64 s[6:7], s[6:7]
	s_cbranch_execz .LBB2_90
.LBB2_119:
	v_cmp_eq_u32_e32 vcc, v16, v2
	s_mov_b64 s[14:15], s[4:5]
                                        ; implicit-def: $vgpr6
	s_and_saveexec_b64 s[30:31], vcc
; %bb.120:
	v_add_u32_e32 v6, v0, v3
	s_or_b64 s[14:15], s[4:5], exec
; %bb.121:
	s_or_b64 exec, exec, s[30:31]
	s_andn2_b64 s[4:5], s[4:5], exec
	s_and_b64 s[14:15], s[14:15], exec
	v_mov_b32_e32 v7, 0
	s_or_b64 s[4:5], s[4:5], s[14:15]
	s_or_b64 exec, exec, s[6:7]
	s_and_saveexec_b64 s[6:7], s[4:5]
	s_cbranch_execnz .LBB2_91
	s_branch .LBB2_92
.LBB2_122:
	v_cmp_eq_u32_e32 vcc, v17, v2
                                        ; implicit-def: $vgpr6
	s_and_saveexec_b64 s[8:9], vcc
; %bb.123:
	s_mov_b64 s[4:5], exec
	v_add_u32_e32 v6, v0, v3
; %bb.124:
	s_or_b64 exec, exec, s[8:9]
	s_and_b64 s[4:5], s[4:5], exec
	s_or_saveexec_b64 s[6:7], s[6:7]
	v_mov_b32_e32 v7, 0
	s_xor_b64 exec, exec, s[6:7]
	s_cbranch_execz .LBB2_94
.LBB2_125:
	ds_read_b64 v[16:17], v9 offset:264
	v_add_u32_e32 v6, 16, v1
	s_or_b64 s[4:5], s[4:5], exec
	s_waitcnt lgkmcnt(0)
	v_xor_b32_e32 v7, 0x80000000, v17
	ds_write_b32 v1, v16 offset:16
	s_or_b64 exec, exec, s[6:7]
	s_and_saveexec_b64 s[6:7], s[4:5]
	s_cbranch_execnz .LBB2_95
	s_branch .LBB2_96
.LBB2_126:
	v_cmp_eq_u32_e32 vcc, v18, v2
                                        ; implicit-def: $vgpr6
	s_and_saveexec_b64 s[8:9], vcc
; %bb.127:
	s_mov_b64 s[4:5], exec
	v_add_u32_e32 v6, v0, v3
; %bb.128:
	s_or_b64 exec, exec, s[8:9]
	s_and_b64 s[4:5], s[4:5], exec
                                        ; implicit-def: $vgpr1
	s_or_saveexec_b64 s[6:7], s[6:7]
	v_mov_b32_e32 v3, 0
	s_xor_b64 exec, exec, s[6:7]
	s_cbranch_execz .LBB2_98
.LBB2_129:
	ds_read_b64 v[16:17], v9 offset:528
	v_add_u32_e32 v6, 24, v1
	s_or_b64 s[4:5], s[4:5], exec
	s_waitcnt lgkmcnt(0)
	v_xor_b32_e32 v3, 0x80000000, v17
	ds_write_b32 v1, v16 offset:24
	s_or_b64 exec, exec, s[6:7]
	v_add_u32_e32 v25, 0x2380, v19
	s_and_saveexec_b64 s[6:7], s[4:5]
	s_cbranch_execnz .LBB2_99
	s_branch .LBB2_100
.LBB2_130:
                                        ; implicit-def: $vgpr16_vgpr17
                                        ; implicit-def: $vgpr11
                                        ; implicit-def: $vgpr18
                                        ; implicit-def: $vgpr19
	s_cbranch_execz .LBB2_132
; %bb.131:
	s_lshl_b32 s6, s22, 3
	s_ashr_i32 s7, s6, 31
	s_ashr_i32 s23, s22, 31
	v_lshl_add_u64 v[2:3], s[6:7], 3, v[4:5]
	s_lshl_b64 s[6:7], s[22:23], 6
	v_lshl_add_u64 v[16:17], v[2:3], 0, s[6:7]
	v_lshl_add_u64 v[18:19], v[16:17], 0, s[6:7]
	global_load_dwordx2 v[20:21], v[4:5], off offset:-256
	global_load_dwordx2 v[26:27], v[2:3], off offset:-256
	;; [unrolled: 1-line block ×4, first 2 shown]
	s_movk_i32 s6, 0x108
	v_add_u32_e32 v11, 8, v10
	v_add_u32_e32 v18, 16, v10
	v_add_u32_e32 v19, 24, v10
	v_mad_u32_u24 v0, v10, s6, v0
	v_mov_b64_e32 v[16:17], v[6:7]
	s_waitcnt vmcnt(3)
	ds_write_b64 v0, v[20:21]
	s_waitcnt vmcnt(2)
	ds_write_b64 v0, v[26:27] offset:2112
	s_waitcnt vmcnt(1)
	ds_write_b64 v0, v[28:29] offset:4224
	;; [unrolled: 2-line block ×3, first 2 shown]
.LBB2_132:
	v_lshlrev_b32_e32 v4, 3, v10
	v_lshlrev_b32_e32 v6, 3, v11
	;; [unrolled: 1-line block ×4, first 2 shown]
	v_add_u32_e32 v5, v23, v4
	v_add_u32_e32 v7, v23, v6
	;; [unrolled: 1-line block ×4, first 2 shown]
	s_waitcnt lgkmcnt(0)
	s_barrier
	ds_read2_b64 v[0:3], v9 offset1:33
	ds_read_b64 v[20:21], v8
	ds_read_b64 v[18:19], v9 offset:528
	ds_read_b64 v[26:27], v5
	ds_read_b64 v[28:29], v7
	ds_read_b64 v[30:31], v6 offset:9088
	ds_read_b64 v[32:33], v4 offset:9088
	ds_read_b64 v[34:35], v11
	ds_read_b64 v[36:37], v36
	ds_read_b64 v[38:39], v38 offset:9088
	ds_read_b64 v[40:41], v10 offset:9088
	ds_read_b128 v[8:11], v25 offset:256
	ds_read_b128 v[4:7], v25 offset:272
	s_waitcnt lgkmcnt(6)
	v_pk_mul_f32 v[42:43], v[26:27], v[32:33] op_sel:[1,1] op_sel_hi:[1,0]
	v_pk_mul_f32 v[44:45], v[28:29], v[30:31] op_sel:[1,1] op_sel_hi:[1,0]
	v_pk_fma_f32 v[56:57], v[26:27], v[32:33], v[42:43]
	v_pk_fma_f32 v[26:27], v[26:27], v[32:33], v[42:43] op_sel_hi:[0,1,1] neg_lo:[0,0,1] neg_hi:[0,0,1]
	s_waitcnt lgkmcnt(2)
	v_pk_mul_f32 v[46:47], v[34:35], v[40:41] op_sel:[1,1] op_sel_hi:[1,0]
	v_mov_b32_e32 v57, v27
	v_pk_fma_f32 v[32:33], v[28:29], v[30:31], v[44:45]
	v_pk_fma_f32 v[28:29], v[28:29], v[30:31], v[44:45] op_sel_hi:[0,1,1] neg_lo:[0,0,1] neg_hi:[0,0,1]
	v_pk_add_f32 v[26:27], v[56:57], 0 op_sel_hi:[1,0]
	v_mov_b32_e32 v33, v29
	v_pk_fma_f32 v[28:29], v[34:35], v[40:41], v[46:47]
	v_pk_fma_f32 v[30:31], v[34:35], v[40:41], v[46:47] op_sel_hi:[0,1,1] neg_lo:[0,0,1] neg_hi:[0,0,1]
	v_pk_mul_f32 v[54:55], v[36:37], v[38:39] op_sel:[1,1] op_sel_hi:[1,0]
	v_pk_add_f32 v[26:27], v[26:27], v[32:33]
	v_mov_b32_e32 v29, v31
	v_pk_add_f32 v[26:27], v[26:27], v[28:29]
	v_pk_fma_f32 v[28:29], v[36:37], v[38:39], v[54:55]
	v_pk_fma_f32 v[30:31], v[36:37], v[38:39], v[54:55] op_sel_hi:[0,1,1] neg_lo:[0,0,1] neg_hi:[0,0,1]
	v_mov_b32_e32 v29, v31
	v_pk_add_f32 v[26:27], v[26:27], v[28:29]
	s_waitcnt lgkmcnt(0)
	s_barrier
	ds_write_b64 v24, v[26:27]
	s_waitcnt lgkmcnt(0)
	s_barrier
	s_and_saveexec_b64 s[6:7], s[4:5]
	s_cbranch_execz .LBB2_134
; %bb.133:
	ds_read2_b64 v[26:29], v23 offset1:1
	ds_read2_b64 v[30:33], v23 offset0:2 offset1:3
	ds_read2_b64 v[34:37], v23 offset0:4 offset1:5
	s_waitcnt lgkmcnt(2)
	v_pk_add_f32 v[26:27], v[52:53], v[26:27]
	s_nop 0
	v_pk_add_f32 v[38:39], v[26:27], v[28:29]
	ds_read2_b64 v[26:29], v23 offset0:6 offset1:7
	s_waitcnt lgkmcnt(2)
	v_pk_add_f32 v[30:31], v[38:39], v[30:31]
	s_nop 0
	v_pk_add_f32 v[30:31], v[30:31], v[32:33]
	s_waitcnt lgkmcnt(1)
	v_pk_add_f32 v[30:31], v[30:31], v[34:35]
	s_nop 0
	v_pk_add_f32 v[30:31], v[30:31], v[36:37]
	;; [unrolled: 4-line block ×3, first 2 shown]
.LBB2_134:
	s_or_b64 exec, exec, s[6:7]
	v_pk_mul_f32 v[26:27], v[8:9], v[20:21] op_sel:[1,1] op_sel_hi:[0,1]
	v_pk_fma_f32 v[28:29], v[8:9], v[20:21], v[26:27] neg_lo:[0,0,1] neg_hi:[0,0,1]
	v_pk_fma_f32 v[8:9], v[8:9], v[20:21], v[26:27] op_sel_hi:[1,0,1]
	v_pk_mul_f32 v[20:21], v[10:11], v[0:1] op_sel:[1,1] op_sel_hi:[0,1]
	v_mov_b32_e32 v29, v9
	v_pk_fma_f32 v[26:27], v[10:11], v[0:1], v[20:21] neg_lo:[0,0,1] neg_hi:[0,0,1]
	v_pk_fma_f32 v[0:1], v[10:11], v[0:1], v[20:21] op_sel_hi:[1,0,1]
	v_pk_add_f32 v[8:9], v[28:29], 0 op_sel_hi:[1,0]
	v_mov_b32_e32 v27, v1
	v_pk_add_f32 v[0:1], v[8:9], v[26:27]
	v_pk_mul_f32 v[8:9], v[4:5], v[2:3] op_sel:[1,1] op_sel_hi:[0,1]
	v_pk_fma_f32 v[10:11], v[4:5], v[2:3], v[8:9] neg_lo:[0,0,1] neg_hi:[0,0,1]
	v_pk_fma_f32 v[2:3], v[4:5], v[2:3], v[8:9] op_sel_hi:[1,0,1]
	s_nop 0
	v_mov_b32_e32 v11, v3
	v_pk_mul_f32 v[2:3], v[6:7], v[18:19] op_sel:[1,1] op_sel_hi:[0,1]
	v_pk_fma_f32 v[4:5], v[6:7], v[18:19], v[2:3] neg_lo:[0,0,1] neg_hi:[0,0,1]
	v_pk_fma_f32 v[2:3], v[6:7], v[18:19], v[2:3] op_sel_hi:[1,0,1]
	v_pk_add_f32 v[0:1], v[0:1], v[10:11]
	v_mov_b32_e32 v5, v3
	v_pk_add_f32 v[0:1], v[0:1], v[4:5]
	s_barrier
	ds_write_b64 v24, v[0:1]
	s_waitcnt lgkmcnt(0)
	s_barrier
	s_and_saveexec_b64 s[4:5], s[0:1]
	s_cbranch_execz .LBB2_136
; %bb.135:
	ds_read2_b64 v[0:3], v23 offset1:1
	ds_read2_b64 v[4:7], v23 offset0:2 offset1:3
	ds_read2_b64 v[8:11], v23 offset0:4 offset1:5
	s_waitcnt lgkmcnt(2)
	v_pk_add_f32 v[0:1], v[52:53], v[0:1]
	s_nop 0
	v_pk_add_f32 v[18:19], v[0:1], v[2:3]
	ds_read2_b64 v[0:3], v23 offset0:6 offset1:7
	s_waitcnt lgkmcnt(2)
	v_pk_add_f32 v[4:5], v[18:19], v[4:5]
	s_nop 0
	v_pk_add_f32 v[4:5], v[4:5], v[6:7]
	s_waitcnt lgkmcnt(1)
	v_pk_add_f32 v[4:5], v[4:5], v[8:9]
	s_nop 0
	v_pk_add_f32 v[4:5], v[4:5], v[10:11]
	;; [unrolled: 4-line block ×3, first 2 shown]
.LBB2_136:
	s_or_b64 exec, exec, s[4:5]
	s_mul_hi_u32 s0, s36, s3
	s_mul_i32 s37, s37, s3
	s_add_i32 s0, s0, s37
	s_mul_i32 s3, s36, s3
	s_mul_i32 s0, s0, s33
	s_mul_hi_u32 s1, s3, s33
	s_add_i32 s1, s1, s0
	s_mul_i32 s0, s3, s33
	s_lshl_b64 s[0:1], s[0:1], 3
	s_add_u32 s3, s18, s0
	s_addc_u32 s4, s19, s1
	s_mul_hi_i32 s1, s36, s2
	s_mul_i32 s0, s36, s2
	s_lshl_b64 s[0:1], s[0:1], 3
	s_add_u32 s6, s3, s0
	s_addc_u32 s7, s4, s1
	s_add_i32 s8, s2, 1
	s_cmp_ge_u32 s8, s33
	v_lshlrev_b32_e32 v51, 3, v50
	s_barrier
	s_cbranch_scc1 .LBB2_194
; %bb.137:
	v_lshrrev_b32_e32 v2, 4, v22
	v_mov_b32_e32 v4, 0x2180
	s_mul_i32 s0, s35, s24
	v_lshl_add_u32 v136, v49, 5, v4
	v_lshlrev_b32_e32 v4, 5, v2
	v_mul_i32_i24_e32 v6, 0xffffffe8, v2
	v_and_b32_e32 v2, 48, v50
	s_ashr_i32 s1, s0, 31
	v_and_b32_e32 v3, 15, v50
	s_movk_i32 s10, 0x218
	s_lshl_b32 s4, s22, 4
	v_lshlrev_b32_e32 v2, 3, v2
	s_lshl_b64 s[0:1], s[0:1], 3
	s_lshl_b32 s17, s35, 6
	s_ashr_i32 s5, s4, 31
	v_mad_u32_u24 v139, v3, s10, v2
	v_or_b32_e32 v2, 0x78, v51
	s_ashr_i32 s23, s22, 31
	s_lshl_b32 s18, s22, 1
	s_mul_i32 s24, s22, 3
	s_mul_i32 s35, s35, s8
	v_lshlrev_b32_e32 v134, 2, v49
	v_mov_b32_e32 v0, s1
	v_subrev_co_u32_e32 v54, vcc, s0, v12
	s_add_i32 s3, s33, -2
	v_mad_u32_u24 v138, v3, s10, v4
	v_mad_u32_u24 v140, v3, s10, v2
	s_ashr_i32 s19, s18, 31
	s_ashr_i32 s25, s24, 31
	s_lshl_b64 s[14:15], s[22:23], 3
	s_lshl_b32 s8, s35, 6
	s_lshl_b64 s[26:27], s[28:29], 3
	s_lshl_b64 s[10:11], s[4:5], 5
	;; [unrolled: 1-line block ×3, first 2 shown]
	v_subb_co_u32_e32 v55, vcc, v13, v0, vcc
	v_mad_u64_u32 v[0:1], s[0:1], s22, v134, v[50:51]
	v_lshlrev_b64 v[2:3], 3, v[14:15]
	s_add_u32 s36, s30, s26
	v_ashrrev_i32_e32 v1, 31, v0
	v_sub_co_u32_e32 v56, vcc, 0, v2
	s_addc_u32 s37, s31, s27
	s_nop 0
	v_subb_co_u32_e32 v57, vcc, 0, v3, vcc
	v_lshlrev_b64 v[2:3], 3, v[0:1]
	s_add_u32 s38, s14, s26
	v_lshl_add_u64 v[4:5], s[26:27], 0, v[2:3]
	s_addc_u32 s39, s15, s27
	s_lshl_b64 s[18:19], s[18:19], 3
	v_lshl_add_u64 v[58:59], v[16:17], 0, v[4:5]
	v_lshl_add_u64 v[4:5], s[36:37], 0, v[2:3]
	s_add_u32 s40, s26, s18
	v_lshl_add_u64 v[60:61], v[16:17], 0, v[4:5]
	v_lshl_add_u64 v[4:5], s[38:39], 0, v[2:3]
	s_addc_u32 s41, s27, s19
	s_lshl_b64 s[24:25], s[24:25], 3
	v_lshl_add_u64 v[62:63], v[16:17], 0, v[4:5]
	v_lshl_add_u64 v[4:5], s[40:41], 0, v[2:3]
	s_add_u32 s40, s26, s24
	s_addc_u32 s41, s27, s25
	v_lshl_add_u64 v[64:65], v[16:17], 0, v[4:5]
	v_lshl_add_u64 v[4:5], s[40:41], 0, v[2:3]
	s_lshl_b64 s[40:41], s[4:5], 3
	s_add_u32 s42, s26, s40
	s_addc_u32 s43, s27, s41
	s_add_u32 s38, s38, s40
	v_lshl_add_u64 v[66:67], v[16:17], 0, v[4:5]
	v_lshl_add_u64 v[4:5], s[42:43], 0, v[2:3]
	s_addc_u32 s39, s39, s41
	v_lshl_add_u64 v[68:69], v[16:17], 0, v[4:5]
	v_lshl_add_u64 v[4:5], s[38:39], 0, v[2:3]
	s_add_u32 s38, s42, s18
	s_addc_u32 s39, s43, s19
	v_lshl_add_u64 v[70:71], v[16:17], 0, v[4:5]
	v_lshl_add_u64 v[4:5], s[38:39], 0, v[2:3]
	s_add_u32 s38, s36, s40
	;; [unrolled: 4-line block ×3, first 2 shown]
	s_addc_u32 s39, s43, s25
	v_lshl_add_u64 v[74:75], v[16:17], 0, v[4:5]
	v_lshl_add_u64 v[4:5], s[38:39], 0, v[2:3]
	s_lshl_b64 s[38:39], s[4:5], 4
	s_add_u32 s26, s38, s26
	s_addc_u32 s27, s39, s27
	s_add_u32 s40, s26, s14
	v_lshl_add_u64 v[76:77], v[16:17], 0, v[4:5]
	v_lshl_add_u64 v[4:5], s[26:27], 0, v[2:3]
	s_addc_u32 s41, s27, s15
	v_lshl_add_u64 v[78:79], v[16:17], 0, v[4:5]
	v_lshl_add_u64 v[4:5], s[40:41], 0, v[2:3]
	s_add_u32 s40, s26, s18
	s_addc_u32 s41, s27, s19
	s_add_u32 s36, s36, s38
	s_addc_u32 s37, s37, s39
	s_add_u32 s26, s26, s24
	v_lshl_add_u64 v[80:81], v[16:17], 0, v[4:5]
	v_lshl_add_u64 v[4:5], s[40:41], 0, v[2:3]
	s_addc_u32 s27, s27, s25
	v_lshl_add_u64 v[0:1], s[28:29], 0, v[0:1]
	v_lshl_add_u64 v[82:83], v[16:17], 0, v[4:5]
	;; [unrolled: 1-line block ×4, first 2 shown]
	v_lshlrev_b64 v[0:1], 3, v[0:1]
	v_lshl_add_u64 v[86:87], v[16:17], 0, v[2:3]
	s_mulk_i32 s22, 0x180
	s_mul_hi_i32 s23, s4, 24
	v_mad_i64_i32 v[2:3], s[4:5], s4, 24, v[0:1]
	s_add_u32 s4, s22, s30
	s_addc_u32 s5, s23, s31
	v_lshl_add_u64 v[84:85], v[16:17], 0, v[4:5]
	v_lshl_add_u64 v[4:5], v[2:3], 0, s[14:15]
	v_lshl_add_u64 v[0:1], s[4:5], 0, v[0:1]
	s_movk_i32 s9, 0x860
	v_lshl_add_u64 v[90:91], v[16:17], 0, v[4:5]
	v_lshl_add_u64 v[4:5], v[2:3], 0, s[18:19]
	;; [unrolled: 1-line block ×4, first 2 shown]
	v_mov_b32_e32 v158, 0
	v_add_u32_e32 v135, 0x2180, v51
	v_add_u32_e32 v137, 0x2380, v51
	v_cmp_gt_u32_e64 s[0:1], 64, v22
	v_lshl_add_u64 v[88:89], v[16:17], 0, v[2:3]
	v_lshl_add_u64 v[92:93], v[16:17], 0, v[4:5]
	;; [unrolled: 1-line block ×3, first 2 shown]
	v_add_u32_e32 v141, v138, v6
	v_mov_b32_e32 v98, 0
	v_mov_b32_e32 v99, v158
	v_mad_u32_u24 v142, v49, s9, v51
	v_or_b32_e32 v143, 2, v134
	v_or_b32_e32 v144, 3, v134
	v_add_u32_e32 v145, 16, v134
	v_add_u32_e32 v146, 17, v134
	;; [unrolled: 1-line block ×13, first 2 shown]
	s_cmp_eq_u32 s3, s2
	s_cselect_b32 s24, s34, 0
	s_and_saveexec_b64 s[4:5], s[12:13]
	s_cbranch_execz .LBB2_142
.LBB2_138:
	s_cmp_lg_u32 s24, 0
	s_cselect_b64 s[14:15], -1, 0
	v_cmp_le_i32_e32 vcc, s24, v50
	s_and_b64 s[14:15], s[14:15], vcc
	s_and_saveexec_b64 s[18:19], s[14:15]
	s_xor_b64 s[14:15], exec, s[18:19]
; %bb.139:
	ds_write_b64 v135, v[98:99]
; %bb.140:
	s_andn2_saveexec_b64 s[14:15], s[14:15]
	s_cbranch_execz .LBB2_142
; %bb.141:
	s_ashr_i32 s9, s8, 31
	v_lshl_add_u64 v[0:1], s[8:9], 3, v[54:55]
	global_load_dwordx2 v[0:1], v[0:1], off
	s_waitcnt vmcnt(0)
	ds_write_b64 v135, v[0:1]
.LBB2_142:                              ; =>This Inner Loop Header: Depth=1
	s_or_b64 exec, exec, s[4:5]
	s_cmp_eq_u32 s24, 0
	s_cselect_b64 s[14:15], -1, 0
	s_cmp_lg_u32 s24, 0
	s_cselect_b64 s[18:19], -1, 0
	v_lshl_add_u64 v[0:1], v[58:59], 0, v[56:57]
	s_and_b64 vcc, exec, s[18:19]
	s_waitcnt lgkmcnt(0)
	s_barrier
	s_cbranch_vccz .LBB2_150
; %bb.143:                              ;   in Loop: Header=BB2_142 Depth=1
	v_mov_b32_e32 v102, 0
	v_mov_b32_e32 v103, v158
	v_cmp_gt_i32_e32 vcc, s24, v134
	v_mov_b64_e32 v[104:105], v[102:103]
	s_and_saveexec_b64 s[4:5], vcc
	s_cbranch_execz .LBB2_145
; %bb.144:                              ;   in Loop: Header=BB2_142 Depth=1
	global_load_dwordx2 v[104:105], v[0:1], off
.LBB2_145:                              ;   in Loop: Header=BB2_142 Depth=1
	s_or_b64 exec, exec, s[4:5]
	v_or_b32_e32 v2, 1, v134
	v_cmp_gt_i32_e32 vcc, s24, v2
	s_and_saveexec_b64 s[4:5], vcc
	s_cbranch_execz .LBB2_147
; %bb.146:                              ;   in Loop: Header=BB2_142 Depth=1
	v_lshl_add_u64 v[2:3], v[62:63], 0, v[56:57]
	global_load_dwordx2 v[102:103], v[2:3], off
.LBB2_147:                              ;   in Loop: Header=BB2_142 Depth=1
	s_or_b64 exec, exec, s[4:5]
	v_mov_b32_e32 v159, v158
	v_cmp_gt_i32_e32 vcc, s24, v143
	v_mov_b64_e32 v[106:107], v[158:159]
	s_and_saveexec_b64 s[4:5], vcc
	s_cbranch_execz .LBB2_149
; %bb.148:                              ;   in Loop: Header=BB2_142 Depth=1
	v_lshl_add_u64 v[2:3], v[64:65], 0, v[56:57]
	global_load_dwordx2 v[106:107], v[2:3], off
.LBB2_149:                              ;   in Loop: Header=BB2_142 Depth=1
	s_or_b64 exec, exec, s[4:5]
	v_cmp_gt_i32_e64 s[4:5], s24, v144
	s_branch .LBB2_152
.LBB2_150:                              ;   in Loop: Header=BB2_142 Depth=1
	s_mov_b64 s[4:5], 0
                                        ; implicit-def: $vgpr106_vgpr107
                                        ; implicit-def: $vgpr102_vgpr103
                                        ; implicit-def: $vgpr104_vgpr105
	s_cbranch_execz .LBB2_152
; %bb.151:                              ;   in Loop: Header=BB2_142 Depth=1
	global_load_dwordx2 v[104:105], v[0:1], off
	v_lshl_add_u64 v[0:1], v[62:63], 0, v[56:57]
	global_load_dwordx2 v[102:103], v[0:1], off
	v_lshl_add_u64 v[0:1], v[60:61], 0, v[56:57]
	global_load_dwordx2 v[106:107], v[0:1], off
	s_or_b64 s[4:5], s[4:5], exec
.LBB2_152:                              ;   in Loop: Header=BB2_142 Depth=1
	v_mov_b32_e32 v108, 0
	v_mov_b32_e32 v109, 0
	s_and_saveexec_b64 s[22:23], s[4:5]
	s_cbranch_execz .LBB2_154
; %bb.153:                              ;   in Loop: Header=BB2_142 Depth=1
	v_lshl_add_u64 v[0:1], v[66:67], 0, v[56:57]
	global_load_dwordx2 v[108:109], v[0:1], off
.LBB2_154:                              ;   in Loop: Header=BB2_142 Depth=1
	s_or_b64 exec, exec, s[22:23]
	ds_read_b64 v[0:1], v137
	s_andn2_b64 vcc, exec, s[18:19]
	s_waitcnt vmcnt(0) lgkmcnt(0)
	v_pk_mul_f32 v[2:3], v[104:105], v[0:1] op_sel:[1,0]
	v_pk_mul_f32 v[4:5], v[102:103], v[0:1] op_sel:[1,0]
	v_pk_fma_f32 v[6:7], v[104:105], v[0:1], v[2:3] op_sel:[0,0,1] op_sel_hi:[1,1,0]
	v_pk_fma_f32 v[2:3], v[104:105], v[0:1], v[2:3] op_sel:[0,0,1] op_sel_hi:[0,1,0] neg_lo:[0,0,1] neg_hi:[0,0,1]
	v_pk_fma_f32 v[8:9], v[102:103], v[0:1], v[4:5] op_sel:[0,0,1] op_sel_hi:[1,1,0]
	v_pk_fma_f32 v[4:5], v[102:103], v[0:1], v[4:5] op_sel:[0,0,1] op_sel_hi:[0,1,0] neg_lo:[0,0,1] neg_hi:[0,0,1]
	v_mov_b32_e32 v7, v3
	v_pk_mul_f32 v[2:3], v[106:107], v[0:1] op_sel:[1,0]
	v_mov_b32_e32 v9, v5
	v_pk_fma_f32 v[4:5], v[106:107], v[0:1], v[2:3] op_sel:[0,0,1] op_sel_hi:[1,1,0]
	v_pk_fma_f32 v[2:3], v[106:107], v[0:1], v[2:3] op_sel:[0,0,1] op_sel_hi:[0,1,0] neg_lo:[0,0,1] neg_hi:[0,0,1]
	v_mov_b32_e32 v5, v3
	v_pk_mul_f32 v[2:3], v[108:109], v[0:1] op_sel:[1,0]
	ds_write2_b64 v142, v[6:7], v[8:9] offset1:67
	v_pk_fma_f32 v[6:7], v[108:109], v[0:1], v[2:3] op_sel:[0,0,1] op_sel_hi:[1,1,0]
	v_pk_fma_f32 v[0:1], v[108:109], v[0:1], v[2:3] op_sel:[0,0,1] op_sel_hi:[0,1,0] neg_lo:[0,0,1] neg_hi:[0,0,1]
	v_mov_b32_e32 v7, v1
	ds_write2_b64 v142, v[4:5], v[6:7] offset0:134 offset1:201
	ds_read_b128 v[4:7], v136
	ds_read_b128 v[0:3], v136 offset:16
	s_waitcnt lgkmcnt(0)
	s_barrier
	ds_read2_b64 v[20:23], v138 offset1:1
	ds_read2_b64 v[16:19], v138 offset0:2 offset1:3
	v_cndmask_b32_e64 v8, 0, 1, s[18:19]
	v_cmp_ne_u32_e64 s[4:5], 1, v8
	v_lshl_add_u64 v[8:9], v[68:69], 0, v[56:57]
	s_waitcnt lgkmcnt(0)
	s_barrier
	s_cbranch_vccnz .LBB2_162
; %bb.155:                              ;   in Loop: Header=BB2_142 Depth=1
	v_mov_b32_e32 v110, 0
	v_mov_b32_e32 v111, v158
	v_cmp_gt_i32_e32 vcc, s24, v145
	v_mov_b64_e32 v[112:113], v[110:111]
	s_and_saveexec_b64 s[18:19], vcc
	s_cbranch_execz .LBB2_157
; %bb.156:                              ;   in Loop: Header=BB2_142 Depth=1
	global_load_dwordx2 v[112:113], v[8:9], off
.LBB2_157:                              ;   in Loop: Header=BB2_142 Depth=1
	s_or_b64 exec, exec, s[18:19]
	v_cmp_gt_i32_e32 vcc, s24, v146
	s_and_saveexec_b64 s[18:19], vcc
	s_cbranch_execz .LBB2_159
; %bb.158:                              ;   in Loop: Header=BB2_142 Depth=1
	v_lshl_add_u64 v[10:11], v[70:71], 0, v[56:57]
	global_load_dwordx2 v[110:111], v[10:11], off
.LBB2_159:                              ;   in Loop: Header=BB2_142 Depth=1
	s_or_b64 exec, exec, s[18:19]
	v_mov_b32_e32 v159, v158
	v_cmp_gt_i32_e32 vcc, s24, v147
	v_mov_b64_e32 v[114:115], v[158:159]
	s_and_saveexec_b64 s[18:19], vcc
	s_cbranch_execz .LBB2_161
; %bb.160:                              ;   in Loop: Header=BB2_142 Depth=1
	v_lshl_add_u64 v[10:11], v[72:73], 0, v[56:57]
	global_load_dwordx2 v[114:115], v[10:11], off
.LBB2_161:                              ;   in Loop: Header=BB2_142 Depth=1
	s_or_b64 exec, exec, s[18:19]
	v_cmp_gt_i32_e64 s[18:19], s24, v148
	s_branch .LBB2_164
.LBB2_162:                              ;   in Loop: Header=BB2_142 Depth=1
	s_mov_b64 s[18:19], 0
                                        ; implicit-def: $vgpr114_vgpr115
                                        ; implicit-def: $vgpr110_vgpr111
                                        ; implicit-def: $vgpr112_vgpr113
	s_cbranch_execz .LBB2_164
; %bb.163:                              ;   in Loop: Header=BB2_142 Depth=1
	global_load_dwordx2 v[112:113], v[8:9], off
	v_lshl_add_u64 v[8:9], v[70:71], 0, v[56:57]
	global_load_dwordx2 v[110:111], v[8:9], off
	v_lshl_add_u64 v[8:9], v[74:75], 0, v[56:57]
	global_load_dwordx2 v[114:115], v[8:9], off
	s_or_b64 s[18:19], s[18:19], exec
.LBB2_164:                              ;   in Loop: Header=BB2_142 Depth=1
	v_mov_b32_e32 v116, 0
	v_mov_b32_e32 v117, 0
	s_and_saveexec_b64 s[22:23], s[18:19]
	s_cbranch_execz .LBB2_166
; %bb.165:                              ;   in Loop: Header=BB2_142 Depth=1
	v_lshl_add_u64 v[8:9], v[76:77], 0, v[56:57]
	global_load_dwordx2 v[116:117], v[8:9], off
.LBB2_166:                              ;   in Loop: Header=BB2_142 Depth=1
	s_or_b64 exec, exec, s[22:23]
	ds_read_b64 v[24:25], v137
	ds_read_b128 v[12:15], v136 offset:128
	ds_read_b128 v[8:11], v136 offset:144
	s_and_b64 vcc, exec, s[4:5]
	s_waitcnt vmcnt(0) lgkmcnt(2)
	v_pk_mul_f32 v[26:27], v[112:113], v[24:25] op_sel:[1,1] op_sel_hi:[1,0]
	v_pk_mul_f32 v[28:29], v[110:111], v[24:25] op_sel:[1,1] op_sel_hi:[1,0]
	v_pk_fma_f32 v[30:31], v[112:113], v[24:25], v[26:27]
	v_pk_fma_f32 v[26:27], v[112:113], v[24:25], v[26:27] op_sel_hi:[0,1,1] neg_lo:[0,0,1] neg_hi:[0,0,1]
	v_mov_b32_e32 v31, v27
	v_pk_fma_f32 v[26:27], v[110:111], v[24:25], v[28:29]
	v_pk_fma_f32 v[28:29], v[110:111], v[24:25], v[28:29] op_sel_hi:[0,1,1] neg_lo:[0,0,1] neg_hi:[0,0,1]
	v_mov_b32_e32 v27, v29
	ds_write2_b64 v142, v[30:31], v[26:27] offset1:67
	v_pk_mul_f32 v[26:27], v[114:115], v[24:25] op_sel:[1,1] op_sel_hi:[1,0]
	s_nop 0
	v_pk_fma_f32 v[28:29], v[114:115], v[24:25], v[26:27]
	v_pk_fma_f32 v[26:27], v[114:115], v[24:25], v[26:27] op_sel_hi:[0,1,1] neg_lo:[0,0,1] neg_hi:[0,0,1]
	v_mov_b32_e32 v29, v27
	v_pk_mul_f32 v[26:27], v[116:117], v[24:25] op_sel:[1,1] op_sel_hi:[1,0]
	s_nop 0
	v_pk_fma_f32 v[30:31], v[116:117], v[24:25], v[26:27]
	v_pk_fma_f32 v[24:25], v[116:117], v[24:25], v[26:27] op_sel_hi:[0,1,1] neg_lo:[0,0,1] neg_hi:[0,0,1]
	v_mov_b32_e32 v31, v25
	ds_write2_b64 v142, v[28:29], v[30:31] offset0:134 offset1:201
	s_waitcnt lgkmcnt(0)
	s_barrier
	ds_read2_b64 v[36:39], v138 offset1:1
	ds_read2_b64 v[32:35], v138 offset0:2 offset1:3
	v_lshl_add_u64 v[24:25], v[78:79], 0, v[56:57]
	s_waitcnt lgkmcnt(0)
	s_barrier
	s_cbranch_vccnz .LBB2_174
; %bb.167:                              ;   in Loop: Header=BB2_142 Depth=1
	v_mov_b32_e32 v118, 0
	v_mov_b32_e32 v119, v158
	v_cmp_gt_i32_e32 vcc, s24, v149
	v_mov_b64_e32 v[120:121], v[118:119]
	s_and_saveexec_b64 s[18:19], vcc
	s_cbranch_execz .LBB2_169
; %bb.168:                              ;   in Loop: Header=BB2_142 Depth=1
	global_load_dwordx2 v[120:121], v[24:25], off
.LBB2_169:                              ;   in Loop: Header=BB2_142 Depth=1
	s_or_b64 exec, exec, s[18:19]
	v_cmp_gt_i32_e32 vcc, s24, v150
	s_and_saveexec_b64 s[18:19], vcc
	s_cbranch_execz .LBB2_171
; %bb.170:                              ;   in Loop: Header=BB2_142 Depth=1
	v_lshl_add_u64 v[26:27], v[80:81], 0, v[56:57]
	global_load_dwordx2 v[118:119], v[26:27], off
.LBB2_171:                              ;   in Loop: Header=BB2_142 Depth=1
	s_or_b64 exec, exec, s[18:19]
	v_mov_b32_e32 v159, v158
	v_cmp_gt_i32_e32 vcc, s24, v151
	v_mov_b64_e32 v[122:123], v[158:159]
	s_and_saveexec_b64 s[18:19], vcc
	s_cbranch_execz .LBB2_173
; %bb.172:                              ;   in Loop: Header=BB2_142 Depth=1
	v_lshl_add_u64 v[26:27], v[82:83], 0, v[56:57]
	global_load_dwordx2 v[122:123], v[26:27], off
.LBB2_173:                              ;   in Loop: Header=BB2_142 Depth=1
	s_or_b64 exec, exec, s[18:19]
	v_cmp_gt_i32_e64 s[18:19], s24, v152
	s_branch .LBB2_176
.LBB2_174:                              ;   in Loop: Header=BB2_142 Depth=1
	s_mov_b64 s[18:19], 0
                                        ; implicit-def: $vgpr122_vgpr123
                                        ; implicit-def: $vgpr118_vgpr119
                                        ; implicit-def: $vgpr120_vgpr121
	s_cbranch_execz .LBB2_176
; %bb.175:                              ;   in Loop: Header=BB2_142 Depth=1
	global_load_dwordx2 v[120:121], v[24:25], off
	v_lshl_add_u64 v[24:25], v[80:81], 0, v[56:57]
	global_load_dwordx2 v[118:119], v[24:25], off
	v_lshl_add_u64 v[24:25], v[84:85], 0, v[56:57]
	global_load_dwordx2 v[122:123], v[24:25], off
	s_or_b64 s[18:19], s[18:19], exec
.LBB2_176:                              ;   in Loop: Header=BB2_142 Depth=1
	v_mov_b32_e32 v124, 0
	v_mov_b32_e32 v125, 0
	s_and_saveexec_b64 s[22:23], s[18:19]
	s_cbranch_execz .LBB2_178
; %bb.177:                              ;   in Loop: Header=BB2_142 Depth=1
	v_lshl_add_u64 v[24:25], v[86:87], 0, v[56:57]
	global_load_dwordx2 v[124:125], v[24:25], off
.LBB2_178:                              ;   in Loop: Header=BB2_142 Depth=1
	s_or_b64 exec, exec, s[22:23]
	ds_read_b64 v[24:25], v137
	s_and_b64 vcc, exec, s[4:5]
	v_lshl_add_u64 v[132:133], v[88:89], 0, v[56:57]
	s_waitcnt vmcnt(0) lgkmcnt(0)
	v_pk_mul_f32 v[26:27], v[120:121], v[24:25] op_sel:[1,0]
	v_pk_mul_f32 v[28:29], v[118:119], v[24:25] op_sel:[1,0]
	v_pk_fma_f32 v[30:31], v[120:121], v[24:25], v[26:27] op_sel:[0,0,1] op_sel_hi:[1,1,0]
	v_pk_fma_f32 v[26:27], v[120:121], v[24:25], v[26:27] op_sel:[0,0,1] op_sel_hi:[0,1,0] neg_lo:[0,0,1] neg_hi:[0,0,1]
	v_pk_fma_f32 v[40:41], v[118:119], v[24:25], v[28:29] op_sel:[0,0,1] op_sel_hi:[1,1,0]
	v_pk_fma_f32 v[28:29], v[118:119], v[24:25], v[28:29] op_sel:[0,0,1] op_sel_hi:[0,1,0] neg_lo:[0,0,1] neg_hi:[0,0,1]
	v_mov_b32_e32 v31, v27
	v_pk_mul_f32 v[26:27], v[122:123], v[24:25] op_sel:[1,0]
	v_mov_b32_e32 v41, v29
	v_pk_fma_f32 v[28:29], v[122:123], v[24:25], v[26:27] op_sel:[0,0,1] op_sel_hi:[1,1,0]
	v_pk_fma_f32 v[26:27], v[122:123], v[24:25], v[26:27] op_sel:[0,0,1] op_sel_hi:[0,1,0] neg_lo:[0,0,1] neg_hi:[0,0,1]
	v_mov_b32_e32 v29, v27
	v_pk_mul_f32 v[26:27], v[124:125], v[24:25] op_sel:[1,0]
	ds_write2_b64 v142, v[30:31], v[40:41] offset1:67
	v_pk_fma_f32 v[30:31], v[124:125], v[24:25], v[26:27] op_sel:[0,0,1] op_sel_hi:[1,1,0]
	v_pk_fma_f32 v[24:25], v[124:125], v[24:25], v[26:27] op_sel:[0,0,1] op_sel_hi:[0,1,0] neg_lo:[0,0,1] neg_hi:[0,0,1]
	v_mov_b32_e32 v31, v25
	ds_write2_b64 v142, v[28:29], v[30:31] offset0:134 offset1:201
	ds_read_b128 v[28:31], v136 offset:256
	ds_read_b128 v[24:27], v136 offset:272
	s_waitcnt lgkmcnt(0)
	s_barrier
	ds_read2_b64 v[44:47], v138 offset1:1
	ds_read2_b64 v[40:43], v138 offset0:2 offset1:3
	s_waitcnt lgkmcnt(0)
	s_barrier
	s_cbranch_vccnz .LBB2_186
; %bb.179:                              ;   in Loop: Header=BB2_142 Depth=1
	v_mov_b32_e32 v126, 0
	v_mov_b32_e32 v127, v158
	v_cmp_gt_i32_e32 vcc, s24, v153
	v_mov_b64_e32 v[128:129], v[126:127]
	s_and_saveexec_b64 s[4:5], vcc
	s_cbranch_execz .LBB2_181
; %bb.180:                              ;   in Loop: Header=BB2_142 Depth=1
	global_load_dwordx2 v[128:129], v[132:133], off
.LBB2_181:                              ;   in Loop: Header=BB2_142 Depth=1
	s_or_b64 exec, exec, s[4:5]
	v_cmp_gt_i32_e32 vcc, s24, v154
	s_and_saveexec_b64 s[4:5], vcc
	s_cbranch_execz .LBB2_183
; %bb.182:                              ;   in Loop: Header=BB2_142 Depth=1
	v_lshl_add_u64 v[126:127], v[90:91], 0, v[56:57]
	global_load_dwordx2 v[126:127], v[126:127], off
.LBB2_183:                              ;   in Loop: Header=BB2_142 Depth=1
	s_or_b64 exec, exec, s[4:5]
	v_mov_b32_e32 v159, v158
	v_cmp_gt_i32_e32 vcc, s24, v155
	v_mov_b64_e32 v[130:131], v[158:159]
	s_and_saveexec_b64 s[4:5], vcc
	s_cbranch_execz .LBB2_185
; %bb.184:                              ;   in Loop: Header=BB2_142 Depth=1
	v_lshl_add_u64 v[130:131], v[92:93], 0, v[56:57]
	global_load_dwordx2 v[130:131], v[130:131], off
.LBB2_185:                              ;   in Loop: Header=BB2_142 Depth=1
	s_or_b64 exec, exec, s[4:5]
	v_cmp_gt_i32_e64 s[4:5], s24, v156
	s_branch .LBB2_188
.LBB2_186:                              ;   in Loop: Header=BB2_142 Depth=1
	s_mov_b64 s[4:5], 0
                                        ; implicit-def: $vgpr130_vgpr131
                                        ; implicit-def: $vgpr126_vgpr127
                                        ; implicit-def: $vgpr128_vgpr129
	s_cbranch_execz .LBB2_188
; %bb.187:                              ;   in Loop: Header=BB2_142 Depth=1
	s_waitcnt vmcnt(0)
	v_lshl_add_u64 v[126:127], v[90:91], 0, v[56:57]
	v_lshl_add_u64 v[130:131], v[94:95], 0, v[56:57]
	global_load_dwordx2 v[128:129], v[132:133], off
	s_or_b64 s[4:5], s[4:5], exec
	global_load_dwordx2 v[126:127], v[126:127], off
	s_nop 0
	global_load_dwordx2 v[130:131], v[130:131], off
.LBB2_188:                              ;   in Loop: Header=BB2_142 Depth=1
	v_mov_b32_e32 v132, 0
	v_mov_b32_e32 v133, 0
	s_and_saveexec_b64 s[18:19], s[4:5]
	s_cbranch_execz .LBB2_190
; %bb.189:                              ;   in Loop: Header=BB2_142 Depth=1
	v_lshl_add_u64 v[132:133], v[96:97], 0, v[56:57]
	global_load_dwordx2 v[132:133], v[132:133], off
.LBB2_190:                              ;   in Loop: Header=BB2_142 Depth=1
	s_or_b64 exec, exec, s[18:19]
	v_pk_add_f32 v[44:45], v[44:45], 0 op_sel_hi:[1,0]
	v_pk_add_f32 v[36:37], v[36:37], 0 op_sel_hi:[1,0]
	v_pk_add_f32 v[44:45], v[44:45], v[46:47]
	v_pk_add_f32 v[36:37], v[36:37], v[38:39]
	;; [unrolled: 1-line block ×5, first 2 shown]
	ds_read_b64 v[40:41], v137
	v_pk_add_f32 v[46:47], v[32:33], v[34:35]
	v_pk_add_f32 v[20:21], v[20:21], 0 op_sel_hi:[1,0]
	v_cmp_gt_i32_e32 vcc, s24, v50
	v_pk_add_f32 v[160:161], v[20:21], v[22:23]
	s_waitcnt vmcnt(0) lgkmcnt(0)
	v_pk_mul_f32 v[32:33], v[128:129], v[40:41] op_sel:[1,0]
	v_pk_add_f32 v[16:17], v[160:161], v[16:17]
	v_pk_fma_f32 v[34:35], v[128:129], v[40:41], v[32:33] op_sel:[0,0,1] op_sel_hi:[1,1,0]
	v_pk_fma_f32 v[32:33], v[128:129], v[40:41], v[32:33] op_sel:[0,0,1] op_sel_hi:[0,1,0] neg_lo:[0,0,1] neg_hi:[0,0,1]
	v_mov_b32_e32 v35, v33
	v_pk_mul_f32 v[32:33], v[126:127], v[40:41] op_sel:[1,0]
	v_pk_add_f32 v[16:17], v[16:17], v[18:19]
	v_pk_fma_f32 v[36:37], v[126:127], v[40:41], v[32:33] op_sel:[0,0,1] op_sel_hi:[1,1,0]
	v_pk_fma_f32 v[32:33], v[126:127], v[40:41], v[32:33] op_sel:[0,0,1] op_sel_hi:[0,1,0] neg_lo:[0,0,1] neg_hi:[0,0,1]
	v_mov_b32_e32 v37, v33
	v_pk_mul_f32 v[32:33], v[130:131], v[40:41] op_sel:[1,0]
	ds_write2_b64 v142, v[34:35], v[36:37] offset1:67
	v_pk_fma_f32 v[34:35], v[130:131], v[40:41], v[32:33] op_sel:[0,0,1] op_sel_hi:[1,1,0]
	v_pk_fma_f32 v[32:33], v[130:131], v[40:41], v[32:33] op_sel:[0,0,1] op_sel_hi:[0,1,0] neg_lo:[0,0,1] neg_hi:[0,0,1]
	v_mov_b32_e32 v35, v33
	v_pk_mul_f32 v[32:33], v[132:133], v[40:41] op_sel:[1,0]
	s_or_b64 s[4:5], s[14:15], vcc
	v_pk_fma_f32 v[36:37], v[132:133], v[40:41], v[32:33] op_sel:[0,0,1] op_sel_hi:[1,1,0]
	v_pk_fma_f32 v[32:33], v[132:133], v[40:41], v[32:33] op_sel:[0,0,1] op_sel_hi:[0,1,0] neg_lo:[0,0,1] neg_hi:[0,0,1]
	v_mov_b32_e32 v37, v33
	ds_write2_b64 v142, v[34:35], v[36:37] offset0:134 offset1:201
	ds_read_b128 v[36:39], v136 offset:384
	ds_read_b128 v[32:35], v136 offset:400
	s_waitcnt lgkmcnt(0)
	s_barrier
	ds_read2_b64 v[40:43], v138 offset1:1
	ds_read2_b64 v[20:23], v138 offset0:2 offset1:3
	s_and_b64 s[14:15], s[0:1], s[4:5]
	s_waitcnt lgkmcnt(0)
	s_barrier
	v_pk_add_f32 v[18:19], v[40:41], 0 op_sel_hi:[1,0]
	s_nop 0
	v_pk_add_f32 v[18:19], v[18:19], v[42:43]
	s_nop 0
	v_pk_add_f32 v[18:19], v[18:19], v[20:21]
	;; [unrolled: 2-line block ×3, first 2 shown]
	ds_write2_b64 v141, v[16:17], v[46:47] offset1:16
	ds_write2_b64 v141, v[44:45], v[18:19] offset0:32 offset1:48
	s_waitcnt lgkmcnt(0)
	s_barrier
	s_and_saveexec_b64 s[4:5], s[14:15]
	s_cbranch_execz .LBB2_192
; %bb.191:                              ;   in Loop: Header=BB2_142 Depth=1
	ds_read_b64 v[40:41], v139
	ds_read2_b64 v[16:19], v139 offset0:1 offset1:2
	ds_read2_b64 v[20:23], v139 offset0:3 offset1:4
	v_ashrrev_i32_e32 v101, 31, v100
	v_lshl_add_u64 v[44:45], v[100:101], 3, s[6:7]
	s_waitcnt lgkmcnt(1)
	v_add_f32_e32 v16, v16, v40
	v_add_f32_e32 v17, v17, v41
	;; [unrolled: 1-line block ×4, first 2 shown]
	ds_read2_b64 v[16:19], v139 offset0:5 offset1:6
	s_waitcnt lgkmcnt(1)
	v_add_f32_e32 v20, v40, v20
	v_add_f32_e32 v21, v41, v21
	;; [unrolled: 1-line block ×4, first 2 shown]
	ds_read2_b64 v[20:23], v139 offset0:7 offset1:8
	s_waitcnt lgkmcnt(1)
	v_pk_add_f32 v[16:17], v[40:41], v[16:17]
	ds_read2_b64 v[40:43], v139 offset0:9 offset1:10
	v_pk_add_f32 v[16:17], v[16:17], v[18:19]
	s_waitcnt lgkmcnt(1)
	v_pk_add_f32 v[16:17], v[16:17], v[20:21]
	s_nop 0
	v_pk_add_f32 v[20:21], v[16:17], v[22:23]
	ds_read2_b64 v[16:19], v139 offset0:11 offset1:12
	s_waitcnt lgkmcnt(1)
	v_pk_add_f32 v[40:41], v[20:21], v[40:41]
	ds_read2_b64 v[20:23], v139 offset0:13 offset1:14
	v_pk_add_f32 v[40:41], v[40:41], v[42:43]
	ds_read_b64 v[42:43], v140
	s_waitcnt lgkmcnt(2)
	v_pk_add_f32 v[16:17], v[40:41], v[16:17]
	s_nop 0
	v_pk_add_f32 v[16:17], v[16:17], v[18:19]
	s_waitcnt lgkmcnt(1)
	v_pk_add_f32 v[16:17], v[16:17], v[20:21]
	s_nop 0
	v_pk_add_f32 v[16:17], v[16:17], v[22:23]
	s_waitcnt lgkmcnt(0)
	v_pk_add_f32 v[16:17], v[16:17], v[42:43]
	global_store_dwordx2 v[44:45], v[16:17], off
.LBB2_192:                              ;   in Loop: Header=BB2_142 Depth=1
	s_or_b64 exec, exec, s[4:5]
	v_mov_b32_e32 v16, v104
	v_mov_b32_e32 v17, v104
	;; [unrolled: 1-line block ×3, first 2 shown]
	v_pk_mul_f32 v[104:105], v[104:105], v[4:5]
	v_mov_b32_e32 v18, v102
	v_mov_b32_e32 v19, v102
	;; [unrolled: 1-line block ×3, first 2 shown]
	v_pk_fma_f32 v[168:169], v[16:17], v[4:5], v[104:105] op_sel:[0,0,1] op_sel_hi:[1,1,0] neg_lo:[0,0,1] neg_hi:[0,0,1]
	v_pk_fma_f32 v[4:5], v[16:17], v[4:5], v[104:105] op_sel:[0,0,1] op_sel_hi:[1,1,0]
	v_pk_mul_f32 v[16:17], v[102:103], v[6:7]
	v_mov_b32_e32 v169, v5
	v_mov_b32_e32 v20, v106
	;; [unrolled: 1-line block ×4, first 2 shown]
	v_pk_add_f32 v[4:5], v[52:53], v[168:169]
	v_pk_fma_f32 v[52:53], v[18:19], v[6:7], v[16:17] op_sel:[0,0,1] op_sel_hi:[1,1,0] neg_lo:[0,0,1] neg_hi:[0,0,1]
	v_pk_fma_f32 v[6:7], v[18:19], v[6:7], v[16:17] op_sel:[0,0,1] op_sel_hi:[1,1,0]
	v_mov_b32_e32 v22, v108
	v_mov_b32_e32 v53, v7
	v_pk_mul_f32 v[6:7], v[106:107], v[0:1]
	v_mov_b32_e32 v23, v108
	v_pk_fma_f32 v[16:17], v[20:21], v[0:1], v[6:7] op_sel:[0,0,1] op_sel_hi:[1,1,0] neg_lo:[0,0,1] neg_hi:[0,0,1]
	v_pk_fma_f32 v[0:1], v[20:21], v[0:1], v[6:7] op_sel:[0,0,1] op_sel_hi:[1,1,0]
	v_mov_b32_e32 v108, v109
	v_pk_add_f32 v[4:5], v[4:5], v[52:53]
	v_mov_b32_e32 v17, v1
	v_pk_add_f32 v[0:1], v[4:5], v[16:17]
	v_pk_mul_f32 v[4:5], v[108:109], v[2:3]
	v_mov_b32_e32 v40, v120
	v_pk_fma_f32 v[6:7], v[22:23], v[2:3], v[4:5] op_sel:[0,0,1] op_sel_hi:[1,1,0] neg_lo:[0,0,1] neg_hi:[0,0,1]
	v_pk_fma_f32 v[2:3], v[22:23], v[2:3], v[4:5] op_sel:[0,0,1] op_sel_hi:[1,1,0]
	v_mov_b32_e32 v4, v15
	v_mov_b32_e32 v7, v3
	v_pk_mul_f32 v[2:3], v[112:113], v[12:13] op_sel:[1,1] op_sel_hi:[0,1]
	v_pk_add_f32 v[0:1], v[0:1], v[6:7]
	v_pk_mul_f32 v[4:5], v[110:111], v[4:5] op_sel:[1,0] op_sel_hi:[0,0]
	v_pk_fma_f32 v[6:7], v[112:113], v[12:13], v[2:3] neg_lo:[0,0,1] neg_hi:[0,0,1]
	v_pk_fma_f32 v[2:3], v[112:113], v[12:13], v[2:3] op_sel_hi:[1,0,1]
	v_mov_b32_e32 v41, v120
	v_mov_b32_e32 v7, v3
	v_pk_fma_f32 v[2:3], v[110:111], v[14:15], v[4:5] neg_lo:[0,0,1] neg_hi:[0,0,1]
	v_pk_fma_f32 v[4:5], v[110:111], v[14:15], v[4:5] op_sel_hi:[1,0,1]
	v_pk_add_f32 v[0:1], v[0:1], v[6:7]
	v_mov_b32_e32 v3, v5
	v_pk_add_f32 v[0:1], v[0:1], v[2:3]
	v_pk_mul_f32 v[2:3], v[114:115], v[8:9] op_sel:[1,1] op_sel_hi:[0,1]
	v_pk_fma_f32 v[4:5], v[114:115], v[8:9], v[2:3] neg_lo:[0,0,1] neg_hi:[0,0,1]
	v_pk_fma_f32 v[2:3], v[114:115], v[8:9], v[2:3] op_sel_hi:[1,0,1]
	v_mov_b32_e32 v120, v121
	v_mov_b32_e32 v2, v11
	;; [unrolled: 1-line block ×3, first 2 shown]
	v_pk_mul_f32 v[2:3], v[116:117], v[2:3] op_sel:[1,0] op_sel_hi:[0,0]
	v_pk_add_f32 v[0:1], v[0:1], v[4:5]
	v_pk_fma_f32 v[4:5], v[116:117], v[10:11], v[2:3] neg_lo:[0,0,1] neg_hi:[0,0,1]
	v_pk_fma_f32 v[2:3], v[116:117], v[10:11], v[2:3] op_sel_hi:[1,0,1]
	v_mov_b32_e32 v42, v118
	v_mov_b32_e32 v5, v3
	v_pk_mul_f32 v[2:3], v[120:121], v[28:29]
	v_mov_b32_e32 v43, v118
	v_mov_b32_e32 v118, v119
	v_pk_add_f32 v[0:1], v[0:1], v[4:5]
	v_pk_fma_f32 v[4:5], v[40:41], v[28:29], v[2:3] op_sel:[0,0,1] op_sel_hi:[1,1,0] neg_lo:[0,0,1] neg_hi:[0,0,1]
	v_pk_fma_f32 v[2:3], v[40:41], v[28:29], v[2:3] op_sel:[0,0,1] op_sel_hi:[1,1,0]
	v_mov_b32_e32 v44, v122
	v_mov_b32_e32 v5, v3
	v_pk_mul_f32 v[2:3], v[118:119], v[30:31]
	v_mov_b32_e32 v45, v122
	v_mov_b32_e32 v122, v123
	v_pk_add_f32 v[0:1], v[0:1], v[4:5]
	v_pk_fma_f32 v[4:5], v[42:43], v[30:31], v[2:3] op_sel:[0,0,1] op_sel_hi:[1,1,0] neg_lo:[0,0,1] neg_hi:[0,0,1]
	v_pk_fma_f32 v[2:3], v[42:43], v[30:31], v[2:3] op_sel:[0,0,1] op_sel_hi:[1,1,0]
	;; [unrolled: 8-line block ×5, first 2 shown]
	v_mov_b32_e32 v164, v130
	v_mov_b32_e32 v5, v3
	v_pk_mul_f32 v[2:3], v[126:127], v[38:39]
	v_mov_b32_e32 v165, v130
	v_mov_b32_e32 v130, v131
	v_pk_fma_f32 v[6:7], v[162:163], v[38:39], v[2:3] op_sel:[0,0,1] op_sel_hi:[1,1,0] neg_lo:[0,0,1] neg_hi:[0,0,1]
	v_pk_fma_f32 v[2:3], v[162:163], v[38:39], v[2:3] op_sel:[0,0,1] op_sel_hi:[1,1,0]
	v_mov_b32_e32 v166, v132
	v_mov_b32_e32 v7, v3
	v_pk_mul_f32 v[2:3], v[130:131], v[32:33]
	v_mov_b32_e32 v167, v132
	v_mov_b32_e32 v132, v133
	v_pk_fma_f32 v[8:9], v[164:165], v[32:33], v[2:3] op_sel:[0,0,1] op_sel_hi:[1,1,0] neg_lo:[0,0,1] neg_hi:[0,0,1]
	v_pk_fma_f32 v[2:3], v[164:165], v[32:33], v[2:3] op_sel:[0,0,1] op_sel_hi:[1,1,0]
	v_pk_add_f32 v[0:1], v[0:1], v[4:5]
	v_mov_b32_e32 v9, v3
	v_pk_mul_f32 v[2:3], v[132:133], v[34:35]
	v_pk_add_f32 v[0:1], v[0:1], v[6:7]
	v_pk_fma_f32 v[10:11], v[166:167], v[34:35], v[2:3] op_sel:[0,0,1] op_sel_hi:[1,1,0] neg_lo:[0,0,1] neg_hi:[0,0,1]
	v_pk_fma_f32 v[2:3], v[166:167], v[34:35], v[2:3] op_sel:[0,0,1] op_sel_hi:[1,1,0]
	v_pk_add_f32 v[0:1], v[0:1], v[8:9]
	v_mov_b32_e32 v11, v3
	s_add_i32 s4, s2, 1
	s_add_i32 s8, s8, s17
	s_add_i32 s2, s2, 2
	v_pk_add_f32 v[52:53], v[0:1], v[10:11]
	v_add_u32_e32 v100, 64, v100
	v_lshl_add_u64 v[58:59], v[58:59], 0, s[10:11]
	v_lshl_add_u64 v[60:61], v[60:61], 0, s[10:11]
	;; [unrolled: 1-line block ×19, first 2 shown]
	s_cmp_ge_u32 s2, s33
	v_lshl_add_u64 v[96:97], v[96:97], 0, s[10:11]
	s_barrier
	s_cbranch_scc1 .LBB2_194
; %bb.193:                              ;   in Loop: Header=BB2_142 Depth=1
	s_mov_b32 s2, s4
	s_cmp_eq_u32 s3, s2
	s_cselect_b32 s24, s34, 0
	s_and_saveexec_b64 s[4:5], s[12:13]
	s_cbranch_execnz .LBB2_138
	s_branch .LBB2_142
.LBB2_194:
	s_movk_i32 s0, 0x218
	v_cmp_gt_i32_e32 vcc, s16, v50
	v_mad_u32_u24 v0, v49, s0, v51
	s_or_b64 s[0:1], s[20:21], vcc
	s_and_b64 s[0:1], s[12:13], s[0:1]
	ds_write_b64 v0, v[52:53]
	s_waitcnt lgkmcnt(0)
	s_barrier
	s_and_saveexec_b64 s[2:3], s[0:1]
	s_cbranch_execz .LBB2_196
; %bb.195:
	ds_read2_b64 v[0:3], v51 offset1:67
	ds_read2_b64 v[4:7], v51 offset0:134 offset1:201
	v_ashrrev_i32_e32 v49, 31, v48
	v_lshl_add_u64 v[8:9], v[48:49], 3, s[6:7]
	s_waitcnt lgkmcnt(1)
	v_pk_add_f32 v[0:1], v[2:3], v[0:1]
	s_waitcnt lgkmcnt(0)
	v_pk_add_f32 v[0:1], v[4:5], v[0:1]
	s_nop 0
	v_pk_add_f32 v[0:1], v[0:1], v[6:7]
	global_store_dwordx2 v[8:9], v[0:1], off
.LBB2_196:
	s_endpgm
	.section	.rodata,"a",@progbits
	.p2align	6, 0x0
	.amdhsa_kernel _ZL26rocblas_hemvn_kernel_upperILb1ELi64ELi4ELi33ELi32ELi16EiPK19rocblas_complex_numIfES3_PS1_EviT6_lT7_lT5_lS6_lS7_lS5_lT8_i
		.amdhsa_group_segment_fixed_size 9600
		.amdhsa_private_segment_fixed_size 0
		.amdhsa_kernarg_size 376
		.amdhsa_user_sgpr_count 2
		.amdhsa_user_sgpr_dispatch_ptr 0
		.amdhsa_user_sgpr_queue_ptr 0
		.amdhsa_user_sgpr_kernarg_segment_ptr 1
		.amdhsa_user_sgpr_dispatch_id 0
		.amdhsa_user_sgpr_kernarg_preload_length 0
		.amdhsa_user_sgpr_kernarg_preload_offset 0
		.amdhsa_user_sgpr_private_segment_size 0
		.amdhsa_uses_dynamic_stack 0
		.amdhsa_enable_private_segment 0
		.amdhsa_system_sgpr_workgroup_id_x 1
		.amdhsa_system_sgpr_workgroup_id_y 0
		.amdhsa_system_sgpr_workgroup_id_z 1
		.amdhsa_system_sgpr_workgroup_info 0
		.amdhsa_system_vgpr_workitem_id 1
		.amdhsa_next_free_vgpr 170
		.amdhsa_next_free_sgpr 44
		.amdhsa_accum_offset 172
		.amdhsa_reserve_vcc 1
		.amdhsa_float_round_mode_32 0
		.amdhsa_float_round_mode_16_64 0
		.amdhsa_float_denorm_mode_32 3
		.amdhsa_float_denorm_mode_16_64 3
		.amdhsa_dx10_clamp 1
		.amdhsa_ieee_mode 1
		.amdhsa_fp16_overflow 0
		.amdhsa_tg_split 0
		.amdhsa_exception_fp_ieee_invalid_op 0
		.amdhsa_exception_fp_denorm_src 0
		.amdhsa_exception_fp_ieee_div_zero 0
		.amdhsa_exception_fp_ieee_overflow 0
		.amdhsa_exception_fp_ieee_underflow 0
		.amdhsa_exception_fp_ieee_inexact 0
		.amdhsa_exception_int_div_zero 0
	.end_amdhsa_kernel
	.section	.text._ZL26rocblas_hemvn_kernel_upperILb1ELi64ELi4ELi33ELi32ELi16EiPK19rocblas_complex_numIfES3_PS1_EviT6_lT7_lT5_lS6_lS7_lS5_lT8_i,"axG",@progbits,_ZL26rocblas_hemvn_kernel_upperILb1ELi64ELi4ELi33ELi32ELi16EiPK19rocblas_complex_numIfES3_PS1_EviT6_lT7_lT5_lS6_lS7_lS5_lT8_i,comdat
.Lfunc_end2:
	.size	_ZL26rocblas_hemvn_kernel_upperILb1ELi64ELi4ELi33ELi32ELi16EiPK19rocblas_complex_numIfES3_PS1_EviT6_lT7_lT5_lS6_lS7_lS5_lT8_i, .Lfunc_end2-_ZL26rocblas_hemvn_kernel_upperILb1ELi64ELi4ELi33ELi32ELi16EiPK19rocblas_complex_numIfES3_PS1_EviT6_lT7_lT5_lS6_lS7_lS5_lT8_i
                                        ; -- End function
	.set _ZL26rocblas_hemvn_kernel_upperILb1ELi64ELi4ELi33ELi32ELi16EiPK19rocblas_complex_numIfES3_PS1_EviT6_lT7_lT5_lS6_lS7_lS5_lT8_i.num_vgpr, 170
	.set _ZL26rocblas_hemvn_kernel_upperILb1ELi64ELi4ELi33ELi32ELi16EiPK19rocblas_complex_numIfES3_PS1_EviT6_lT7_lT5_lS6_lS7_lS5_lT8_i.num_agpr, 0
	.set _ZL26rocblas_hemvn_kernel_upperILb1ELi64ELi4ELi33ELi32ELi16EiPK19rocblas_complex_numIfES3_PS1_EviT6_lT7_lT5_lS6_lS7_lS5_lT8_i.numbered_sgpr, 44
	.set _ZL26rocblas_hemvn_kernel_upperILb1ELi64ELi4ELi33ELi32ELi16EiPK19rocblas_complex_numIfES3_PS1_EviT6_lT7_lT5_lS6_lS7_lS5_lT8_i.num_named_barrier, 0
	.set _ZL26rocblas_hemvn_kernel_upperILb1ELi64ELi4ELi33ELi32ELi16EiPK19rocblas_complex_numIfES3_PS1_EviT6_lT7_lT5_lS6_lS7_lS5_lT8_i.private_seg_size, 0
	.set _ZL26rocblas_hemvn_kernel_upperILb1ELi64ELi4ELi33ELi32ELi16EiPK19rocblas_complex_numIfES3_PS1_EviT6_lT7_lT5_lS6_lS7_lS5_lT8_i.uses_vcc, 1
	.set _ZL26rocblas_hemvn_kernel_upperILb1ELi64ELi4ELi33ELi32ELi16EiPK19rocblas_complex_numIfES3_PS1_EviT6_lT7_lT5_lS6_lS7_lS5_lT8_i.uses_flat_scratch, 0
	.set _ZL26rocblas_hemvn_kernel_upperILb1ELi64ELi4ELi33ELi32ELi16EiPK19rocblas_complex_numIfES3_PS1_EviT6_lT7_lT5_lS6_lS7_lS5_lT8_i.has_dyn_sized_stack, 0
	.set _ZL26rocblas_hemvn_kernel_upperILb1ELi64ELi4ELi33ELi32ELi16EiPK19rocblas_complex_numIfES3_PS1_EviT6_lT7_lT5_lS6_lS7_lS5_lT8_i.has_recursion, 0
	.set _ZL26rocblas_hemvn_kernel_upperILb1ELi64ELi4ELi33ELi32ELi16EiPK19rocblas_complex_numIfES3_PS1_EviT6_lT7_lT5_lS6_lS7_lS5_lT8_i.has_indirect_call, 0
	.section	.AMDGPU.csdata,"",@progbits
; Kernel info:
; codeLenInByte = 9440
; TotalNumSgprs: 50
; NumVgprs: 170
; NumAgprs: 0
; TotalNumVgprs: 170
; ScratchSize: 0
; MemoryBound: 1
; FloatMode: 240
; IeeeMode: 1
; LDSByteSize: 9600 bytes/workgroup (compile time only)
; SGPRBlocks: 6
; VGPRBlocks: 21
; NumSGPRsForWavesPerEU: 50
; NumVGPRsForWavesPerEU: 170
; AccumOffset: 172
; Occupancy: 2
; WaveLimiterHint : 1
; COMPUTE_PGM_RSRC2:SCRATCH_EN: 0
; COMPUTE_PGM_RSRC2:USER_SGPR: 2
; COMPUTE_PGM_RSRC2:TRAP_HANDLER: 0
; COMPUTE_PGM_RSRC2:TGID_X_EN: 1
; COMPUTE_PGM_RSRC2:TGID_Y_EN: 0
; COMPUTE_PGM_RSRC2:TGID_Z_EN: 1
; COMPUTE_PGM_RSRC2:TIDIG_COMP_CNT: 1
; COMPUTE_PGM_RSRC3_GFX90A:ACCUM_OFFSET: 42
; COMPUTE_PGM_RSRC3_GFX90A:TG_SPLIT: 0
	.section	.text._ZL36rocblas_hemvn_kernel_upper_block_sumILi64EiPK19rocblas_complex_numIfEPS1_S1_EviT1_lS5_lT2_lT0_lPT3_i,"axG",@progbits,_ZL36rocblas_hemvn_kernel_upper_block_sumILi64EiPK19rocblas_complex_numIfEPS1_S1_EviT1_lS5_lT2_lT0_lPT3_i,comdat
	.globl	_ZL36rocblas_hemvn_kernel_upper_block_sumILi64EiPK19rocblas_complex_numIfEPS1_S1_EviT1_lS5_lT2_lT0_lPT3_i ; -- Begin function _ZL36rocblas_hemvn_kernel_upper_block_sumILi64EiPK19rocblas_complex_numIfEPS1_S1_EviT1_lS5_lT2_lT0_lPT3_i
	.p2align	8
	.type	_ZL36rocblas_hemvn_kernel_upper_block_sumILi64EiPK19rocblas_complex_numIfEPS1_S1_EviT1_lS5_lT2_lT0_lPT3_i,@function
_ZL36rocblas_hemvn_kernel_upper_block_sumILi64EiPK19rocblas_complex_numIfEPS1_S1_EviT1_lS5_lT2_lT0_lPT3_i: ; @_ZL36rocblas_hemvn_kernel_upper_block_sumILi64EiPK19rocblas_complex_numIfEPS1_S1_EviT1_lS5_lT2_lT0_lPT3_i
; %bb.0:
	s_load_dwordx8 s[8:15], s[0:1], 0x8
	s_waitcnt lgkmcnt(0)
	s_mul_i32 s4, s11, s3
	s_mul_hi_u32 s5, s10, s3
	s_add_i32 s5, s5, s4
	s_mul_i32 s4, s10, s3
	s_lshl_b64 s[4:5], s[4:5], 3
	s_add_u32 s4, s8, s4
	s_mul_i32 s6, s15, s3
	s_mul_hi_u32 s7, s14, s3
	s_addc_u32 s5, s9, s5
	s_add_i32 s7, s7, s6
	s_mul_i32 s6, s14, s3
	s_load_dwordx2 s[8:9], s[4:5], 0x0
	s_lshl_b64 s[4:5], s[6:7], 3
	s_add_u32 s4, s12, s4
	s_addc_u32 s5, s13, s5
	s_load_dwordx2 s[10:11], s[4:5], 0x0
	s_waitcnt lgkmcnt(0)
	s_or_b32 s4, s8, s9
	s_bitset0_b32 s4, 31
	s_cmp_eq_u32 s4, 0
	s_cselect_b64 s[16:17], -1, 0
	v_cmp_eq_f32_e64 s[4:5], s10, 1.0
	v_cmp_eq_f32_e64 s[6:7], s11, 0
	s_and_b64 s[4:5], s[4:5], s[6:7]
	s_and_b64 s[4:5], s[16:17], s[4:5]
	s_and_b64 vcc, exec, s[4:5]
	s_cbranch_vccnz .LBB3_17
; %bb.1:
	s_load_dwordx4 s[4:7], s[0:1], 0x40
	s_load_dwordx4 s[24:27], s[0:1], 0x28
	s_load_dword s20, s[0:1], 0x38
	s_load_dword s14, s[0:1], 0x0
	v_lshl_or_b32 v0, s2, 6, v0
	s_waitcnt lgkmcnt(0)
	s_mul_i32 s5, s5, s3
	s_mul_hi_u32 s12, s4, s3
	s_add_i32 s5, s12, s5
	s_mul_i32 s4, s4, s3
	s_lshl_b64 s[4:5], s[4:5], 3
	s_add_u32 s12, s24, s4
	s_addc_u32 s13, s25, s5
	s_lshl_b64 s[4:5], s[26:27], 3
	s_add_u32 s12, s12, s4
	s_addc_u32 s13, s13, s5
	s_mov_b64 s[18:19], -1
	s_andn2_b64 vcc, exec, s[16:17]
	v_cmp_gt_i32_e64 s[4:5], s14, v0
	s_cbranch_vccnz .LBB3_7
; %bb.2:
	s_and_saveexec_b64 s[16:17], s[4:5]
	s_cbranch_execz .LBB3_6
; %bb.3:
	v_cmp_neq_f32_e64 s[4:5], s10, 0
	v_cmp_neq_f32_e64 s[18:19], s11, 0
	v_mul_lo_u32 v4, s20, v0
	v_ashrrev_i32_e32 v5, 31, v4
	s_or_b64 s[4:5], s[4:5], s[18:19]
	v_mov_b32_e32 v2, 0
	s_andn2_b64 vcc, exec, s[4:5]
	v_lshl_add_u64 v[4:5], v[4:5], 3, s[12:13]
	v_mov_b32_e32 v3, 0
	s_cbranch_vccnz .LBB3_5
; %bb.4:
	global_load_dwordx2 v[6:7], v[4:5], off
	s_waitcnt vmcnt(0)
	v_pk_mul_f32 v[8:9], v[6:7], s[10:11] op_sel:[1,1] op_sel_hi:[1,0]
	s_nop 0
	v_pk_fma_f32 v[2:3], v[6:7], s[10:11], v[8:9] neg_lo:[0,0,1] neg_hi:[0,0,1]
	v_pk_fma_f32 v[6:7], v[6:7], s[10:11], v[8:9] op_sel_hi:[0,1,1]
	v_mov_b32_e32 v3, v7
.LBB3_5:
	global_store_dwordx2 v[4:5], v[2:3], off
.LBB3_6:
	s_or_b64 exec, exec, s[16:17]
	s_mov_b64 s[18:19], 0
.LBB3_7:
	s_andn2_b64 vcc, exec, s[18:19]
	s_cbranch_vccnz .LBB3_17
; %bb.8:
	v_cmp_gt_i32_e32 vcc, s14, v0
	s_and_saveexec_b64 s[4:5], vcc
	s_cbranch_execz .LBB3_17
; %bb.9:
	v_mov_b32_e32 v3, 0
	s_cmp_lt_i32 s2, 0
	v_mov_b32_e32 v2, v3
	s_cbranch_scc1 .LBB3_12
; %bb.10:
	s_load_dword s0, s[0:1], 0x58
	s_ashr_i32 s15, s14, 31
	s_mul_hi_u32 s1, s14, s3
	s_mul_i32 s4, s15, s3
	s_add_i32 s1, s1, s4
	s_mul_i32 s3, s14, s3
	s_waitcnt lgkmcnt(0)
	s_mul_i32 s1, s1, s0
	s_mul_hi_u32 s4, s3, s0
	s_add_i32 s1, s4, s1
	s_mul_i32 s0, s3, s0
	s_lshl_b64 s[0:1], s[0:1], 3
	s_add_u32 s0, s6, s0
	s_addc_u32 s1, s7, s1
	v_mov_b32_e32 v1, 0
	v_lshl_add_u64 v[4:5], v[0:1], 3, s[0:1]
	s_add_i32 s2, s2, 1
	s_lshl_b64 s[0:1], s[14:15], 3
	v_mov_b32_e32 v2, v1
	v_mov_b32_e32 v3, v1
.LBB3_11:                               ; =>This Inner Loop Header: Depth=1
	global_load_dwordx2 v[6:7], v[4:5], off
	s_add_i32 s2, s2, -1
	v_lshl_add_u64 v[4:5], v[4:5], 0, s[0:1]
	s_cmp_eq_u32 s2, 0
	s_waitcnt vmcnt(0)
	v_pk_add_f32 v[2:3], v[2:3], v[6:7]
	s_cbranch_scc0 .LBB3_11
.LBB3_12:
	v_cmp_neq_f32_e64 s[0:1], s10, 0
	v_cmp_neq_f32_e64 s[2:3], s11, 0
	s_or_b64 s[0:1], s[0:1], s[2:3]
	v_pk_mul_f32 v[6:7], v[2:3], s[8:9] op_sel:[1,1] op_sel_hi:[1,0]
	v_mul_lo_u32 v4, s20, v0
	s_andn2_b64 vcc, exec, s[0:1]
	v_pk_fma_f32 v[0:1], v[2:3], s[8:9], v[6:7] op_sel_hi:[0,1,1]
	v_ashrrev_i32_e32 v5, 31, v4
	s_cbranch_vccz .LBB3_14
; %bb.13:
	v_pk_mul_f32 v[8:9], v[2:3], s[8:9]
	s_nop 0
	v_sub_f32_e32 v0, v8, v6
	s_cbranch_execz .LBB3_15
	s_branch .LBB3_16
.LBB3_14:
.LBB3_15:
	v_lshl_add_u64 v[8:9], v[4:5], 3, s[12:13]
	global_load_dwordx2 v[8:9], v[8:9], off
	v_pk_fma_f32 v[2:3], v[2:3], s[8:9], v[6:7] neg_lo:[0,0,1] neg_hi:[0,0,1]
	s_waitcnt vmcnt(0)
	v_pk_mul_f32 v[6:7], v[8:9], s[10:11] op_sel:[1,1] op_sel_hi:[1,0]
	s_nop 0
	v_pk_fma_f32 v[10:11], v[8:9], s[10:11], v[6:7] neg_lo:[0,0,1] neg_hi:[0,0,1]
	v_pk_fma_f32 v[6:7], v[8:9], s[10:11], v[6:7] op_sel_hi:[0,1,1]
	v_mov_b32_e32 v11, v7
	v_mov_b32_e32 v3, v1
	v_pk_add_f32 v[0:1], v[2:3], v[10:11]
.LBB3_16:
	v_lshl_add_u64 v[2:3], v[4:5], 3, s[12:13]
	global_store_dwordx2 v[2:3], v[0:1], off
.LBB3_17:
	s_endpgm
	.section	.rodata,"a",@progbits
	.p2align	6, 0x0
	.amdhsa_kernel _ZL36rocblas_hemvn_kernel_upper_block_sumILi64EiPK19rocblas_complex_numIfEPS1_S1_EviT1_lS5_lT2_lT0_lPT3_i
		.amdhsa_group_segment_fixed_size 0
		.amdhsa_private_segment_fixed_size 0
		.amdhsa_kernarg_size 344
		.amdhsa_user_sgpr_count 2
		.amdhsa_user_sgpr_dispatch_ptr 0
		.amdhsa_user_sgpr_queue_ptr 0
		.amdhsa_user_sgpr_kernarg_segment_ptr 1
		.amdhsa_user_sgpr_dispatch_id 0
		.amdhsa_user_sgpr_kernarg_preload_length 0
		.amdhsa_user_sgpr_kernarg_preload_offset 0
		.amdhsa_user_sgpr_private_segment_size 0
		.amdhsa_uses_dynamic_stack 0
		.amdhsa_enable_private_segment 0
		.amdhsa_system_sgpr_workgroup_id_x 1
		.amdhsa_system_sgpr_workgroup_id_y 0
		.amdhsa_system_sgpr_workgroup_id_z 1
		.amdhsa_system_sgpr_workgroup_info 0
		.amdhsa_system_vgpr_workitem_id 0
		.amdhsa_next_free_vgpr 12
		.amdhsa_next_free_sgpr 28
		.amdhsa_accum_offset 12
		.amdhsa_reserve_vcc 1
		.amdhsa_float_round_mode_32 0
		.amdhsa_float_round_mode_16_64 0
		.amdhsa_float_denorm_mode_32 3
		.amdhsa_float_denorm_mode_16_64 3
		.amdhsa_dx10_clamp 1
		.amdhsa_ieee_mode 1
		.amdhsa_fp16_overflow 0
		.amdhsa_tg_split 0
		.amdhsa_exception_fp_ieee_invalid_op 0
		.amdhsa_exception_fp_denorm_src 0
		.amdhsa_exception_fp_ieee_div_zero 0
		.amdhsa_exception_fp_ieee_overflow 0
		.amdhsa_exception_fp_ieee_underflow 0
		.amdhsa_exception_fp_ieee_inexact 0
		.amdhsa_exception_int_div_zero 0
	.end_amdhsa_kernel
	.section	.text._ZL36rocblas_hemvn_kernel_upper_block_sumILi64EiPK19rocblas_complex_numIfEPS1_S1_EviT1_lS5_lT2_lT0_lPT3_i,"axG",@progbits,_ZL36rocblas_hemvn_kernel_upper_block_sumILi64EiPK19rocblas_complex_numIfEPS1_S1_EviT1_lS5_lT2_lT0_lPT3_i,comdat
.Lfunc_end3:
	.size	_ZL36rocblas_hemvn_kernel_upper_block_sumILi64EiPK19rocblas_complex_numIfEPS1_S1_EviT1_lS5_lT2_lT0_lPT3_i, .Lfunc_end3-_ZL36rocblas_hemvn_kernel_upper_block_sumILi64EiPK19rocblas_complex_numIfEPS1_S1_EviT1_lS5_lT2_lT0_lPT3_i
                                        ; -- End function
	.set _ZL36rocblas_hemvn_kernel_upper_block_sumILi64EiPK19rocblas_complex_numIfEPS1_S1_EviT1_lS5_lT2_lT0_lPT3_i.num_vgpr, 12
	.set _ZL36rocblas_hemvn_kernel_upper_block_sumILi64EiPK19rocblas_complex_numIfEPS1_S1_EviT1_lS5_lT2_lT0_lPT3_i.num_agpr, 0
	.set _ZL36rocblas_hemvn_kernel_upper_block_sumILi64EiPK19rocblas_complex_numIfEPS1_S1_EviT1_lS5_lT2_lT0_lPT3_i.numbered_sgpr, 28
	.set _ZL36rocblas_hemvn_kernel_upper_block_sumILi64EiPK19rocblas_complex_numIfEPS1_S1_EviT1_lS5_lT2_lT0_lPT3_i.num_named_barrier, 0
	.set _ZL36rocblas_hemvn_kernel_upper_block_sumILi64EiPK19rocblas_complex_numIfEPS1_S1_EviT1_lS5_lT2_lT0_lPT3_i.private_seg_size, 0
	.set _ZL36rocblas_hemvn_kernel_upper_block_sumILi64EiPK19rocblas_complex_numIfEPS1_S1_EviT1_lS5_lT2_lT0_lPT3_i.uses_vcc, 1
	.set _ZL36rocblas_hemvn_kernel_upper_block_sumILi64EiPK19rocblas_complex_numIfEPS1_S1_EviT1_lS5_lT2_lT0_lPT3_i.uses_flat_scratch, 0
	.set _ZL36rocblas_hemvn_kernel_upper_block_sumILi64EiPK19rocblas_complex_numIfEPS1_S1_EviT1_lS5_lT2_lT0_lPT3_i.has_dyn_sized_stack, 0
	.set _ZL36rocblas_hemvn_kernel_upper_block_sumILi64EiPK19rocblas_complex_numIfEPS1_S1_EviT1_lS5_lT2_lT0_lPT3_i.has_recursion, 0
	.set _ZL36rocblas_hemvn_kernel_upper_block_sumILi64EiPK19rocblas_complex_numIfEPS1_S1_EviT1_lS5_lT2_lT0_lPT3_i.has_indirect_call, 0
	.section	.AMDGPU.csdata,"",@progbits
; Kernel info:
; codeLenInByte = 700
; TotalNumSgprs: 34
; NumVgprs: 12
; NumAgprs: 0
; TotalNumVgprs: 12
; ScratchSize: 0
; MemoryBound: 0
; FloatMode: 240
; IeeeMode: 1
; LDSByteSize: 0 bytes/workgroup (compile time only)
; SGPRBlocks: 4
; VGPRBlocks: 1
; NumSGPRsForWavesPerEU: 34
; NumVGPRsForWavesPerEU: 12
; AccumOffset: 12
; Occupancy: 8
; WaveLimiterHint : 0
; COMPUTE_PGM_RSRC2:SCRATCH_EN: 0
; COMPUTE_PGM_RSRC2:USER_SGPR: 2
; COMPUTE_PGM_RSRC2:TRAP_HANDLER: 0
; COMPUTE_PGM_RSRC2:TGID_X_EN: 1
; COMPUTE_PGM_RSRC2:TGID_Y_EN: 0
; COMPUTE_PGM_RSRC2:TGID_Z_EN: 1
; COMPUTE_PGM_RSRC2:TIDIG_COMP_CNT: 0
; COMPUTE_PGM_RSRC3_GFX90A:ACCUM_OFFSET: 2
; COMPUTE_PGM_RSRC3_GFX90A:TG_SPLIT: 0
	.section	.text._ZL26rocblas_hemvn_kernel_upperILb1ELi64ELi4ELi33ELi32ELi16El19rocblas_complex_numIfEPKS1_PS1_EviT6_lT7_lT5_lS6_lS7_lS5_lT8_i,"axG",@progbits,_ZL26rocblas_hemvn_kernel_upperILb1ELi64ELi4ELi33ELi32ELi16El19rocblas_complex_numIfEPKS1_PS1_EviT6_lT7_lT5_lS6_lS7_lS5_lT8_i,comdat
	.globl	_ZL26rocblas_hemvn_kernel_upperILb1ELi64ELi4ELi33ELi32ELi16El19rocblas_complex_numIfEPKS1_PS1_EviT6_lT7_lT5_lS6_lS7_lS5_lT8_i ; -- Begin function _ZL26rocblas_hemvn_kernel_upperILb1ELi64ELi4ELi33ELi32ELi16El19rocblas_complex_numIfEPKS1_PS1_EviT6_lT7_lT5_lS6_lS7_lS5_lT8_i
	.p2align	8
	.type	_ZL26rocblas_hemvn_kernel_upperILb1ELi64ELi4ELi33ELi32ELi16El19rocblas_complex_numIfEPKS1_PS1_EviT6_lT7_lT5_lS6_lS7_lS5_lT8_i,@function
_ZL26rocblas_hemvn_kernel_upperILb1ELi64ELi4ELi33ELi32ELi16El19rocblas_complex_numIfEPKS1_PS1_EviT6_lT7_lT5_lS6_lS7_lS5_lT8_i: ; @_ZL26rocblas_hemvn_kernel_upperILb1ELi64ELi4ELi33ELi32ELi16El19rocblas_complex_numIfEPKS1_PS1_EviT6_lT7_lT5_lS6_lS7_lS5_lT8_i
; %bb.0:
	s_load_dwordx2 s[6:7], s[0:1], 0x84
	s_add_u32 s4, s0, 0x78
	s_addc_u32 s5, s1, 0
	s_waitcnt lgkmcnt(0)
	s_lshr_b32 s8, s6, 16
	s_and_b32 s6, s6, 0xffff
	s_and_b32 s7, s7, 0xffff
	s_mul_i32 s6, s8, s6
	s_mul_i32 s6, s6, s7
	s_cmpk_lg_i32 s6, 0x100
	s_cbranch_scc1 .LBB4_196
; %bb.1:
	s_load_dwordx2 s[6:7], s[0:1], 0x4
	s_mov_b64 s[8:9], -1
	s_waitcnt lgkmcnt(0)
	s_or_b32 s6, s6, s7
	s_bitset0_b32 s6, 31
	s_cmp_lg_u32 s6, 0
	s_cselect_b64 s[6:7], -1, 0
	s_and_b64 vcc, exec, s[6:7]
	s_cbranch_vccnz .LBB4_3
; %bb.2:
	s_load_dwordx2 s[8:9], s[0:1], 0x58
	s_waitcnt lgkmcnt(0)
	v_cmp_neq_f32_e64 s[10:11], s8, 1.0
	v_cmp_neq_f32_e64 s[8:9], s9, 0
	s_or_b64 s[8:9], s[10:11], s[8:9]
.LBB4_3:
	s_andn2_b64 vcc, exec, s[8:9]
	s_cbranch_vccnz .LBB4_196
; %bb.4:
	s_andn2_b64 vcc, exec, s[6:7]
	s_cbranch_vccnz .LBB4_196
; %bb.5:
	s_load_dwordx16 s[16:31], s[0:1], 0x18
	s_load_dword s33, s[4:5], 0x0
	s_load_dword s35, s[0:1], 0x0
	v_and_b32_e32 v122, 0x3ff, v0
	v_bfe_u32 v123, v0, 10, 10
	s_waitcnt lgkmcnt(0)
	s_mul_i32 s5, s31, s3
	s_mul_hi_u32 s6, s30, s3
	s_mul_i32 s4, s30, s3
	s_add_i32 s5, s6, s5
	s_lshl_b64 s[4:5], s[4:5], 3
	s_add_u32 s6, s24, s4
	s_addc_u32 s7, s25, s5
	s_lshl_b64 s[4:5], s[26:27], 3
	s_add_u32 s4, s6, s4
	s_addc_u32 s5, s7, s5
	s_ashr_i32 s36, s35, 31
	s_lshr_b32 s7, s36, 26
	s_lshl_b32 s26, s2, 6
	s_add_i32 s7, s35, s7
	s_andn2_b32 s7, s7, 63
	v_add_u32_e32 v48, s26, v122
	s_add_i32 s6, s33, -1
	s_sub_i32 s34, s35, s7
	v_ashrrev_i32_e32 v49, 31, v48
	s_cmp_eq_u32 s2, s6
	v_mul_lo_u32 v2, s28, v49
	v_mul_lo_u32 v3, s29, v48
	v_mad_u64_u32 v[0:1], s[6:7], s28, v48, 0
	v_add3_u32 v1, v1, v2, v3
	s_cselect_b32 s24, s34, 0
	v_lshl_add_u64 v[12:13], v[0:1], 3, s[4:5]
	v_cmp_eq_u32_e64 s[14:15], 0, v123
	s_and_saveexec_b64 s[4:5], s[14:15]
	s_cbranch_execz .LBB4_10
; %bb.6:
	s_cmp_lg_u32 s24, 0
	s_cselect_b64 s[6:7], -1, 0
	v_cmp_le_i32_e32 vcc, s24, v122
	v_mov_b32_e32 v0, 0x2380
	s_and_b64 s[6:7], s[6:7], vcc
	v_lshl_add_u32 v0, v122, 3, v0
	s_and_saveexec_b64 s[8:9], s[6:7]
	s_xor_b64 s[6:7], exec, s[8:9]
; %bb.7:
	v_mov_b32_e32 v2, 0
	v_mov_b32_e32 v3, v2
	ds_write_b64 v0, v[2:3]
                                        ; implicit-def: $vgpr0
; %bb.8:
	s_andn2_saveexec_b64 s[6:7], s[6:7]
	s_cbranch_execz .LBB4_10
; %bb.9:
	global_load_dwordx2 v[2:3], v[12:13], off
	s_waitcnt vmcnt(0)
	ds_write_b64 v0, v[2:3]
.LBB4_10:
	s_or_b64 exec, exec, s[4:5]
	s_mul_i32 s4, s23, s3
	s_mul_hi_u32 s5, s22, s3
	s_add_i32 s5, s5, s4
	s_mul_i32 s4, s22, s3
	s_lshl_b64 s[4:5], s[4:5], 3
	s_add_u32 s6, s16, s4
	s_addc_u32 s7, s17, s5
	s_lshl_b64 s[4:5], s[18:19], 3
	s_add_u32 s6, s6, s4
	s_addc_u32 s7, s7, s5
	s_ashr_i32 s27, s26, 31
	v_lshl_add_u32 v22, v123, 6, v122
	s_lshl_b64 s[4:5], s[26:27], 3
	v_and_b32_e32 v2, 31, v122
	v_lshrrev_b32_e32 v10, 5, v22
	s_add_u32 s4, s6, s4
	v_mov_b32_e32 v3, 0
	s_addc_u32 s5, s7, s5
	v_mad_u64_u32 v[14:15], s[6:7], s20, v10, v[2:3]
	v_mov_b32_e32 v0, v15
	v_mad_u64_u32 v[0:1], s[6:7], s21, v10, v[0:1]
	v_mov_b32_e32 v15, v0
	v_lshl_add_u64 v[0:1], v[14:15], 3, s[4:5]
	s_mul_hi_u32 s4, s20, s26
	s_mul_i32 s5, s20, s27
	s_add_i32 s4, s4, s5
	s_mul_i32 s5, s21, s26
	s_add_i32 s5, s4, s5
	s_cmp_eq_u32 s24, 0
	s_cselect_b64 s[18:19], -1, 0
	s_cmp_lg_u32 s24, 0
	s_mul_i32 s4, s20, s26
	s_cselect_b64 s[22:23], -1, 0
	v_lshl_add_u64 v[6:7], s[4:5], 3, v[0:1]
	s_and_b64 vcc, exec, s[22:23]
	v_cmp_gt_i32_e64 s[4:5], s24, v2
	v_lshlrev_b32_e32 v0, 3, v2
	s_cbranch_vccz .LBB4_26
; %bb.11:
	v_sub_co_u32_e32 v4, vcc, v6, v0
	s_ashr_i32 s25, s24, 31
	s_nop 0
	v_subbrev_co_u32_e32 v5, vcc, 0, v7, vcc
	v_lshl_add_u64 v[4:5], s[24:25], 3, v[4:5]
	v_lshl_add_u64 v[4:5], v[4:5], 0, -8
	v_cndmask_b32_e64 v5, v5, v7, s[4:5]
	v_cndmask_b32_e64 v4, v4, v6, s[4:5]
	v_cmp_gt_i32_e32 vcc, s24, v10
	v_mov_b32_e32 v9, 0
	s_and_saveexec_b64 s[6:7], vcc
	s_cbranch_execz .LBB4_13
; %bb.12:
	global_load_dwordx2 v[8:9], v[4:5], off
	s_waitcnt vmcnt(0)
	v_mov_b32_e32 v3, v8
.LBB4_13:
	s_or_b64 exec, exec, s[6:7]
	v_lshlrev_b32_e32 v1, 3, v2
	s_movk_i32 s6, 0x108
	v_mov_b32_e32 v8, v3
	v_mad_u32_u24 v3, v10, s6, v1
	v_mul_u32_u24_e32 v11, 0x108, v10
	ds_write_b64 v3, v[8:9]
	v_add_u32_e32 v3, 8, v10
	v_cmp_le_i32_e32 vcc, s24, v3
	v_add_u32_e32 v1, v11, v1
	s_and_saveexec_b64 s[6:7], vcc
	s_xor_b64 s[6:7], exec, s[6:7]
; %bb.14:
	v_mov_b32_e32 v8, 0
	v_mov_b32_e32 v9, v8
	ds_write_b64 v1, v[8:9] offset:2112
; %bb.15:
	s_andn2_saveexec_b64 s[6:7], s[6:7]
	s_cbranch_execz .LBB4_17
; %bb.16:
	s_lshl_b64 s[8:9], s[20:21], 6
	v_lshl_add_u64 v[8:9], v[4:5], 0, s[8:9]
	global_load_dwordx2 v[8:9], v[8:9], off
	s_waitcnt vmcnt(0)
	ds_write_b64 v1, v[8:9] offset:2112
.LBB4_17:
	s_or_b64 exec, exec, s[6:7]
	v_add_u32_e32 v3, 16, v10
	v_cmp_le_i32_e32 vcc, s24, v3
	s_and_saveexec_b64 s[6:7], vcc
	s_xor_b64 s[6:7], exec, s[6:7]
; %bb.18:
	v_mov_b32_e32 v8, 0
	v_mov_b32_e32 v9, v8
	ds_write_b64 v1, v[8:9] offset:4224
; %bb.19:
	s_andn2_saveexec_b64 s[6:7], s[6:7]
	s_cbranch_execz .LBB4_21
; %bb.20:
	s_lshl_b64 s[8:9], s[20:21], 7
	v_lshl_add_u64 v[8:9], v[4:5], 0, s[8:9]
	global_load_dwordx2 v[8:9], v[8:9], off
	s_waitcnt vmcnt(0)
	ds_write_b64 v1, v[8:9] offset:4224
.LBB4_21:
	s_or_b64 exec, exec, s[6:7]
	v_add_u32_e32 v3, 24, v10
	v_cmp_le_i32_e32 vcc, s24, v3
	s_and_saveexec_b64 s[6:7], vcc
	s_xor_b64 s[6:7], exec, s[6:7]
; %bb.22:
	v_mov_b32_e32 v8, 0
	v_mov_b32_e32 v9, v8
	ds_write_b64 v1, v[8:9] offset:6336
                                        ; implicit-def: $vgpr1
; %bb.23:
	s_andn2_saveexec_b64 s[6:7], s[6:7]
	s_cbranch_execz .LBB4_25
; %bb.24:
	v_mov_b32_e32 v3, 0xc0
	v_mad_u64_u32 v[8:9], s[8:9], s20, v3, v[4:5]
	s_mul_i32 s8, s21, 0xc0
	s_nop 0
	v_add_u32_e32 v9, s8, v9
	global_load_dwordx2 v[8:9], v[8:9], off
	s_waitcnt vmcnt(0)
	ds_write_b64 v1, v[8:9] offset:6336
.LBB4_25:
	s_or_b64 exec, exec, s[6:7]
	v_mov_b32_e32 v1, 0
	v_lshl_add_u64 v[4:5], v[4:5], 0, v[0:1]
	s_lshl_b64 s[6:7], s[24:25], 3
	v_mov_b32_e32 v1, s7
	v_subrev_co_u32_e32 v4, vcc, s6, v4
	s_nop 1
	v_subb_co_u32_e32 v5, vcc, v5, v1, vcc
	v_lshl_add_u64 v[4:5], v[4:5], 0, 8
	v_cndmask_b32_e64 v5, v5, v7, s[4:5]
	v_cndmask_b32_e64 v4, v4, v6, s[4:5]
	s_branch .LBB4_28
.LBB4_26:
                                        ; implicit-def: $vgpr4_vgpr5
	s_cbranch_execz .LBB4_28
; %bb.27:
	s_lshl_b64 s[4:5], s[20:21], 6
	v_lshl_add_u64 v[4:5], v[6:7], 0, s[4:5]
	v_lshl_add_u64 v[8:9], v[4:5], 0, s[4:5]
	;; [unrolled: 1-line block ×3, first 2 shown]
	global_load_dwordx2 v[18:19], v[6:7], off
	global_load_dwordx2 v[20:21], v[4:5], off
	;; [unrolled: 1-line block ×4, first 2 shown]
	v_mul_u32_u24_e32 v1, 0x108, v10
	v_lshl_add_u32 v1, v2, 3, v1
	v_mov_b64_e32 v[4:5], v[6:7]
	s_waitcnt vmcnt(3)
	ds_write_b64 v1, v[18:19]
	s_waitcnt vmcnt(2)
	ds_write_b64 v1, v[20:21] offset:2112
	s_waitcnt vmcnt(1)
	ds_write_b64 v1, v[24:25] offset:4224
	;; [unrolled: 2-line block ×3, first 2 shown]
.LBB4_28:
	v_lshlrev_b32_e32 v16, 2, v10
	v_lshlrev_b32_e32 v11, 3, v2
	v_mul_u32_u24_e32 v3, 0x108, v2
	v_cmp_le_u32_e64 s[6:7], v16, v2
	s_mov_b64 s[4:5], 0
	s_waitcnt lgkmcnt(0)
	s_barrier
                                        ; implicit-def: $vgpr6
	s_and_saveexec_b64 s[8:9], s[6:7]
	s_xor_b64 s[8:9], exec, s[8:9]
	s_cbranch_execz .LBB4_32
; %bb.29:
	v_cmp_eq_u32_e32 vcc, v16, v2
                                        ; implicit-def: $vgpr6
	s_and_saveexec_b64 s[10:11], vcc
	s_xor_b64 s[10:11], exec, s[10:11]
; %bb.30:
	s_mov_b64 s[4:5], exec
	v_add_u32_e32 v6, v11, v3
; %bb.31:
	s_or_b64 exec, exec, s[10:11]
	s_and_b64 s[4:5], s[4:5], exec
.LBB4_32:
	s_or_saveexec_b64 s[8:9], s[8:9]
	v_lshl_or_b32 v1, v2, 8, v11
	v_mov_b32_e32 v7, 0
	v_lshl_add_u32 v1, v16, 3, v1
	s_xor_b64 exec, exec, s[8:9]
	s_cbranch_execz .LBB4_34
; %bb.33:
	s_movk_i32 s10, 0x420
	v_mad_u32_u24 v6, v10, s10, v11
	ds_read_b64 v[6:7], v6
	s_or_b64 s[4:5], s[4:5], exec
	s_waitcnt lgkmcnt(0)
	v_xor_b32_e32 v7, 0x80000000, v7
	ds_write_b32 v1, v6
	v_mov_b32_e32 v6, v1
.LBB4_34:
	s_or_b64 exec, exec, s[8:9]
	s_and_saveexec_b64 s[8:9], s[4:5]
; %bb.35:
	ds_write_b32 v6, v7 offset:4
; %bb.36:
	s_or_b64 exec, exec, s[8:9]
	v_or_b32_e32 v17, 1, v16
	v_cmp_ge_u32_e64 s[8:9], v16, v2
	s_mov_b64 s[4:5], 0
                                        ; implicit-def: $vgpr7
                                        ; implicit-def: $vgpr6
	s_and_saveexec_b64 s[10:11], s[8:9]
	s_xor_b64 s[10:11], exec, s[10:11]
	s_cbranch_execnz .LBB4_66
; %bb.37:
	s_andn2_saveexec_b64 s[10:11], s[10:11]
	s_cbranch_execnz .LBB4_67
.LBB4_38:
	s_or_b64 exec, exec, s[10:11]
	s_and_saveexec_b64 s[10:11], s[4:5]
.LBB4_39:
	ds_write_b32 v6, v7 offset:4
.LBB4_40:
	s_or_b64 exec, exec, s[10:11]
	v_or_b32_e32 v18, 2, v16
	v_cmp_le_u32_e64 s[10:11], v18, v2
	s_mov_b64 s[4:5], 0
                                        ; implicit-def: $vgpr6
	s_and_saveexec_b64 s[12:13], s[10:11]
	s_xor_b64 s[12:13], exec, s[12:13]
	s_cbranch_execnz .LBB4_70
; %bb.41:
	s_or_saveexec_b64 s[12:13], s[12:13]
	v_mov_b32_e32 v7, 0
	s_xor_b64 exec, exec, s[12:13]
	s_cbranch_execnz .LBB4_73
.LBB4_42:
	s_or_b64 exec, exec, s[12:13]
	s_and_saveexec_b64 s[12:13], s[4:5]
.LBB4_43:
	ds_write_b32 v6, v7 offset:4
.LBB4_44:
	s_or_b64 exec, exec, s[12:13]
	v_or_b32_e32 v19, 3, v16
	v_cmp_le_u32_e64 s[12:13], v19, v2
	s_mov_b64 s[4:5], 0
                                        ; implicit-def: $vgpr6
	s_and_saveexec_b64 s[16:17], s[12:13]
	s_xor_b64 s[16:17], exec, s[16:17]
	s_cbranch_execnz .LBB4_74
; %bb.45:
	s_or_saveexec_b64 s[16:17], s[16:17]
	v_mov_b32_e32 v7, 0
	s_xor_b64 exec, exec, s[16:17]
	s_cbranch_execnz .LBB4_77
.LBB4_46:
	s_or_b64 exec, exec, s[16:17]
	s_and_saveexec_b64 s[16:17], s[4:5]
.LBB4_47:
	ds_write_b32 v6, v7 offset:4
.LBB4_48:
	s_or_b64 exec, exec, s[16:17]
	s_movk_i32 s4, 0x420
	v_mad_u32_u24 v1, v10, s4, v11
	s_movk_i32 s4, 0x108
	v_mad_u32_u24 v21, v17, s4, v11
	s_waitcnt lgkmcnt(0)
	s_barrier
	v_lshlrev_b32_e32 v20, 3, v16
	ds_read2_b64 v[6:9], v21 offset1:33
	ds_read_b64 v[34:35], v1
	ds_read_b128 v[26:29], v20 offset:9088
	ds_read_b64 v[36:37], v21 offset:528
	ds_read_b128 v[30:33], v20 offset:9104
	v_mul_u32_u24_e32 v23, 33, v2
	v_lshlrev_b32_e32 v23, 3, v23
	v_mov_b32_e32 v50, 0
	s_waitcnt lgkmcnt(2)
	v_pk_mul_f32 v[38:39], v[26:27], v[34:35] op_sel:[1,1] op_sel_hi:[0,1]
	v_pk_fma_f32 v[40:41], v[26:27], v[34:35], v[38:39] neg_lo:[0,0,1] neg_hi:[0,0,1]
	v_pk_fma_f32 v[26:27], v[26:27], v[34:35], v[38:39] op_sel_hi:[1,0,1]
	v_pk_mul_f32 v[34:35], v[28:29], v[6:7] op_sel:[1,1] op_sel_hi:[0,1]
	v_mov_b32_e32 v41, v27
	v_pk_fma_f32 v[38:39], v[28:29], v[6:7], v[34:35] neg_lo:[0,0,1] neg_hi:[0,0,1]
	v_pk_fma_f32 v[6:7], v[28:29], v[6:7], v[34:35] op_sel_hi:[1,0,1]
	v_pk_add_f32 v[26:27], v[40:41], 0 op_sel_hi:[1,0]
	v_mov_b32_e32 v39, v7
	v_pk_add_f32 v[6:7], v[26:27], v[38:39]
	s_waitcnt lgkmcnt(0)
	v_pk_mul_f32 v[26:27], v[30:31], v[8:9] op_sel:[1,1] op_sel_hi:[0,1]
	v_pk_fma_f32 v[28:29], v[30:31], v[8:9], v[26:27] neg_lo:[0,0,1] neg_hi:[0,0,1]
	v_pk_fma_f32 v[8:9], v[30:31], v[8:9], v[26:27] op_sel_hi:[1,0,1]
	v_lshl_add_u32 v24, v10, 3, v23
	v_mov_b32_e32 v29, v9
	v_pk_mul_f32 v[8:9], v[32:33], v[36:37] op_sel:[1,1] op_sel_hi:[0,1]
	v_pk_fma_f32 v[26:27], v[32:33], v[36:37], v[8:9] neg_lo:[0,0,1] neg_hi:[0,0,1]
	v_pk_fma_f32 v[8:9], v[32:33], v[36:37], v[8:9] op_sel_hi:[1,0,1]
	v_pk_add_f32 v[6:7], v[6:7], v[28:29]
	v_mov_b32_e32 v27, v9
	v_mov_b32_e32 v51, v50
	v_pk_add_f32 v[6:7], v[6:7], v[26:27]
	v_cmp_gt_u32_e64 s[4:5], 32, v22
	s_barrier
	ds_write_b64 v24, v[6:7]
	s_waitcnt lgkmcnt(0)
	s_barrier
	s_and_saveexec_b64 s[16:17], s[4:5]
	s_cbranch_execz .LBB4_50
; %bb.49:
	ds_read2_b64 v[6:9], v23 offset1:7
	ds_read2_b64 v[26:29], v23 offset0:1 offset1:2
	ds_read2_b64 v[30:33], v23 offset0:3 offset1:4
	s_waitcnt lgkmcnt(1)
	v_add_f32_e32 v1, v26, v6
	v_add_f32_e32 v6, v27, v7
	;; [unrolled: 1-line block ×4, first 2 shown]
	ds_read2_b64 v[26:29], v23 offset0:5 offset1:6
	s_waitcnt lgkmcnt(1)
	v_add_f32_e32 v1, v1, v30
	v_add_f32_e32 v6, v6, v31
	;; [unrolled: 1-line block ×4, first 2 shown]
	s_waitcnt lgkmcnt(0)
	v_add_f32_e32 v1, v1, v26
	v_add_f32_e32 v7, v6, v27
	;; [unrolled: 1-line block ×4, first 2 shown]
	v_pk_add_f32 v[50:51], v[6:7], v[8:9]
.LBB4_50:
	s_or_b64 exec, exec, s[16:17]
	s_lshl_b64 s[16:17], s[20:21], 8
	v_lshl_add_u64 v[8:9], v[4:5], 0, s[16:17]
	s_mov_b64 s[16:17], 0x100
	v_lshl_add_u64 v[6:7], v[8:9], 0, s[16:17]
	s_and_b64 vcc, exec, s[22:23]
	s_barrier
	s_cbranch_vccz .LBB4_78
; %bb.51:
	v_sub_co_u32_e32 v4, vcc, v8, v0
	s_ashr_i32 s25, s24, 31
	s_nop 0
	v_subbrev_co_u32_e32 v5, vcc, 0, v9, vcc
	v_or_b32_e32 v1, 32, v2
	v_lshl_add_u64 v[4:5], s[24:25], 3, v[4:5]
	v_mov_b32_e32 v26, 0
	v_lshl_add_u64 v[4:5], v[4:5], 0, -8
	v_cmp_gt_i32_e32 vcc, s24, v1
	s_sub_i32 s37, s24, 32
	v_cmp_gt_i32_e64 s[16:17], s37, v10
	v_cndmask_b32_e32 v5, v5, v7, vcc
	v_cndmask_b32_e32 v4, v4, v6, vcc
	v_mov_b32_e32 v27, v26
	s_and_saveexec_b64 s[30:31], s[16:17]
	s_cbranch_execz .LBB4_53
; %bb.52:
	global_load_dwordx2 v[26:27], v[4:5], off
.LBB4_53:
	s_or_b64 exec, exec, s[30:31]
	s_movk_i32 s16, 0x108
	v_mad_u32_u24 v21, v10, s16, v11
	v_mul_u32_u24_e32 v1, 0x108, v10
	s_waitcnt vmcnt(0)
	ds_write_b64 v21, v[26:27]
	v_add_u32_e32 v21, 8, v10
	v_cmp_le_i32_e64 s[16:17], s37, v21
	v_add_u32_e32 v1, v1, v11
	s_and_saveexec_b64 s[30:31], s[16:17]
	s_xor_b64 s[16:17], exec, s[30:31]
; %bb.54:
	v_mov_b32_e32 v26, 0
	v_mov_b32_e32 v27, v26
	ds_write_b64 v1, v[26:27] offset:2112
; %bb.55:
	s_andn2_saveexec_b64 s[16:17], s[16:17]
	s_cbranch_execz .LBB4_57
; %bb.56:
	s_lshl_b64 s[30:31], s[20:21], 6
	v_lshl_add_u64 v[26:27], v[4:5], 0, s[30:31]
	global_load_dwordx2 v[26:27], v[26:27], off
	s_waitcnt vmcnt(0)
	ds_write_b64 v1, v[26:27] offset:2112
.LBB4_57:
	s_or_b64 exec, exec, s[16:17]
	v_add_u32_e32 v21, 16, v10
	v_cmp_le_i32_e64 s[16:17], s37, v21
	s_and_saveexec_b64 s[30:31], s[16:17]
	s_xor_b64 s[16:17], exec, s[30:31]
; %bb.58:
	v_mov_b32_e32 v26, 0
	v_mov_b32_e32 v27, v26
	ds_write_b64 v1, v[26:27] offset:4224
; %bb.59:
	s_andn2_saveexec_b64 s[16:17], s[16:17]
	s_cbranch_execz .LBB4_61
; %bb.60:
	s_lshl_b64 s[30:31], s[20:21], 7
	v_lshl_add_u64 v[26:27], v[4:5], 0, s[30:31]
	global_load_dwordx2 v[26:27], v[26:27], off
	s_waitcnt vmcnt(0)
	ds_write_b64 v1, v[26:27] offset:4224
.LBB4_61:
	s_or_b64 exec, exec, s[16:17]
	v_add_u32_e32 v21, 24, v10
	v_cmp_le_i32_e64 s[16:17], s37, v21
	s_and_saveexec_b64 s[30:31], s[16:17]
	s_xor_b64 s[16:17], exec, s[30:31]
; %bb.62:
	v_mov_b32_e32 v26, 0
	v_mov_b32_e32 v27, v26
	ds_write_b64 v1, v[26:27] offset:6336
                                        ; implicit-def: $vgpr1
; %bb.63:
	s_andn2_saveexec_b64 s[16:17], s[16:17]
	s_cbranch_execz .LBB4_65
; %bb.64:
	v_mov_b32_e32 v21, 0xc0
	v_mad_u64_u32 v[26:27], s[30:31], s20, v21, v[4:5]
	s_mul_i32 s30, s21, 0xc0
	s_nop 0
	v_add_u32_e32 v27, s30, v27
	global_load_dwordx2 v[26:27], v[26:27], off
	s_waitcnt vmcnt(0)
	ds_write_b64 v1, v[26:27] offset:6336
.LBB4_65:
	s_or_b64 exec, exec, s[16:17]
	v_mov_b32_e32 v1, 0
	v_lshl_add_u64 v[4:5], v[4:5], 0, v[0:1]
	s_lshl_b64 s[16:17], s[24:25], 3
	v_mov_b32_e32 v1, s17
	v_subrev_co_u32_e64 v4, s[16:17], s16, v4
	s_nop 1
	v_subb_co_u32_e64 v5, s[16:17], v5, v1, s[16:17]
	s_mov_b64 s[16:17], 0x108
	s_nop 0
	v_lshl_add_u64 v[4:5], v[4:5], 0, s[16:17]
	v_cndmask_b32_e32 v5, v5, v7, vcc
	v_cndmask_b32_e32 v4, v4, v6, vcc
	s_branch .LBB4_80
.LBB4_66:
	s_movk_i32 s12, 0x108
	v_mad_u32_u24 v6, v17, s12, v11
	ds_read_b64 v[8:9], v6
	s_mov_b64 s[4:5], exec
	v_add_u32_e32 v6, 8, v1
	s_waitcnt lgkmcnt(0)
	v_xor_b32_e32 v7, 0x80000000, v9
	ds_write_b32 v1, v8 offset:8
	s_andn2_saveexec_b64 s[10:11], s[10:11]
	s_cbranch_execz .LBB4_38
.LBB4_67:
	v_cmp_eq_u32_e32 vcc, v17, v2
	s_mov_b64 s[12:13], s[4:5]
                                        ; implicit-def: $vgpr6
	s_and_saveexec_b64 s[16:17], vcc
; %bb.68:
	v_add_u32_e32 v6, v11, v3
	s_or_b64 s[12:13], s[4:5], exec
; %bb.69:
	s_or_b64 exec, exec, s[16:17]
	s_andn2_b64 s[4:5], s[4:5], exec
	s_and_b64 s[12:13], s[12:13], exec
	v_mov_b32_e32 v7, 0
	s_or_b64 s[4:5], s[4:5], s[12:13]
	s_or_b64 exec, exec, s[10:11]
	s_and_saveexec_b64 s[10:11], s[4:5]
	s_cbranch_execnz .LBB4_39
	s_branch .LBB4_40
.LBB4_70:
	v_cmp_eq_u32_e32 vcc, v18, v2
                                        ; implicit-def: $vgpr6
	s_and_saveexec_b64 s[16:17], vcc
; %bb.71:
	s_mov_b64 s[4:5], exec
	v_add_u32_e32 v6, v11, v3
; %bb.72:
	s_or_b64 exec, exec, s[16:17]
	s_and_b64 s[4:5], s[4:5], exec
	s_or_saveexec_b64 s[12:13], s[12:13]
	v_mov_b32_e32 v7, 0
	s_xor_b64 exec, exec, s[12:13]
	s_cbranch_execz .LBB4_42
.LBB4_73:
	s_movk_i32 s16, 0x108
	v_mad_u32_u24 v6, v18, s16, v11
	ds_read_b64 v[8:9], v6
	v_add_u32_e32 v6, 16, v1
	s_or_b64 s[4:5], s[4:5], exec
	s_waitcnt lgkmcnt(0)
	v_xor_b32_e32 v7, 0x80000000, v9
	ds_write_b32 v1, v8 offset:16
	s_or_b64 exec, exec, s[12:13]
	s_and_saveexec_b64 s[12:13], s[4:5]
	s_cbranch_execnz .LBB4_43
	s_branch .LBB4_44
.LBB4_74:
	v_cmp_eq_u32_e32 vcc, v19, v2
                                        ; implicit-def: $vgpr6
	s_and_saveexec_b64 s[30:31], vcc
; %bb.75:
	s_mov_b64 s[4:5], exec
	v_add_u32_e32 v6, v11, v3
; %bb.76:
	s_or_b64 exec, exec, s[30:31]
	s_and_b64 s[4:5], s[4:5], exec
                                        ; implicit-def: $vgpr1
	s_or_saveexec_b64 s[16:17], s[16:17]
	v_mov_b32_e32 v7, 0
	s_xor_b64 exec, exec, s[16:17]
	s_cbranch_execz .LBB4_46
.LBB4_77:
	s_movk_i32 s25, 0x108
	v_mad_u32_u24 v6, v19, s25, v11
	ds_read_b64 v[8:9], v6
	v_add_u32_e32 v6, 24, v1
	s_or_b64 s[4:5], s[4:5], exec
	s_waitcnt lgkmcnt(0)
	v_xor_b32_e32 v7, 0x80000000, v9
	ds_write_b32 v1, v8 offset:24
	s_or_b64 exec, exec, s[16:17]
	s_and_saveexec_b64 s[16:17], s[4:5]
	s_cbranch_execnz .LBB4_47
	s_branch .LBB4_48
.LBB4_78:
                                        ; implicit-def: $vgpr4_vgpr5
	s_cbranch_execz .LBB4_80
; %bb.79:
	s_lshl_b64 s[16:17], s[20:21], 6
	v_lshl_add_u64 v[4:5], v[8:9], 0, s[16:17]
	v_lshl_add_u64 v[26:27], v[4:5], 0, s[16:17]
	;; [unrolled: 1-line block ×3, first 2 shown]
	global_load_dwordx2 v[30:31], v[8:9], off offset:256
	global_load_dwordx2 v[32:33], v[4:5], off offset:256
	;; [unrolled: 1-line block ×4, first 2 shown]
	s_movk_i32 s16, 0x108
	v_mad_u32_u24 v1, v10, s16, v11
	v_mov_b64_e32 v[4:5], v[6:7]
	s_waitcnt vmcnt(3)
	ds_write_b64 v1, v[30:31]
	s_waitcnt vmcnt(2)
	ds_write_b64 v1, v[32:33] offset:2112
	s_waitcnt vmcnt(1)
	ds_write_b64 v1, v[34:35] offset:4224
	;; [unrolled: 2-line block ×3, first 2 shown]
.LBB4_80:
	v_mul_u32_u24_e32 v1, 0x420, v10
	s_mov_b64 s[16:17], 0
	s_waitcnt lgkmcnt(0)
	s_barrier
                                        ; implicit-def: $vgpr6
	s_and_saveexec_b64 s[30:31], s[6:7]
	s_xor_b64 s[6:7], exec, s[30:31]
	s_cbranch_execz .LBB4_84
; %bb.81:
	v_cmp_eq_u32_e32 vcc, v16, v2
                                        ; implicit-def: $vgpr6
	s_and_saveexec_b64 s[30:31], vcc
	s_xor_b64 s[30:31], exec, s[30:31]
; %bb.82:
	s_mov_b64 s[16:17], exec
	v_add_u32_e32 v6, v11, v3
; %bb.83:
	s_or_b64 exec, exec, s[30:31]
	s_and_b64 s[16:17], s[16:17], exec
.LBB4_84:
	s_or_saveexec_b64 s[6:7], s[6:7]
	v_mov_b32_e32 v7, 0
	v_add_u32_e32 v8, v11, v1
	v_lshl_add_u32 v1, v16, 3, v23
	s_xor_b64 exec, exec, s[6:7]
	s_cbranch_execz .LBB4_86
; %bb.85:
	ds_read_b64 v[6:7], v8
	s_or_b64 s[16:17], s[16:17], exec
	s_waitcnt lgkmcnt(0)
	v_xor_b32_e32 v7, 0x80000000, v7
	ds_write_b32 v1, v6
	v_mov_b32_e32 v6, v1
.LBB4_86:
	s_or_b64 exec, exec, s[6:7]
	v_mul_u32_u24_e32 v9, 0x108, v17
	s_and_saveexec_b64 s[6:7], s[16:17]
; %bb.87:
	ds_write_b32 v6, v7 offset:4
; %bb.88:
	s_or_b64 exec, exec, s[6:7]
	s_mov_b64 s[6:7], 0
	v_add_u32_e32 v9, v11, v9
                                        ; implicit-def: $vgpr7
                                        ; implicit-def: $vgpr6
	s_and_saveexec_b64 s[16:17], s[8:9]
	s_xor_b64 s[8:9], exec, s[16:17]
	s_cbranch_execnz .LBB4_118
; %bb.89:
	s_andn2_saveexec_b64 s[8:9], s[8:9]
	s_cbranch_execnz .LBB4_119
.LBB4_90:
	s_or_b64 exec, exec, s[8:9]
	s_and_saveexec_b64 s[8:9], s[6:7]
.LBB4_91:
	ds_write_b32 v6, v7 offset:4
.LBB4_92:
	s_or_b64 exec, exec, s[8:9]
	s_mov_b64 s[6:7], 0
                                        ; implicit-def: $vgpr6
	s_and_saveexec_b64 s[8:9], s[10:11]
	s_xor_b64 s[8:9], exec, s[8:9]
	s_cbranch_execnz .LBB4_122
; %bb.93:
	s_or_saveexec_b64 s[8:9], s[8:9]
	v_mov_b32_e32 v7, 0
	s_xor_b64 exec, exec, s[8:9]
	s_cbranch_execnz .LBB4_125
.LBB4_94:
	s_or_b64 exec, exec, s[8:9]
	s_and_saveexec_b64 s[8:9], s[6:7]
.LBB4_95:
	ds_write_b32 v6, v7 offset:4
.LBB4_96:
	s_or_b64 exec, exec, s[8:9]
	s_mov_b64 s[6:7], 0
                                        ; implicit-def: $vgpr6
	s_and_saveexec_b64 s[8:9], s[12:13]
	s_xor_b64 s[8:9], exec, s[8:9]
	s_cbranch_execnz .LBB4_126
; %bb.97:
	s_or_saveexec_b64 s[8:9], s[8:9]
	v_mov_b32_e32 v3, 0
	s_xor_b64 exec, exec, s[8:9]
	s_cbranch_execnz .LBB4_129
.LBB4_98:
	s_or_b64 exec, exec, s[8:9]
	v_add_u32_e32 v25, 0x2380, v20
	s_and_saveexec_b64 s[8:9], s[6:7]
.LBB4_99:
	ds_write_b32 v6, v3 offset:4
.LBB4_100:
	s_or_b64 exec, exec, s[8:9]
	s_waitcnt lgkmcnt(0)
	s_barrier
	ds_read_b64 v[6:7], v8
	ds_read_b128 v[16:19], v25 offset:256
	ds_read2_b64 v[26:29], v9 offset1:33
	ds_read_b64 v[20:21], v9 offset:528
	ds_read_b128 v[30:33], v25 offset:272
	v_cmp_eq_u32_e64 s[6:7], 1, v10
	s_waitcnt lgkmcnt(3)
	v_pk_mul_f32 v[34:35], v[16:17], v[6:7] op_sel:[1,1] op_sel_hi:[0,1]
	v_pk_fma_f32 v[36:37], v[16:17], v[6:7], v[34:35] neg_lo:[0,0,1] neg_hi:[0,0,1]
	v_pk_fma_f32 v[6:7], v[16:17], v[6:7], v[34:35] op_sel_hi:[1,0,1]
	s_waitcnt lgkmcnt(2)
	v_pk_mul_f32 v[16:17], v[18:19], v[26:27] op_sel:[1,1] op_sel_hi:[0,1]
	v_pk_fma_f32 v[34:35], v[18:19], v[26:27], v[16:17] neg_lo:[0,0,1] neg_hi:[0,0,1]
	v_pk_fma_f32 v[16:17], v[18:19], v[26:27], v[16:17] op_sel_hi:[1,0,1]
	v_mov_b32_e32 v37, v7
	v_mov_b32_e32 v35, v17
	s_waitcnt lgkmcnt(0)
	v_pk_mul_f32 v[16:17], v[30:31], v[28:29] op_sel:[1,1] op_sel_hi:[0,1]
	v_pk_add_f32 v[6:7], v[36:37], 0 op_sel_hi:[1,0]
	v_pk_fma_f32 v[18:19], v[30:31], v[28:29], v[16:17] neg_lo:[0,0,1] neg_hi:[0,0,1]
	v_pk_fma_f32 v[16:17], v[30:31], v[28:29], v[16:17] op_sel_hi:[1,0,1]
	v_pk_add_f32 v[6:7], v[6:7], v[34:35]
	v_mov_b32_e32 v19, v17
	v_pk_mul_f32 v[16:17], v[32:33], v[20:21] op_sel:[1,1] op_sel_hi:[0,1]
	v_pk_add_f32 v[6:7], v[6:7], v[18:19]
	v_pk_fma_f32 v[18:19], v[32:33], v[20:21], v[16:17] neg_lo:[0,0,1] neg_hi:[0,0,1]
	v_pk_fma_f32 v[16:17], v[32:33], v[20:21], v[16:17] op_sel_hi:[1,0,1]
	s_nop 0
	v_mov_b32_e32 v19, v17
	v_pk_add_f32 v[6:7], v[6:7], v[18:19]
	s_barrier
	ds_write_b64 v24, v[6:7]
	s_waitcnt lgkmcnt(0)
	s_barrier
	s_and_saveexec_b64 s[8:9], s[6:7]
	s_cbranch_execz .LBB4_102
; %bb.101:
	ds_read2_b64 v[16:19], v23 offset1:7
	ds_read2_b64 v[26:29], v23 offset0:1 offset1:2
	ds_read2_b64 v[30:33], v23 offset0:3 offset1:4
	s_waitcnt lgkmcnt(1)
	v_add_f32_e32 v1, v26, v16
	v_add_f32_e32 v3, v27, v17
	;; [unrolled: 1-line block ×4, first 2 shown]
	ds_read2_b64 v[26:29], v23 offset0:5 offset1:6
	s_waitcnt lgkmcnt(1)
	v_add_f32_e32 v1, v1, v30
	v_add_f32_e32 v3, v3, v31
	;; [unrolled: 1-line block ×4, first 2 shown]
	s_waitcnt lgkmcnt(0)
	v_add_f32_e32 v6, v1, v26
	v_add_f32_e32 v7, v3, v27
	v_pk_add_f32 v[6:7], v[6:7], v[28:29]
	s_nop 0
	v_pk_add_f32 v[50:51], v[6:7], v[18:19]
.LBB4_102:
	s_or_b64 exec, exec, s[8:9]
	s_movk_i32 s8, 0xff00
	s_mov_b32 s9, -1
	v_lshl_add_u64 v[6:7], v[4:5], 0, s[8:9]
	s_and_b64 vcc, exec, s[22:23]
	s_barrier
	s_cbranch_vccz .LBB4_130
; %bb.103:
	v_sub_co_u32_e32 v18, vcc, v4, v0
	s_ashr_i32 s25, s24, 31
	s_nop 0
	v_subbrev_co_u32_e32 v19, vcc, 0, v5, vcc
	s_movk_i32 s8, 0xfef8
	v_lshl_add_u64 v[18:19], s[24:25], 3, v[18:19]
	s_mov_b32 s9, -1
	v_mov_b32_e32 v16, 0
	v_lshl_add_u64 v[18:19], v[18:19], 0, s[8:9]
	v_cmp_gt_i32_e32 vcc, s24, v2
	s_sub_i32 s12, s24, 32
	v_cmp_gt_i32_e64 s[8:9], s12, v10
	v_cndmask_b32_e32 v3, v19, v7, vcc
	v_cndmask_b32_e32 v2, v18, v6, vcc
	v_mov_b32_e32 v17, v16
	s_and_saveexec_b64 s[10:11], s[8:9]
	s_cbranch_execz .LBB4_105
; %bb.104:
	global_load_dwordx2 v[16:17], v[2:3], off
.LBB4_105:
	s_or_b64 exec, exec, s[10:11]
	s_movk_i32 s8, 0x108
	v_mad_u32_u24 v18, v10, s8, v11
	v_mul_u32_u24_e32 v1, 0x108, v10
	s_waitcnt vmcnt(0)
	ds_write_b64 v18, v[16:17]
	v_add_u32_e32 v18, 8, v10
	v_cmp_le_i32_e64 s[8:9], s12, v18
	v_add_u32_e32 v1, v1, v11
	s_and_saveexec_b64 s[10:11], s[8:9]
	s_xor_b64 s[8:9], exec, s[10:11]
; %bb.106:
	v_mov_b32_e32 v16, 0
	v_mov_b32_e32 v17, v16
	ds_write_b64 v1, v[16:17] offset:2112
; %bb.107:
	s_andn2_saveexec_b64 s[8:9], s[8:9]
	s_cbranch_execz .LBB4_109
; %bb.108:
	s_lshl_b64 s[10:11], s[20:21], 6
	v_lshl_add_u64 v[16:17], v[2:3], 0, s[10:11]
	global_load_dwordx2 v[16:17], v[16:17], off
	s_waitcnt vmcnt(0)
	ds_write_b64 v1, v[16:17] offset:2112
.LBB4_109:
	s_or_b64 exec, exec, s[8:9]
	v_add_u32_e32 v19, 16, v10
	v_cmp_le_i32_e64 s[8:9], s12, v19
	s_and_saveexec_b64 s[10:11], s[8:9]
	s_xor_b64 s[8:9], exec, s[10:11]
; %bb.110:
	v_mov_b32_e32 v16, 0
	v_mov_b32_e32 v17, v16
	ds_write_b64 v1, v[16:17] offset:4224
; %bb.111:
	s_andn2_saveexec_b64 s[8:9], s[8:9]
	s_cbranch_execz .LBB4_113
; %bb.112:
	s_lshl_b64 s[10:11], s[20:21], 7
	v_lshl_add_u64 v[16:17], v[2:3], 0, s[10:11]
	global_load_dwordx2 v[16:17], v[16:17], off
	s_waitcnt vmcnt(0)
	ds_write_b64 v1, v[16:17] offset:4224
.LBB4_113:
	s_or_b64 exec, exec, s[8:9]
	v_add_u32_e32 v20, 24, v10
	v_cmp_le_i32_e64 s[8:9], s12, v20
	s_and_saveexec_b64 s[10:11], s[8:9]
	s_xor_b64 s[8:9], exec, s[10:11]
; %bb.114:
	v_mov_b32_e32 v16, 0
	v_mov_b32_e32 v17, v16
	ds_write_b64 v1, v[16:17] offset:6336
                                        ; implicit-def: $vgpr1
; %bb.115:
	s_andn2_saveexec_b64 s[8:9], s[8:9]
	s_cbranch_execz .LBB4_117
; %bb.116:
	v_mov_b32_e32 v16, 0xc0
	v_mad_u64_u32 v[16:17], s[10:11], s20, v16, v[2:3]
	s_mul_i32 s10, s21, 0xc0
	s_nop 0
	v_add_u32_e32 v17, s10, v17
	global_load_dwordx2 v[16:17], v[16:17], off
	s_waitcnt vmcnt(0)
	ds_write_b64 v1, v[16:17] offset:6336
.LBB4_117:
	s_or_b64 exec, exec, s[8:9]
	v_mov_b32_e32 v1, 0
	v_lshl_add_u64 v[0:1], v[2:3], 0, v[0:1]
	s_lshl_b64 s[8:9], s[24:25], 3
	v_mov_b32_e32 v2, s9
	v_subrev_co_u32_e64 v0, s[8:9], s8, v0
	s_nop 1
	v_subb_co_u32_e64 v1, s[8:9], v1, v2, s[8:9]
	v_lshl_add_u64 v[0:1], v[0:1], 0, 8
	v_cndmask_b32_e32 v17, v1, v7, vcc
	v_cndmask_b32_e32 v16, v0, v6, vcc
	s_branch .LBB4_132
.LBB4_118:
	ds_read_b64 v[16:17], v9
	s_mov_b64 s[6:7], exec
	v_add_u32_e32 v6, 8, v1
	s_waitcnt lgkmcnt(0)
	v_xor_b32_e32 v7, 0x80000000, v17
	ds_write_b32 v1, v16 offset:8
                                        ; implicit-def: $vgpr17
	s_andn2_saveexec_b64 s[8:9], s[8:9]
	s_cbranch_execz .LBB4_90
.LBB4_119:
	v_cmp_eq_u32_e32 vcc, v17, v2
	s_mov_b64 s[16:17], s[6:7]
                                        ; implicit-def: $vgpr6
	s_and_saveexec_b64 s[30:31], vcc
; %bb.120:
	v_add_u32_e32 v6, v11, v3
	s_or_b64 s[16:17], s[6:7], exec
; %bb.121:
	s_or_b64 exec, exec, s[30:31]
	s_andn2_b64 s[6:7], s[6:7], exec
	s_and_b64 s[16:17], s[16:17], exec
	v_mov_b32_e32 v7, 0
	s_or_b64 s[6:7], s[6:7], s[16:17]
	s_or_b64 exec, exec, s[8:9]
	s_and_saveexec_b64 s[8:9], s[6:7]
	s_cbranch_execnz .LBB4_91
	s_branch .LBB4_92
.LBB4_122:
	v_cmp_eq_u32_e32 vcc, v18, v2
                                        ; implicit-def: $vgpr6
	s_and_saveexec_b64 s[10:11], vcc
; %bb.123:
	s_mov_b64 s[6:7], exec
	v_add_u32_e32 v6, v11, v3
; %bb.124:
	s_or_b64 exec, exec, s[10:11]
	s_and_b64 s[6:7], s[6:7], exec
	s_or_saveexec_b64 s[8:9], s[8:9]
	v_mov_b32_e32 v7, 0
	s_xor_b64 exec, exec, s[8:9]
	s_cbranch_execz .LBB4_94
.LBB4_125:
	ds_read_b64 v[16:17], v9 offset:264
	v_add_u32_e32 v6, 16, v1
	s_or_b64 s[6:7], s[6:7], exec
	s_waitcnt lgkmcnt(0)
	v_xor_b32_e32 v7, 0x80000000, v17
	ds_write_b32 v1, v16 offset:16
	s_or_b64 exec, exec, s[8:9]
	s_and_saveexec_b64 s[8:9], s[6:7]
	s_cbranch_execnz .LBB4_95
	s_branch .LBB4_96
.LBB4_126:
	v_cmp_eq_u32_e32 vcc, v19, v2
                                        ; implicit-def: $vgpr6
	s_and_saveexec_b64 s[10:11], vcc
; %bb.127:
	s_mov_b64 s[6:7], exec
	v_add_u32_e32 v6, v11, v3
; %bb.128:
	s_or_b64 exec, exec, s[10:11]
	s_and_b64 s[6:7], s[6:7], exec
                                        ; implicit-def: $vgpr1
	s_or_saveexec_b64 s[8:9], s[8:9]
	v_mov_b32_e32 v3, 0
	s_xor_b64 exec, exec, s[8:9]
	s_cbranch_execz .LBB4_98
.LBB4_129:
	ds_read_b64 v[16:17], v9 offset:528
	v_add_u32_e32 v6, 24, v1
	s_or_b64 s[6:7], s[6:7], exec
	s_waitcnt lgkmcnt(0)
	v_xor_b32_e32 v3, 0x80000000, v17
	ds_write_b32 v1, v16 offset:24
	s_or_b64 exec, exec, s[8:9]
	v_add_u32_e32 v25, 0x2380, v20
	s_and_saveexec_b64 s[8:9], s[6:7]
	s_cbranch_execnz .LBB4_99
	s_branch .LBB4_100
.LBB4_130:
                                        ; implicit-def: $vgpr16_vgpr17
                                        ; implicit-def: $vgpr18
                                        ; implicit-def: $vgpr19
                                        ; implicit-def: $vgpr20
	s_cbranch_execz .LBB4_132
; %bb.131:
	s_lshl_b64 s[8:9], s[20:21], 6
	v_lshl_add_u64 v[0:1], v[4:5], 0, s[8:9]
	v_lshl_add_u64 v[2:3], v[0:1], 0, s[8:9]
	;; [unrolled: 1-line block ×3, first 2 shown]
	global_load_dwordx2 v[26:27], v[4:5], off offset:-256
	global_load_dwordx2 v[28:29], v[0:1], off offset:-256
	;; [unrolled: 1-line block ×4, first 2 shown]
	s_movk_i32 s8, 0x108
	v_add_u32_e32 v18, 8, v10
	v_add_u32_e32 v19, 16, v10
	;; [unrolled: 1-line block ×3, first 2 shown]
	v_mad_u32_u24 v0, v10, s8, v11
	v_mov_b64_e32 v[16:17], v[6:7]
	s_waitcnt vmcnt(3)
	ds_write_b64 v0, v[26:27]
	s_waitcnt vmcnt(2)
	ds_write_b64 v0, v[28:29] offset:2112
	s_waitcnt vmcnt(1)
	ds_write_b64 v0, v[30:31] offset:4224
	;; [unrolled: 2-line block ×3, first 2 shown]
.LBB4_132:
	v_lshlrev_b32_e32 v4, 3, v10
	v_lshlrev_b32_e32 v6, 3, v18
	v_lshlrev_b32_e32 v10, 3, v19
	v_lshlrev_b32_e32 v38, 3, v20
	v_add_u32_e32 v5, v23, v4
	v_add_u32_e32 v7, v23, v6
	;; [unrolled: 1-line block ×4, first 2 shown]
	s_waitcnt lgkmcnt(0)
	s_barrier
	ds_read2_b64 v[0:3], v9 offset1:33
	ds_read_b64 v[20:21], v8
	ds_read_b64 v[18:19], v9 offset:528
	ds_read_b64 v[26:27], v5
	ds_read_b64 v[28:29], v7
	ds_read_b64 v[30:31], v6 offset:9088
	ds_read_b64 v[32:33], v4 offset:9088
	ds_read_b64 v[34:35], v11
	ds_read_b64 v[36:37], v36
	ds_read_b64 v[38:39], v38 offset:9088
	ds_read_b64 v[40:41], v10 offset:9088
	ds_read_b128 v[8:11], v25 offset:256
	ds_read_b128 v[4:7], v25 offset:272
	s_waitcnt lgkmcnt(6)
	v_pk_mul_f32 v[42:43], v[26:27], v[32:33] op_sel:[1,1] op_sel_hi:[1,0]
	v_pk_mul_f32 v[44:45], v[28:29], v[30:31] op_sel:[1,1] op_sel_hi:[1,0]
	v_pk_fma_f32 v[54:55], v[26:27], v[32:33], v[42:43]
	v_pk_fma_f32 v[26:27], v[26:27], v[32:33], v[42:43] op_sel_hi:[0,1,1] neg_lo:[0,0,1] neg_hi:[0,0,1]
	s_waitcnt lgkmcnt(2)
	v_pk_mul_f32 v[46:47], v[34:35], v[40:41] op_sel:[1,1] op_sel_hi:[1,0]
	v_mov_b32_e32 v55, v27
	v_pk_fma_f32 v[32:33], v[28:29], v[30:31], v[44:45]
	v_pk_fma_f32 v[28:29], v[28:29], v[30:31], v[44:45] op_sel_hi:[0,1,1] neg_lo:[0,0,1] neg_hi:[0,0,1]
	v_pk_add_f32 v[26:27], v[54:55], 0 op_sel_hi:[1,0]
	v_mov_b32_e32 v33, v29
	v_pk_fma_f32 v[28:29], v[34:35], v[40:41], v[46:47]
	v_pk_fma_f32 v[30:31], v[34:35], v[40:41], v[46:47] op_sel_hi:[0,1,1] neg_lo:[0,0,1] neg_hi:[0,0,1]
	v_pk_mul_f32 v[52:53], v[36:37], v[38:39] op_sel:[1,1] op_sel_hi:[1,0]
	v_pk_add_f32 v[26:27], v[26:27], v[32:33]
	v_mov_b32_e32 v29, v31
	v_pk_add_f32 v[26:27], v[26:27], v[28:29]
	v_pk_fma_f32 v[28:29], v[36:37], v[38:39], v[52:53]
	v_pk_fma_f32 v[30:31], v[36:37], v[38:39], v[52:53] op_sel_hi:[0,1,1] neg_lo:[0,0,1] neg_hi:[0,0,1]
	v_mov_b32_e32 v29, v31
	v_pk_add_f32 v[26:27], v[26:27], v[28:29]
	s_waitcnt lgkmcnt(0)
	s_barrier
	ds_write_b64 v24, v[26:27]
	s_waitcnt lgkmcnt(0)
	s_barrier
	s_and_saveexec_b64 s[8:9], s[6:7]
	s_cbranch_execz .LBB4_134
; %bb.133:
	ds_read2_b64 v[26:29], v23 offset1:1
	ds_read2_b64 v[30:33], v23 offset0:2 offset1:3
	ds_read2_b64 v[34:37], v23 offset0:4 offset1:5
	s_waitcnt lgkmcnt(2)
	v_pk_add_f32 v[26:27], v[50:51], v[26:27]
	s_nop 0
	v_pk_add_f32 v[38:39], v[26:27], v[28:29]
	ds_read2_b64 v[26:29], v23 offset0:6 offset1:7
	s_waitcnt lgkmcnt(2)
	v_pk_add_f32 v[30:31], v[38:39], v[30:31]
	s_nop 0
	v_pk_add_f32 v[30:31], v[30:31], v[32:33]
	s_waitcnt lgkmcnt(1)
	v_pk_add_f32 v[30:31], v[30:31], v[34:35]
	s_nop 0
	v_pk_add_f32 v[30:31], v[30:31], v[36:37]
	;; [unrolled: 4-line block ×3, first 2 shown]
.LBB4_134:
	s_or_b64 exec, exec, s[8:9]
	v_pk_mul_f32 v[26:27], v[8:9], v[20:21] op_sel:[1,1] op_sel_hi:[0,1]
	v_pk_fma_f32 v[28:29], v[8:9], v[20:21], v[26:27] neg_lo:[0,0,1] neg_hi:[0,0,1]
	v_pk_fma_f32 v[8:9], v[8:9], v[20:21], v[26:27] op_sel_hi:[1,0,1]
	v_pk_mul_f32 v[20:21], v[10:11], v[0:1] op_sel:[1,1] op_sel_hi:[0,1]
	v_mov_b32_e32 v29, v9
	v_pk_fma_f32 v[26:27], v[10:11], v[0:1], v[20:21] neg_lo:[0,0,1] neg_hi:[0,0,1]
	v_pk_fma_f32 v[0:1], v[10:11], v[0:1], v[20:21] op_sel_hi:[1,0,1]
	v_pk_add_f32 v[8:9], v[28:29], 0 op_sel_hi:[1,0]
	v_mov_b32_e32 v27, v1
	v_pk_add_f32 v[0:1], v[8:9], v[26:27]
	v_pk_mul_f32 v[8:9], v[4:5], v[2:3] op_sel:[1,1] op_sel_hi:[0,1]
	v_pk_fma_f32 v[10:11], v[4:5], v[2:3], v[8:9] neg_lo:[0,0,1] neg_hi:[0,0,1]
	v_pk_fma_f32 v[2:3], v[4:5], v[2:3], v[8:9] op_sel_hi:[1,0,1]
	s_nop 0
	v_mov_b32_e32 v11, v3
	v_pk_mul_f32 v[2:3], v[6:7], v[18:19] op_sel:[1,1] op_sel_hi:[0,1]
	v_pk_fma_f32 v[4:5], v[6:7], v[18:19], v[2:3] neg_lo:[0,0,1] neg_hi:[0,0,1]
	v_pk_fma_f32 v[2:3], v[6:7], v[18:19], v[2:3] op_sel_hi:[1,0,1]
	v_pk_add_f32 v[0:1], v[0:1], v[10:11]
	v_mov_b32_e32 v5, v3
	v_pk_add_f32 v[0:1], v[0:1], v[4:5]
	s_barrier
	ds_write_b64 v24, v[0:1]
	s_waitcnt lgkmcnt(0)
	s_barrier
	s_and_saveexec_b64 s[6:7], s[4:5]
	s_cbranch_execz .LBB4_136
; %bb.135:
	ds_read2_b64 v[0:3], v23 offset1:1
	ds_read2_b64 v[4:7], v23 offset0:2 offset1:3
	ds_read2_b64 v[8:11], v23 offset0:4 offset1:5
	s_waitcnt lgkmcnt(2)
	v_pk_add_f32 v[0:1], v[50:51], v[0:1]
	s_nop 0
	v_pk_add_f32 v[18:19], v[0:1], v[2:3]
	ds_read2_b64 v[0:3], v23 offset0:6 offset1:7
	s_waitcnt lgkmcnt(2)
	v_pk_add_f32 v[4:5], v[18:19], v[4:5]
	s_nop 0
	v_pk_add_f32 v[4:5], v[4:5], v[6:7]
	s_waitcnt lgkmcnt(1)
	v_pk_add_f32 v[4:5], v[4:5], v[8:9]
	s_nop 0
	v_pk_add_f32 v[4:5], v[4:5], v[10:11]
	;; [unrolled: 4-line block ×3, first 2 shown]
.LBB4_136:
	s_or_b64 exec, exec, s[6:7]
	s_load_dwordx2 s[0:1], s[0:1], 0x68
	s_mul_hi_u32 s4, s35, s3
	s_mul_i32 s36, s36, s3
	s_add_i32 s4, s4, s36
	s_mul_i32 s3, s35, s3
	s_mul_i32 s4, s4, s33
	s_mul_hi_u32 s5, s3, s33
	s_add_i32 s5, s5, s4
	s_mul_i32 s4, s3, s33
	s_lshl_b64 s[4:5], s[4:5], 3
	s_waitcnt lgkmcnt(0)
	s_add_u32 s3, s0, s4
	s_addc_u32 s4, s1, s5
	s_mul_hi_i32 s1, s35, s2
	s_mul_i32 s0, s35, s2
	s_lshl_b64 s[0:1], s[0:1], 3
	s_add_u32 s6, s3, s0
	s_addc_u32 s7, s4, s1
	s_add_i32 s0, s2, 1
	s_cmp_ge_u32 s0, s33
	v_lshlrev_b32_e32 v52, 3, v122
	s_barrier
	s_cbranch_scc1 .LBB4_194
; %bb.137:
	s_mul_i32 s0, s28, s27
	s_mul_hi_u32 s1, s28, s26
	s_add_i32 s0, s1, s0
	s_mul_i32 s1, s29, s26
	s_add_i32 s1, s0, s1
	s_mul_i32 s0, s28, s26
	s_lshl_b64 s[0:1], s[0:1], 3
	v_mov_b32_e32 v0, s1
	v_subrev_co_u32_e32 v54, vcc, s0, v12
	v_and_b32_e32 v1, 15, v122
	s_nop 0
	v_subb_co_u32_e32 v55, vcc, v13, v0, vcc
	v_lshrrev_b32_e32 v0, 4, v22
	v_lshlrev_b32_e32 v2, 5, v0
	v_mul_i32_i24_e32 v38, 0xffffffe8, v0
	v_and_b32_e32 v0, 48, v122
	v_lshlrev_b32_e32 v36, 5, v123
	s_movk_i32 s4, 0x218
	v_lshlrev_b32_e32 v0, 3, v0
	v_mad_u32_u24 v130, v1, s4, v0
	v_or_b32_e32 v0, 0x78, v52
	v_add_u32_e32 v3, 0x100, v36
	v_mad_u32_u24 v129, v1, s4, v2
	v_mad_u32_u24 v131, v1, s4, v0
	v_mad_u64_u32 v[0:1], s[4:5], s20, v3, 0
	v_mov_b32_e32 v2, v1
	v_lshlrev_b64 v[4:5], 3, v[14:15]
	v_mad_u64_u32 v[2:3], s[4:5], s21, v3, v[2:3]
	v_sub_co_u32_e32 v0, vcc, v0, v4
	v_add_u32_e32 v7, 0x110, v36
	s_nop 0
	v_subb_co_u32_e32 v1, vcc, v2, v5, vcc
	v_mad_u64_u32 v[2:3], s[4:5], s20, v7, 0
	v_mov_b32_e32 v6, v3
	v_mad_u64_u32 v[6:7], s[4:5], s21, v7, v[6:7]
	v_sub_co_u32_e32 v2, vcc, v2, v4
	v_add_u32_e32 v9, 0x108, v36
	s_nop 0
	v_subb_co_u32_e32 v3, vcc, v6, v5, vcc
	v_mad_u64_u32 v[6:7], s[4:5], s20, v9, 0
	v_mov_b32_e32 v8, v7
	;; [unrolled: 7-line block ×7, first 2 shown]
	v_mad_u64_u32 v[20:21], s[4:5], s21, v21, v[20:21]
	v_sub_co_u32_e32 v18, vcc, v18, v4
	v_add_u32_e32 v23, 0x200, v36
	s_movk_i32 s0, 0x860
	v_subb_co_u32_e32 v19, vcc, v20, v5, vcc
	v_mad_u64_u32 v[20:21], s[4:5], s20, v23, 0
	v_mad_u32_u24 v128, v123, s0, v52
	v_cmp_gt_u32_e64 s[0:1], 64, v22
	v_mov_b32_e32 v22, v21
	v_mad_u64_u32 v[22:23], s[4:5], s21, v23, v[22:23]
	v_sub_co_u32_e32 v20, vcc, v20, v4
	v_add_u32_e32 v25, 0x208, v36
	s_nop 0
	v_subb_co_u32_e32 v21, vcc, v22, v5, vcc
	v_mad_u64_u32 v[22:23], s[4:5], s20, v25, 0
	v_mov_b32_e32 v24, v23
	v_mad_u64_u32 v[24:25], s[4:5], s21, v25, v[24:25]
	v_sub_co_u32_e32 v22, vcc, v22, v4
	v_add_u32_e32 v27, 0x210, v36
	s_nop 0
	v_subb_co_u32_e32 v23, vcc, v24, v5, vcc
	v_mad_u64_u32 v[24:25], s[4:5], s20, v27, 0
	;; [unrolled: 7-line block ×7, first 2 shown]
	v_add_u32_e32 v126, 0x2180, v36
	v_mov_b32_e32 v36, v35
	v_mad_u64_u32 v[36:37], s[4:5], s21, v37, v[36:37]
	v_sub_co_u32_e32 v4, vcc, v34, v4
	v_lshlrev_b32_e32 v124, 2, v123
	s_nop 0
	v_subb_co_u32_e32 v5, vcc, v36, v5, vcc
	v_mov_b32_e32 v148, 0
	s_add_i32 s3, s33, -2
	v_add_u32_e32 v125, 0x2180, v52
	v_add_u32_e32 v127, 0x2380, v52
	v_or_b32_e32 v132, 1, v124
	v_or_b32_e32 v133, 2, v124
	;; [unrolled: 1-line block ×3, first 2 shown]
	v_add_u32_e32 v135, 16, v124
	v_add_u32_e32 v136, 17, v124
	;; [unrolled: 1-line block ×8, first 2 shown]
	s_add_i32 s22, s26, 64
	v_mov_b32_e32 v53, v148
	v_lshl_add_u64 v[56:57], v[16:17], 0, v[0:1]
	s_lshl_b64 s[8:9], s[20:21], 9
	v_lshl_add_u64 v[58:59], v[16:17], 0, v[2:3]
	v_lshl_add_u64 v[60:61], v[16:17], 0, v[6:7]
	;; [unrolled: 1-line block ×15, first 2 shown]
	v_add_u32_e32 v143, v129, v38
	v_mov_b32_e32 v88, 0
	v_mov_b32_e32 v89, v148
	v_add_u32_e32 v144, 48, v124
	v_add_u32_e32 v145, 49, v124
	;; [unrolled: 1-line block ×4, first 2 shown]
	s_cmp_eq_u32 s3, s2
	s_cselect_b32 s20, s34, 0
	s_and_saveexec_b64 s[4:5], s[14:15]
	s_cbranch_execz .LBB4_142
.LBB4_138:
	s_cmp_lg_u32 s20, 0
	s_cselect_b64 s[10:11], -1, 0
	v_cmp_le_i32_e32 vcc, s20, v122
	s_and_b64 s[10:11], s[10:11], vcc
	s_and_saveexec_b64 s[12:13], s[10:11]
	s_xor_b64 s[10:11], exec, s[12:13]
; %bb.139:
	ds_write_b64 v125, v[88:89]
; %bb.140:
	s_andn2_saveexec_b64 s[10:11], s[10:11]
	s_cbranch_execz .LBB4_142
; %bb.141:
	s_ashr_i32 s10, s22, 31
	s_mul_hi_u32 s11, s28, s22
	s_mul_i32 s10, s28, s10
	s_add_i32 s10, s11, s10
	s_mul_i32 s11, s29, s22
	s_add_i32 s11, s10, s11
	s_mul_i32 s10, s28, s22
	v_lshl_add_u64 v[0:1], s[10:11], 3, v[54:55]
	global_load_dwordx2 v[0:1], v[0:1], off
	s_waitcnt vmcnt(0)
	ds_write_b64 v125, v[0:1]
.LBB4_142:                              ; =>This Inner Loop Header: Depth=1
	s_or_b64 exec, exec, s[4:5]
	s_cmp_eq_u32 s20, 0
	s_cselect_b64 s[10:11], -1, 0
	s_cmp_lg_u32 s20, 0
	s_cselect_b64 s[12:13], -1, 0
	v_lshl_add_u64 v[0:1], v[56:57], 0, v[52:53]
	s_and_b64 vcc, exec, s[12:13]
	s_waitcnt lgkmcnt(0)
	s_barrier
	s_cbranch_vccz .LBB4_150
; %bb.143:                              ;   in Loop: Header=BB4_142 Depth=1
	v_mov_b32_e32 v90, 0
	v_mov_b32_e32 v91, v148
	v_cmp_gt_i32_e32 vcc, s20, v124
	v_mov_b64_e32 v[92:93], v[90:91]
	s_and_saveexec_b64 s[4:5], vcc
	s_cbranch_execz .LBB4_145
; %bb.144:                              ;   in Loop: Header=BB4_142 Depth=1
	global_load_dwordx2 v[92:93], v[0:1], off
.LBB4_145:                              ;   in Loop: Header=BB4_142 Depth=1
	s_or_b64 exec, exec, s[4:5]
	v_cmp_gt_i32_e32 vcc, s20, v132
	s_and_saveexec_b64 s[4:5], vcc
	s_cbranch_execz .LBB4_147
; %bb.146:                              ;   in Loop: Header=BB4_142 Depth=1
	v_lshl_add_u64 v[2:3], v[60:61], 0, v[52:53]
	global_load_dwordx2 v[90:91], v[2:3], off
.LBB4_147:                              ;   in Loop: Header=BB4_142 Depth=1
	s_or_b64 exec, exec, s[4:5]
	v_mov_b32_e32 v149, v148
	v_cmp_gt_i32_e32 vcc, s20, v133
	v_mov_b64_e32 v[94:95], v[148:149]
	s_and_saveexec_b64 s[4:5], vcc
	s_cbranch_execz .LBB4_149
; %bb.148:                              ;   in Loop: Header=BB4_142 Depth=1
	v_lshl_add_u64 v[2:3], v[58:59], 0, v[52:53]
	global_load_dwordx2 v[94:95], v[2:3], off
.LBB4_149:                              ;   in Loop: Header=BB4_142 Depth=1
	s_or_b64 exec, exec, s[4:5]
	v_cmp_gt_i32_e64 s[4:5], s20, v134
	s_branch .LBB4_152
.LBB4_150:                              ;   in Loop: Header=BB4_142 Depth=1
	s_mov_b64 s[4:5], 0
                                        ; implicit-def: $vgpr94_vgpr95
                                        ; implicit-def: $vgpr90_vgpr91
                                        ; implicit-def: $vgpr92_vgpr93
	s_cbranch_execz .LBB4_152
; %bb.151:                              ;   in Loop: Header=BB4_142 Depth=1
	global_load_dwordx2 v[92:93], v[0:1], off
	v_lshl_add_u64 v[0:1], v[60:61], 0, v[52:53]
	global_load_dwordx2 v[90:91], v[0:1], off
	v_lshl_add_u64 v[0:1], v[58:59], 0, v[52:53]
	global_load_dwordx2 v[94:95], v[0:1], off
	s_or_b64 s[4:5], s[4:5], exec
.LBB4_152:                              ;   in Loop: Header=BB4_142 Depth=1
	v_mov_b32_e32 v96, 0
	v_mov_b32_e32 v97, 0
	s_and_saveexec_b64 s[16:17], s[4:5]
	s_cbranch_execz .LBB4_154
; %bb.153:                              ;   in Loop: Header=BB4_142 Depth=1
	v_lshl_add_u64 v[0:1], v[62:63], 0, v[52:53]
	global_load_dwordx2 v[96:97], v[0:1], off
.LBB4_154:                              ;   in Loop: Header=BB4_142 Depth=1
	s_or_b64 exec, exec, s[16:17]
	ds_read_b64 v[0:1], v127
	s_andn2_b64 vcc, exec, s[12:13]
	s_waitcnt vmcnt(0) lgkmcnt(0)
	v_pk_mul_f32 v[2:3], v[92:93], v[0:1] op_sel:[1,0]
	v_pk_mul_f32 v[4:5], v[90:91], v[0:1] op_sel:[1,0]
	v_pk_fma_f32 v[6:7], v[92:93], v[0:1], v[2:3] op_sel:[0,0,1] op_sel_hi:[1,1,0]
	v_pk_fma_f32 v[2:3], v[92:93], v[0:1], v[2:3] op_sel:[0,0,1] op_sel_hi:[0,1,0] neg_lo:[0,0,1] neg_hi:[0,0,1]
	v_pk_fma_f32 v[8:9], v[90:91], v[0:1], v[4:5] op_sel:[0,0,1] op_sel_hi:[1,1,0]
	v_pk_fma_f32 v[4:5], v[90:91], v[0:1], v[4:5] op_sel:[0,0,1] op_sel_hi:[0,1,0] neg_lo:[0,0,1] neg_hi:[0,0,1]
	v_mov_b32_e32 v7, v3
	v_pk_mul_f32 v[2:3], v[94:95], v[0:1] op_sel:[1,0]
	v_mov_b32_e32 v9, v5
	v_pk_fma_f32 v[4:5], v[94:95], v[0:1], v[2:3] op_sel:[0,0,1] op_sel_hi:[1,1,0]
	v_pk_fma_f32 v[2:3], v[94:95], v[0:1], v[2:3] op_sel:[0,0,1] op_sel_hi:[0,1,0] neg_lo:[0,0,1] neg_hi:[0,0,1]
	v_mov_b32_e32 v5, v3
	v_pk_mul_f32 v[2:3], v[96:97], v[0:1] op_sel:[1,0]
	ds_write2_b64 v128, v[6:7], v[8:9] offset1:67
	v_pk_fma_f32 v[6:7], v[96:97], v[0:1], v[2:3] op_sel:[0,0,1] op_sel_hi:[1,1,0]
	v_pk_fma_f32 v[0:1], v[96:97], v[0:1], v[2:3] op_sel:[0,0,1] op_sel_hi:[0,1,0] neg_lo:[0,0,1] neg_hi:[0,0,1]
	v_mov_b32_e32 v7, v1
	ds_write2_b64 v128, v[4:5], v[6:7] offset0:134 offset1:201
	ds_read_b128 v[4:7], v126
	ds_read_b128 v[0:3], v126 offset:16
	s_waitcnt lgkmcnt(0)
	s_barrier
	ds_read2_b64 v[20:23], v129 offset1:1
	ds_read2_b64 v[16:19], v129 offset0:2 offset1:3
	v_cndmask_b32_e64 v8, 0, 1, s[12:13]
	v_cmp_ne_u32_e64 s[4:5], 1, v8
	v_lshl_add_u64 v[8:9], v[64:65], 0, v[52:53]
	s_waitcnt lgkmcnt(0)
	s_barrier
	s_cbranch_vccnz .LBB4_162
; %bb.155:                              ;   in Loop: Header=BB4_142 Depth=1
	v_mov_b32_e32 v98, 0
	v_mov_b32_e32 v99, v148
	v_cmp_gt_i32_e32 vcc, s20, v135
	v_mov_b64_e32 v[100:101], v[98:99]
	s_and_saveexec_b64 s[12:13], vcc
	s_cbranch_execz .LBB4_157
; %bb.156:                              ;   in Loop: Header=BB4_142 Depth=1
	global_load_dwordx2 v[100:101], v[8:9], off
.LBB4_157:                              ;   in Loop: Header=BB4_142 Depth=1
	s_or_b64 exec, exec, s[12:13]
	v_cmp_gt_i32_e32 vcc, s20, v136
	s_and_saveexec_b64 s[12:13], vcc
	s_cbranch_execz .LBB4_159
; %bb.158:                              ;   in Loop: Header=BB4_142 Depth=1
	v_lshl_add_u64 v[10:11], v[66:67], 0, v[52:53]
	global_load_dwordx2 v[98:99], v[10:11], off
.LBB4_159:                              ;   in Loop: Header=BB4_142 Depth=1
	s_or_b64 exec, exec, s[12:13]
	v_mov_b32_e32 v149, v148
	v_cmp_gt_i32_e32 vcc, s20, v137
	v_mov_b64_e32 v[102:103], v[148:149]
	s_and_saveexec_b64 s[12:13], vcc
	s_cbranch_execz .LBB4_161
; %bb.160:                              ;   in Loop: Header=BB4_142 Depth=1
	v_lshl_add_u64 v[10:11], v[68:69], 0, v[52:53]
	global_load_dwordx2 v[102:103], v[10:11], off
.LBB4_161:                              ;   in Loop: Header=BB4_142 Depth=1
	s_or_b64 exec, exec, s[12:13]
	v_cmp_gt_i32_e64 s[12:13], s20, v138
	s_branch .LBB4_164
.LBB4_162:                              ;   in Loop: Header=BB4_142 Depth=1
	s_mov_b64 s[12:13], 0
                                        ; implicit-def: $vgpr102_vgpr103
                                        ; implicit-def: $vgpr98_vgpr99
                                        ; implicit-def: $vgpr100_vgpr101
	s_cbranch_execz .LBB4_164
; %bb.163:                              ;   in Loop: Header=BB4_142 Depth=1
	global_load_dwordx2 v[100:101], v[8:9], off
	v_lshl_add_u64 v[8:9], v[66:67], 0, v[52:53]
	global_load_dwordx2 v[98:99], v[8:9], off
	v_lshl_add_u64 v[8:9], v[68:69], 0, v[52:53]
	global_load_dwordx2 v[102:103], v[8:9], off
	s_or_b64 s[12:13], s[12:13], exec
.LBB4_164:                              ;   in Loop: Header=BB4_142 Depth=1
	v_mov_b32_e32 v104, 0
	v_mov_b32_e32 v105, 0
	s_and_saveexec_b64 s[16:17], s[12:13]
	s_cbranch_execz .LBB4_166
; %bb.165:                              ;   in Loop: Header=BB4_142 Depth=1
	v_lshl_add_u64 v[8:9], v[70:71], 0, v[52:53]
	global_load_dwordx2 v[104:105], v[8:9], off
.LBB4_166:                              ;   in Loop: Header=BB4_142 Depth=1
	s_or_b64 exec, exec, s[16:17]
	ds_read_b64 v[24:25], v127
	ds_read_b128 v[12:15], v126 offset:128
	ds_read_b128 v[8:11], v126 offset:144
	s_and_b64 vcc, exec, s[4:5]
	s_waitcnt vmcnt(0) lgkmcnt(2)
	v_pk_mul_f32 v[26:27], v[100:101], v[24:25] op_sel:[1,1] op_sel_hi:[1,0]
	v_pk_mul_f32 v[28:29], v[98:99], v[24:25] op_sel:[1,1] op_sel_hi:[1,0]
	v_pk_fma_f32 v[30:31], v[100:101], v[24:25], v[26:27]
	v_pk_fma_f32 v[26:27], v[100:101], v[24:25], v[26:27] op_sel_hi:[0,1,1] neg_lo:[0,0,1] neg_hi:[0,0,1]
	v_mov_b32_e32 v31, v27
	v_pk_fma_f32 v[26:27], v[98:99], v[24:25], v[28:29]
	v_pk_fma_f32 v[28:29], v[98:99], v[24:25], v[28:29] op_sel_hi:[0,1,1] neg_lo:[0,0,1] neg_hi:[0,0,1]
	v_mov_b32_e32 v27, v29
	ds_write2_b64 v128, v[30:31], v[26:27] offset1:67
	v_pk_mul_f32 v[26:27], v[102:103], v[24:25] op_sel:[1,1] op_sel_hi:[1,0]
	s_nop 0
	v_pk_fma_f32 v[28:29], v[102:103], v[24:25], v[26:27]
	v_pk_fma_f32 v[26:27], v[102:103], v[24:25], v[26:27] op_sel_hi:[0,1,1] neg_lo:[0,0,1] neg_hi:[0,0,1]
	v_mov_b32_e32 v29, v27
	v_pk_mul_f32 v[26:27], v[104:105], v[24:25] op_sel:[1,1] op_sel_hi:[1,0]
	s_nop 0
	v_pk_fma_f32 v[30:31], v[104:105], v[24:25], v[26:27]
	v_pk_fma_f32 v[24:25], v[104:105], v[24:25], v[26:27] op_sel_hi:[0,1,1] neg_lo:[0,0,1] neg_hi:[0,0,1]
	v_mov_b32_e32 v31, v25
	ds_write2_b64 v128, v[28:29], v[30:31] offset0:134 offset1:201
	s_waitcnt lgkmcnt(0)
	s_barrier
	ds_read2_b64 v[36:39], v129 offset1:1
	ds_read2_b64 v[32:35], v129 offset0:2 offset1:3
	v_lshl_add_u64 v[24:25], v[72:73], 0, v[52:53]
	s_waitcnt lgkmcnt(0)
	s_barrier
	s_cbranch_vccnz .LBB4_174
; %bb.167:                              ;   in Loop: Header=BB4_142 Depth=1
	v_mov_b32_e32 v106, 0
	v_mov_b32_e32 v107, v148
	v_cmp_gt_i32_e32 vcc, s20, v139
	v_mov_b64_e32 v[108:109], v[106:107]
	s_and_saveexec_b64 s[12:13], vcc
	s_cbranch_execz .LBB4_169
; %bb.168:                              ;   in Loop: Header=BB4_142 Depth=1
	global_load_dwordx2 v[108:109], v[24:25], off
.LBB4_169:                              ;   in Loop: Header=BB4_142 Depth=1
	s_or_b64 exec, exec, s[12:13]
	v_cmp_gt_i32_e32 vcc, s20, v140
	s_and_saveexec_b64 s[12:13], vcc
	s_cbranch_execz .LBB4_171
; %bb.170:                              ;   in Loop: Header=BB4_142 Depth=1
	v_lshl_add_u64 v[26:27], v[74:75], 0, v[52:53]
	global_load_dwordx2 v[106:107], v[26:27], off
.LBB4_171:                              ;   in Loop: Header=BB4_142 Depth=1
	s_or_b64 exec, exec, s[12:13]
	v_mov_b32_e32 v149, v148
	v_cmp_gt_i32_e32 vcc, s20, v141
	v_mov_b64_e32 v[110:111], v[148:149]
	s_and_saveexec_b64 s[12:13], vcc
	s_cbranch_execz .LBB4_173
; %bb.172:                              ;   in Loop: Header=BB4_142 Depth=1
	v_lshl_add_u64 v[26:27], v[76:77], 0, v[52:53]
	global_load_dwordx2 v[110:111], v[26:27], off
.LBB4_173:                              ;   in Loop: Header=BB4_142 Depth=1
	s_or_b64 exec, exec, s[12:13]
	v_cmp_gt_i32_e64 s[12:13], s20, v142
	s_branch .LBB4_176
.LBB4_174:                              ;   in Loop: Header=BB4_142 Depth=1
	s_mov_b64 s[12:13], 0
                                        ; implicit-def: $vgpr110_vgpr111
                                        ; implicit-def: $vgpr106_vgpr107
                                        ; implicit-def: $vgpr108_vgpr109
	s_cbranch_execz .LBB4_176
; %bb.175:                              ;   in Loop: Header=BB4_142 Depth=1
	global_load_dwordx2 v[108:109], v[24:25], off
	v_lshl_add_u64 v[24:25], v[74:75], 0, v[52:53]
	global_load_dwordx2 v[106:107], v[24:25], off
	v_lshl_add_u64 v[24:25], v[76:77], 0, v[52:53]
	global_load_dwordx2 v[110:111], v[24:25], off
	s_or_b64 s[12:13], s[12:13], exec
.LBB4_176:                              ;   in Loop: Header=BB4_142 Depth=1
	v_mov_b32_e32 v112, 0
	v_mov_b32_e32 v113, 0
	s_and_saveexec_b64 s[16:17], s[12:13]
	s_cbranch_execz .LBB4_178
; %bb.177:                              ;   in Loop: Header=BB4_142 Depth=1
	v_lshl_add_u64 v[24:25], v[78:79], 0, v[52:53]
	global_load_dwordx2 v[112:113], v[24:25], off
.LBB4_178:                              ;   in Loop: Header=BB4_142 Depth=1
	s_or_b64 exec, exec, s[16:17]
	ds_read_b64 v[24:25], v127
	s_and_b64 vcc, exec, s[4:5]
	v_lshl_add_u64 v[120:121], v[80:81], 0, v[52:53]
	s_waitcnt vmcnt(0) lgkmcnt(0)
	v_pk_mul_f32 v[26:27], v[108:109], v[24:25] op_sel:[1,0]
	v_pk_mul_f32 v[28:29], v[106:107], v[24:25] op_sel:[1,0]
	v_pk_fma_f32 v[30:31], v[108:109], v[24:25], v[26:27] op_sel:[0,0,1] op_sel_hi:[1,1,0]
	v_pk_fma_f32 v[26:27], v[108:109], v[24:25], v[26:27] op_sel:[0,0,1] op_sel_hi:[0,1,0] neg_lo:[0,0,1] neg_hi:[0,0,1]
	v_pk_fma_f32 v[40:41], v[106:107], v[24:25], v[28:29] op_sel:[0,0,1] op_sel_hi:[1,1,0]
	v_pk_fma_f32 v[28:29], v[106:107], v[24:25], v[28:29] op_sel:[0,0,1] op_sel_hi:[0,1,0] neg_lo:[0,0,1] neg_hi:[0,0,1]
	v_mov_b32_e32 v31, v27
	v_pk_mul_f32 v[26:27], v[110:111], v[24:25] op_sel:[1,0]
	v_mov_b32_e32 v41, v29
	v_pk_fma_f32 v[28:29], v[110:111], v[24:25], v[26:27] op_sel:[0,0,1] op_sel_hi:[1,1,0]
	v_pk_fma_f32 v[26:27], v[110:111], v[24:25], v[26:27] op_sel:[0,0,1] op_sel_hi:[0,1,0] neg_lo:[0,0,1] neg_hi:[0,0,1]
	v_mov_b32_e32 v29, v27
	v_pk_mul_f32 v[26:27], v[112:113], v[24:25] op_sel:[1,0]
	ds_write2_b64 v128, v[30:31], v[40:41] offset1:67
	v_pk_fma_f32 v[30:31], v[112:113], v[24:25], v[26:27] op_sel:[0,0,1] op_sel_hi:[1,1,0]
	v_pk_fma_f32 v[24:25], v[112:113], v[24:25], v[26:27] op_sel:[0,0,1] op_sel_hi:[0,1,0] neg_lo:[0,0,1] neg_hi:[0,0,1]
	v_mov_b32_e32 v31, v25
	ds_write2_b64 v128, v[28:29], v[30:31] offset0:134 offset1:201
	ds_read_b128 v[28:31], v126 offset:256
	ds_read_b128 v[24:27], v126 offset:272
	s_waitcnt lgkmcnt(0)
	s_barrier
	ds_read2_b64 v[44:47], v129 offset1:1
	ds_read2_b64 v[40:43], v129 offset0:2 offset1:3
	s_waitcnt lgkmcnt(0)
	s_barrier
	s_cbranch_vccnz .LBB4_186
; %bb.179:                              ;   in Loop: Header=BB4_142 Depth=1
	v_mov_b32_e32 v114, 0
	v_mov_b32_e32 v115, v148
	v_cmp_gt_i32_e32 vcc, s20, v144
	v_mov_b64_e32 v[116:117], v[114:115]
	s_and_saveexec_b64 s[4:5], vcc
	s_cbranch_execz .LBB4_181
; %bb.180:                              ;   in Loop: Header=BB4_142 Depth=1
	global_load_dwordx2 v[116:117], v[120:121], off
.LBB4_181:                              ;   in Loop: Header=BB4_142 Depth=1
	s_or_b64 exec, exec, s[4:5]
	v_cmp_gt_i32_e32 vcc, s20, v145
	s_and_saveexec_b64 s[4:5], vcc
	s_cbranch_execz .LBB4_183
; %bb.182:                              ;   in Loop: Header=BB4_142 Depth=1
	v_lshl_add_u64 v[114:115], v[82:83], 0, v[52:53]
	global_load_dwordx2 v[114:115], v[114:115], off
.LBB4_183:                              ;   in Loop: Header=BB4_142 Depth=1
	s_or_b64 exec, exec, s[4:5]
	v_mov_b32_e32 v149, v148
	v_cmp_gt_i32_e32 vcc, s20, v146
	v_mov_b64_e32 v[118:119], v[148:149]
	s_and_saveexec_b64 s[4:5], vcc
	s_cbranch_execz .LBB4_185
; %bb.184:                              ;   in Loop: Header=BB4_142 Depth=1
	v_lshl_add_u64 v[118:119], v[84:85], 0, v[52:53]
	global_load_dwordx2 v[118:119], v[118:119], off
.LBB4_185:                              ;   in Loop: Header=BB4_142 Depth=1
	s_or_b64 exec, exec, s[4:5]
	v_cmp_gt_i32_e64 s[4:5], s20, v147
	s_branch .LBB4_188
.LBB4_186:                              ;   in Loop: Header=BB4_142 Depth=1
	s_mov_b64 s[4:5], 0
                                        ; implicit-def: $vgpr118_vgpr119
                                        ; implicit-def: $vgpr114_vgpr115
                                        ; implicit-def: $vgpr116_vgpr117
	s_cbranch_execz .LBB4_188
; %bb.187:                              ;   in Loop: Header=BB4_142 Depth=1
	s_waitcnt vmcnt(0)
	v_lshl_add_u64 v[114:115], v[82:83], 0, v[52:53]
	v_lshl_add_u64 v[118:119], v[84:85], 0, v[52:53]
	global_load_dwordx2 v[116:117], v[120:121], off
	s_or_b64 s[4:5], s[4:5], exec
	global_load_dwordx2 v[114:115], v[114:115], off
	s_nop 0
	global_load_dwordx2 v[118:119], v[118:119], off
.LBB4_188:                              ;   in Loop: Header=BB4_142 Depth=1
	v_mov_b32_e32 v120, 0
	v_mov_b32_e32 v121, 0
	s_and_saveexec_b64 s[12:13], s[4:5]
	s_cbranch_execz .LBB4_190
; %bb.189:                              ;   in Loop: Header=BB4_142 Depth=1
	v_lshl_add_u64 v[120:121], v[86:87], 0, v[52:53]
	global_load_dwordx2 v[120:121], v[120:121], off
.LBB4_190:                              ;   in Loop: Header=BB4_142 Depth=1
	s_or_b64 exec, exec, s[12:13]
	v_pk_add_f32 v[44:45], v[44:45], 0 op_sel_hi:[1,0]
	v_pk_add_f32 v[36:37], v[36:37], 0 op_sel_hi:[1,0]
	v_pk_add_f32 v[44:45], v[44:45], v[46:47]
	v_pk_add_f32 v[36:37], v[36:37], v[38:39]
	;; [unrolled: 1-line block ×5, first 2 shown]
	ds_read_b64 v[40:41], v127
	v_pk_add_f32 v[46:47], v[32:33], v[34:35]
	v_pk_add_f32 v[20:21], v[20:21], 0 op_sel_hi:[1,0]
	v_cmp_gt_i32_e32 vcc, s20, v122
	v_pk_add_f32 v[150:151], v[20:21], v[22:23]
	s_waitcnt vmcnt(0) lgkmcnt(0)
	v_pk_mul_f32 v[32:33], v[116:117], v[40:41] op_sel:[1,0]
	v_pk_add_f32 v[16:17], v[150:151], v[16:17]
	v_pk_fma_f32 v[34:35], v[116:117], v[40:41], v[32:33] op_sel:[0,0,1] op_sel_hi:[1,1,0]
	v_pk_fma_f32 v[32:33], v[116:117], v[40:41], v[32:33] op_sel:[0,0,1] op_sel_hi:[0,1,0] neg_lo:[0,0,1] neg_hi:[0,0,1]
	v_mov_b32_e32 v35, v33
	v_pk_mul_f32 v[32:33], v[114:115], v[40:41] op_sel:[1,0]
	v_pk_add_f32 v[16:17], v[16:17], v[18:19]
	v_pk_fma_f32 v[36:37], v[114:115], v[40:41], v[32:33] op_sel:[0,0,1] op_sel_hi:[1,1,0]
	v_pk_fma_f32 v[32:33], v[114:115], v[40:41], v[32:33] op_sel:[0,0,1] op_sel_hi:[0,1,0] neg_lo:[0,0,1] neg_hi:[0,0,1]
	v_mov_b32_e32 v37, v33
	v_pk_mul_f32 v[32:33], v[118:119], v[40:41] op_sel:[1,0]
	ds_write2_b64 v128, v[34:35], v[36:37] offset1:67
	v_pk_fma_f32 v[34:35], v[118:119], v[40:41], v[32:33] op_sel:[0,0,1] op_sel_hi:[1,1,0]
	v_pk_fma_f32 v[32:33], v[118:119], v[40:41], v[32:33] op_sel:[0,0,1] op_sel_hi:[0,1,0] neg_lo:[0,0,1] neg_hi:[0,0,1]
	v_mov_b32_e32 v35, v33
	v_pk_mul_f32 v[32:33], v[120:121], v[40:41] op_sel:[1,0]
	s_or_b64 s[4:5], s[10:11], vcc
	v_pk_fma_f32 v[36:37], v[120:121], v[40:41], v[32:33] op_sel:[0,0,1] op_sel_hi:[1,1,0]
	v_pk_fma_f32 v[32:33], v[120:121], v[40:41], v[32:33] op_sel:[0,0,1] op_sel_hi:[0,1,0] neg_lo:[0,0,1] neg_hi:[0,0,1]
	v_mov_b32_e32 v37, v33
	ds_write2_b64 v128, v[34:35], v[36:37] offset0:134 offset1:201
	ds_read_b128 v[36:39], v126 offset:384
	ds_read_b128 v[32:35], v126 offset:400
	s_waitcnt lgkmcnt(0)
	s_barrier
	ds_read2_b64 v[40:43], v129 offset1:1
	ds_read2_b64 v[20:23], v129 offset0:2 offset1:3
	s_and_b64 s[10:11], s[0:1], s[4:5]
	s_waitcnt lgkmcnt(0)
	s_barrier
	v_pk_add_f32 v[18:19], v[40:41], 0 op_sel_hi:[1,0]
	s_nop 0
	v_pk_add_f32 v[18:19], v[18:19], v[42:43]
	s_nop 0
	v_pk_add_f32 v[18:19], v[18:19], v[20:21]
	;; [unrolled: 2-line block ×3, first 2 shown]
	ds_write2_b64 v143, v[16:17], v[46:47] offset1:16
	ds_write2_b64 v143, v[44:45], v[18:19] offset0:32 offset1:48
	s_waitcnt lgkmcnt(0)
	s_barrier
	s_and_saveexec_b64 s[4:5], s[10:11]
	s_cbranch_execz .LBB4_192
; %bb.191:                              ;   in Loop: Header=BB4_142 Depth=1
	ds_read_b64 v[40:41], v130
	ds_read2_b64 v[16:19], v130 offset0:1 offset1:2
	ds_read2_b64 v[20:23], v130 offset0:3 offset1:4
	v_add_u32_e32 v42, s22, v122
	v_ashrrev_i32_e32 v43, 31, v42
	v_lshl_add_u64 v[44:45], v[42:43], 3, s[6:7]
	s_waitcnt lgkmcnt(1)
	v_add_f32_e32 v16, v16, v40
	v_add_f32_e32 v17, v17, v41
	;; [unrolled: 1-line block ×4, first 2 shown]
	ds_read2_b64 v[16:19], v130 offset0:5 offset1:6
	s_waitcnt lgkmcnt(1)
	v_add_f32_e32 v20, v40, v20
	v_add_f32_e32 v21, v41, v21
	;; [unrolled: 1-line block ×4, first 2 shown]
	ds_read2_b64 v[20:23], v130 offset0:7 offset1:8
	s_waitcnt lgkmcnt(1)
	v_pk_add_f32 v[16:17], v[40:41], v[16:17]
	ds_read2_b64 v[40:43], v130 offset0:9 offset1:10
	v_pk_add_f32 v[16:17], v[16:17], v[18:19]
	s_waitcnt lgkmcnt(1)
	v_pk_add_f32 v[16:17], v[16:17], v[20:21]
	s_nop 0
	v_pk_add_f32 v[20:21], v[16:17], v[22:23]
	ds_read2_b64 v[16:19], v130 offset0:11 offset1:12
	s_waitcnt lgkmcnt(1)
	v_pk_add_f32 v[40:41], v[20:21], v[40:41]
	ds_read2_b64 v[20:23], v130 offset0:13 offset1:14
	v_pk_add_f32 v[40:41], v[40:41], v[42:43]
	ds_read_b64 v[42:43], v131
	s_waitcnt lgkmcnt(2)
	v_pk_add_f32 v[16:17], v[40:41], v[16:17]
	s_nop 0
	v_pk_add_f32 v[16:17], v[16:17], v[18:19]
	s_waitcnt lgkmcnt(1)
	v_pk_add_f32 v[16:17], v[16:17], v[20:21]
	s_nop 0
	v_pk_add_f32 v[16:17], v[16:17], v[22:23]
	s_waitcnt lgkmcnt(0)
	v_pk_add_f32 v[16:17], v[16:17], v[42:43]
	global_store_dwordx2 v[44:45], v[16:17], off
.LBB4_192:                              ;   in Loop: Header=BB4_142 Depth=1
	s_or_b64 exec, exec, s[4:5]
	v_mov_b32_e32 v16, v92
	v_mov_b32_e32 v17, v92
	;; [unrolled: 1-line block ×3, first 2 shown]
	v_pk_mul_f32 v[92:93], v[92:93], v[4:5]
	v_mov_b32_e32 v18, v90
	v_mov_b32_e32 v19, v90
	;; [unrolled: 1-line block ×3, first 2 shown]
	v_pk_fma_f32 v[158:159], v[16:17], v[4:5], v[92:93] op_sel:[0,0,1] op_sel_hi:[1,1,0] neg_lo:[0,0,1] neg_hi:[0,0,1]
	v_pk_fma_f32 v[4:5], v[16:17], v[4:5], v[92:93] op_sel:[0,0,1] op_sel_hi:[1,1,0]
	v_pk_mul_f32 v[16:17], v[90:91], v[6:7]
	v_mov_b32_e32 v159, v5
	v_mov_b32_e32 v20, v94
	;; [unrolled: 1-line block ×4, first 2 shown]
	v_pk_add_f32 v[4:5], v[50:51], v[158:159]
	v_pk_fma_f32 v[50:51], v[18:19], v[6:7], v[16:17] op_sel:[0,0,1] op_sel_hi:[1,1,0] neg_lo:[0,0,1] neg_hi:[0,0,1]
	v_pk_fma_f32 v[6:7], v[18:19], v[6:7], v[16:17] op_sel:[0,0,1] op_sel_hi:[1,1,0]
	v_mov_b32_e32 v22, v96
	v_mov_b32_e32 v51, v7
	v_pk_mul_f32 v[6:7], v[94:95], v[0:1]
	v_mov_b32_e32 v23, v96
	v_pk_fma_f32 v[16:17], v[20:21], v[0:1], v[6:7] op_sel:[0,0,1] op_sel_hi:[1,1,0] neg_lo:[0,0,1] neg_hi:[0,0,1]
	v_pk_fma_f32 v[0:1], v[20:21], v[0:1], v[6:7] op_sel:[0,0,1] op_sel_hi:[1,1,0]
	v_mov_b32_e32 v96, v97
	v_pk_add_f32 v[4:5], v[4:5], v[50:51]
	v_mov_b32_e32 v17, v1
	v_pk_add_f32 v[0:1], v[4:5], v[16:17]
	v_pk_mul_f32 v[4:5], v[96:97], v[2:3]
	v_mov_b32_e32 v40, v108
	v_pk_fma_f32 v[6:7], v[22:23], v[2:3], v[4:5] op_sel:[0,0,1] op_sel_hi:[1,1,0] neg_lo:[0,0,1] neg_hi:[0,0,1]
	v_pk_fma_f32 v[2:3], v[22:23], v[2:3], v[4:5] op_sel:[0,0,1] op_sel_hi:[1,1,0]
	v_mov_b32_e32 v4, v15
	v_mov_b32_e32 v7, v3
	v_pk_mul_f32 v[2:3], v[100:101], v[12:13] op_sel:[1,1] op_sel_hi:[0,1]
	v_pk_add_f32 v[0:1], v[0:1], v[6:7]
	v_pk_mul_f32 v[4:5], v[98:99], v[4:5] op_sel:[1,0] op_sel_hi:[0,0]
	v_pk_fma_f32 v[6:7], v[100:101], v[12:13], v[2:3] neg_lo:[0,0,1] neg_hi:[0,0,1]
	v_pk_fma_f32 v[2:3], v[100:101], v[12:13], v[2:3] op_sel_hi:[1,0,1]
	v_mov_b32_e32 v41, v108
	v_mov_b32_e32 v7, v3
	v_pk_fma_f32 v[2:3], v[98:99], v[14:15], v[4:5] neg_lo:[0,0,1] neg_hi:[0,0,1]
	v_pk_fma_f32 v[4:5], v[98:99], v[14:15], v[4:5] op_sel_hi:[1,0,1]
	v_pk_add_f32 v[0:1], v[0:1], v[6:7]
	v_mov_b32_e32 v3, v5
	v_pk_add_f32 v[0:1], v[0:1], v[2:3]
	v_pk_mul_f32 v[2:3], v[102:103], v[8:9] op_sel:[1,1] op_sel_hi:[0,1]
	v_pk_fma_f32 v[4:5], v[102:103], v[8:9], v[2:3] neg_lo:[0,0,1] neg_hi:[0,0,1]
	v_pk_fma_f32 v[2:3], v[102:103], v[8:9], v[2:3] op_sel_hi:[1,0,1]
	v_mov_b32_e32 v108, v109
	v_mov_b32_e32 v2, v11
	;; [unrolled: 1-line block ×3, first 2 shown]
	v_pk_mul_f32 v[2:3], v[104:105], v[2:3] op_sel:[1,0] op_sel_hi:[0,0]
	v_pk_add_f32 v[0:1], v[0:1], v[4:5]
	v_pk_fma_f32 v[4:5], v[104:105], v[10:11], v[2:3] neg_lo:[0,0,1] neg_hi:[0,0,1]
	v_pk_fma_f32 v[2:3], v[104:105], v[10:11], v[2:3] op_sel_hi:[1,0,1]
	v_mov_b32_e32 v42, v106
	v_mov_b32_e32 v5, v3
	v_pk_mul_f32 v[2:3], v[108:109], v[28:29]
	v_mov_b32_e32 v43, v106
	v_mov_b32_e32 v106, v107
	v_pk_add_f32 v[0:1], v[0:1], v[4:5]
	v_pk_fma_f32 v[4:5], v[40:41], v[28:29], v[2:3] op_sel:[0,0,1] op_sel_hi:[1,1,0] neg_lo:[0,0,1] neg_hi:[0,0,1]
	v_pk_fma_f32 v[2:3], v[40:41], v[28:29], v[2:3] op_sel:[0,0,1] op_sel_hi:[1,1,0]
	v_mov_b32_e32 v44, v110
	v_mov_b32_e32 v5, v3
	v_pk_mul_f32 v[2:3], v[106:107], v[30:31]
	v_mov_b32_e32 v45, v110
	v_mov_b32_e32 v110, v111
	v_pk_add_f32 v[0:1], v[0:1], v[4:5]
	v_pk_fma_f32 v[4:5], v[42:43], v[30:31], v[2:3] op_sel:[0,0,1] op_sel_hi:[1,1,0] neg_lo:[0,0,1] neg_hi:[0,0,1]
	v_pk_fma_f32 v[2:3], v[42:43], v[30:31], v[2:3] op_sel:[0,0,1] op_sel_hi:[1,1,0]
	v_mov_b32_e32 v46, v112
	v_mov_b32_e32 v5, v3
	v_pk_mul_f32 v[2:3], v[110:111], v[24:25]
	v_mov_b32_e32 v47, v112
	v_mov_b32_e32 v112, v113
	v_pk_add_f32 v[0:1], v[0:1], v[4:5]
	v_pk_fma_f32 v[4:5], v[44:45], v[24:25], v[2:3] op_sel:[0,0,1] op_sel_hi:[1,1,0] neg_lo:[0,0,1] neg_hi:[0,0,1]
	v_pk_fma_f32 v[2:3], v[44:45], v[24:25], v[2:3] op_sel:[0,0,1] op_sel_hi:[1,1,0]
	v_mov_b32_e32 v150, v116
	v_mov_b32_e32 v5, v3
	v_pk_mul_f32 v[2:3], v[112:113], v[26:27]
	v_mov_b32_e32 v151, v116
	v_mov_b32_e32 v116, v117
	v_pk_add_f32 v[0:1], v[0:1], v[4:5]
	v_pk_fma_f32 v[4:5], v[46:47], v[26:27], v[2:3] op_sel:[0,0,1] op_sel_hi:[1,1,0] neg_lo:[0,0,1] neg_hi:[0,0,1]
	v_pk_fma_f32 v[2:3], v[46:47], v[26:27], v[2:3] op_sel:[0,0,1] op_sel_hi:[1,1,0]
	v_mov_b32_e32 v152, v114
	v_mov_b32_e32 v5, v3
	v_pk_mul_f32 v[2:3], v[116:117], v[36:37]
	v_mov_b32_e32 v153, v114
	v_mov_b32_e32 v114, v115
	v_pk_add_f32 v[0:1], v[0:1], v[4:5]
	v_pk_fma_f32 v[4:5], v[150:151], v[36:37], v[2:3] op_sel:[0,0,1] op_sel_hi:[1,1,0] neg_lo:[0,0,1] neg_hi:[0,0,1]
	v_pk_fma_f32 v[2:3], v[150:151], v[36:37], v[2:3] op_sel:[0,0,1] op_sel_hi:[1,1,0]
	v_mov_b32_e32 v154, v118
	v_mov_b32_e32 v5, v3
	v_pk_mul_f32 v[2:3], v[114:115], v[38:39]
	v_mov_b32_e32 v155, v118
	v_mov_b32_e32 v118, v119
	v_pk_fma_f32 v[6:7], v[152:153], v[38:39], v[2:3] op_sel:[0,0,1] op_sel_hi:[1,1,0] neg_lo:[0,0,1] neg_hi:[0,0,1]
	v_pk_fma_f32 v[2:3], v[152:153], v[38:39], v[2:3] op_sel:[0,0,1] op_sel_hi:[1,1,0]
	v_mov_b32_e32 v156, v120
	v_mov_b32_e32 v7, v3
	v_pk_mul_f32 v[2:3], v[118:119], v[32:33]
	v_mov_b32_e32 v157, v120
	v_mov_b32_e32 v120, v121
	v_pk_fma_f32 v[8:9], v[154:155], v[32:33], v[2:3] op_sel:[0,0,1] op_sel_hi:[1,1,0] neg_lo:[0,0,1] neg_hi:[0,0,1]
	v_pk_fma_f32 v[2:3], v[154:155], v[32:33], v[2:3] op_sel:[0,0,1] op_sel_hi:[1,1,0]
	v_pk_add_f32 v[0:1], v[0:1], v[4:5]
	v_mov_b32_e32 v9, v3
	v_pk_mul_f32 v[2:3], v[120:121], v[34:35]
	v_pk_add_f32 v[0:1], v[0:1], v[6:7]
	v_pk_fma_f32 v[10:11], v[156:157], v[34:35], v[2:3] op_sel:[0,0,1] op_sel_hi:[1,1,0] neg_lo:[0,0,1] neg_hi:[0,0,1]
	v_pk_fma_f32 v[2:3], v[156:157], v[34:35], v[2:3] op_sel:[0,0,1] op_sel_hi:[1,1,0]
	v_pk_add_f32 v[0:1], v[0:1], v[8:9]
	v_mov_b32_e32 v11, v3
	s_add_i32 s4, s2, 1
	s_add_i32 s22, s22, 64
	;; [unrolled: 1-line block ×3, first 2 shown]
	v_pk_add_f32 v[50:51], v[0:1], v[10:11]
	v_lshl_add_u64 v[56:57], v[56:57], 0, s[8:9]
	v_lshl_add_u64 v[58:59], v[58:59], 0, s[8:9]
	;; [unrolled: 1-line block ×15, first 2 shown]
	s_cmp_ge_u32 s2, s33
	v_lshl_add_u64 v[86:87], v[86:87], 0, s[8:9]
	s_barrier
	s_cbranch_scc1 .LBB4_194
; %bb.193:                              ;   in Loop: Header=BB4_142 Depth=1
	s_mov_b32 s2, s4
	s_cmp_eq_u32 s3, s2
	s_cselect_b32 s20, s34, 0
	s_and_saveexec_b64 s[4:5], s[14:15]
	s_cbranch_execnz .LBB4_138
	s_branch .LBB4_142
.LBB4_194:
	s_movk_i32 s0, 0x218
	v_cmp_gt_i32_e32 vcc, s24, v122
	v_mad_u32_u24 v0, v123, s0, v52
	s_or_b64 s[0:1], s[18:19], vcc
	s_and_b64 s[0:1], s[14:15], s[0:1]
	ds_write_b64 v0, v[50:51]
	s_waitcnt lgkmcnt(0)
	s_barrier
	s_and_saveexec_b64 s[2:3], s[0:1]
	s_cbranch_execz .LBB4_196
; %bb.195:
	ds_read2_b64 v[0:3], v52 offset1:67
	ds_read2_b64 v[4:7], v52 offset0:134 offset1:201
	v_lshl_add_u64 v[8:9], v[48:49], 3, s[6:7]
	s_waitcnt lgkmcnt(1)
	v_pk_add_f32 v[0:1], v[2:3], v[0:1]
	s_waitcnt lgkmcnt(0)
	v_pk_add_f32 v[0:1], v[4:5], v[0:1]
	s_nop 0
	v_pk_add_f32 v[0:1], v[0:1], v[6:7]
	global_store_dwordx2 v[8:9], v[0:1], off
.LBB4_196:
	s_endpgm
	.section	.rodata,"a",@progbits
	.p2align	6, 0x0
	.amdhsa_kernel _ZL26rocblas_hemvn_kernel_upperILb1ELi64ELi4ELi33ELi32ELi16El19rocblas_complex_numIfEPKS1_PS1_EviT6_lT7_lT5_lS6_lS7_lS5_lT8_i
		.amdhsa_group_segment_fixed_size 9600
		.amdhsa_private_segment_fixed_size 0
		.amdhsa_kernarg_size 376
		.amdhsa_user_sgpr_count 2
		.amdhsa_user_sgpr_dispatch_ptr 0
		.amdhsa_user_sgpr_queue_ptr 0
		.amdhsa_user_sgpr_kernarg_segment_ptr 1
		.amdhsa_user_sgpr_dispatch_id 0
		.amdhsa_user_sgpr_kernarg_preload_length 0
		.amdhsa_user_sgpr_kernarg_preload_offset 0
		.amdhsa_user_sgpr_private_segment_size 0
		.amdhsa_uses_dynamic_stack 0
		.amdhsa_enable_private_segment 0
		.amdhsa_system_sgpr_workgroup_id_x 1
		.amdhsa_system_sgpr_workgroup_id_y 0
		.amdhsa_system_sgpr_workgroup_id_z 1
		.amdhsa_system_sgpr_workgroup_info 0
		.amdhsa_system_vgpr_workitem_id 1
		.amdhsa_next_free_vgpr 160
		.amdhsa_next_free_sgpr 38
		.amdhsa_accum_offset 160
		.amdhsa_reserve_vcc 1
		.amdhsa_float_round_mode_32 0
		.amdhsa_float_round_mode_16_64 0
		.amdhsa_float_denorm_mode_32 3
		.amdhsa_float_denorm_mode_16_64 3
		.amdhsa_dx10_clamp 1
		.amdhsa_ieee_mode 1
		.amdhsa_fp16_overflow 0
		.amdhsa_tg_split 0
		.amdhsa_exception_fp_ieee_invalid_op 0
		.amdhsa_exception_fp_denorm_src 0
		.amdhsa_exception_fp_ieee_div_zero 0
		.amdhsa_exception_fp_ieee_overflow 0
		.amdhsa_exception_fp_ieee_underflow 0
		.amdhsa_exception_fp_ieee_inexact 0
		.amdhsa_exception_int_div_zero 0
	.end_amdhsa_kernel
	.section	.text._ZL26rocblas_hemvn_kernel_upperILb1ELi64ELi4ELi33ELi32ELi16El19rocblas_complex_numIfEPKS1_PS1_EviT6_lT7_lT5_lS6_lS7_lS5_lT8_i,"axG",@progbits,_ZL26rocblas_hemvn_kernel_upperILb1ELi64ELi4ELi33ELi32ELi16El19rocblas_complex_numIfEPKS1_PS1_EviT6_lT7_lT5_lS6_lS7_lS5_lT8_i,comdat
.Lfunc_end4:
	.size	_ZL26rocblas_hemvn_kernel_upperILb1ELi64ELi4ELi33ELi32ELi16El19rocblas_complex_numIfEPKS1_PS1_EviT6_lT7_lT5_lS6_lS7_lS5_lT8_i, .Lfunc_end4-_ZL26rocblas_hemvn_kernel_upperILb1ELi64ELi4ELi33ELi32ELi16El19rocblas_complex_numIfEPKS1_PS1_EviT6_lT7_lT5_lS6_lS7_lS5_lT8_i
                                        ; -- End function
	.set _ZL26rocblas_hemvn_kernel_upperILb1ELi64ELi4ELi33ELi32ELi16El19rocblas_complex_numIfEPKS1_PS1_EviT6_lT7_lT5_lS6_lS7_lS5_lT8_i.num_vgpr, 160
	.set _ZL26rocblas_hemvn_kernel_upperILb1ELi64ELi4ELi33ELi32ELi16El19rocblas_complex_numIfEPKS1_PS1_EviT6_lT7_lT5_lS6_lS7_lS5_lT8_i.num_agpr, 0
	.set _ZL26rocblas_hemvn_kernel_upperILb1ELi64ELi4ELi33ELi32ELi16El19rocblas_complex_numIfEPKS1_PS1_EviT6_lT7_lT5_lS6_lS7_lS5_lT8_i.numbered_sgpr, 38
	.set _ZL26rocblas_hemvn_kernel_upperILb1ELi64ELi4ELi33ELi32ELi16El19rocblas_complex_numIfEPKS1_PS1_EviT6_lT7_lT5_lS6_lS7_lS5_lT8_i.num_named_barrier, 0
	.set _ZL26rocblas_hemvn_kernel_upperILb1ELi64ELi4ELi33ELi32ELi16El19rocblas_complex_numIfEPKS1_PS1_EviT6_lT7_lT5_lS6_lS7_lS5_lT8_i.private_seg_size, 0
	.set _ZL26rocblas_hemvn_kernel_upperILb1ELi64ELi4ELi33ELi32ELi16El19rocblas_complex_numIfEPKS1_PS1_EviT6_lT7_lT5_lS6_lS7_lS5_lT8_i.uses_vcc, 1
	.set _ZL26rocblas_hemvn_kernel_upperILb1ELi64ELi4ELi33ELi32ELi16El19rocblas_complex_numIfEPKS1_PS1_EviT6_lT7_lT5_lS6_lS7_lS5_lT8_i.uses_flat_scratch, 0
	.set _ZL26rocblas_hemvn_kernel_upperILb1ELi64ELi4ELi33ELi32ELi16El19rocblas_complex_numIfEPKS1_PS1_EviT6_lT7_lT5_lS6_lS7_lS5_lT8_i.has_dyn_sized_stack, 0
	.set _ZL26rocblas_hemvn_kernel_upperILb1ELi64ELi4ELi33ELi32ELi16El19rocblas_complex_numIfEPKS1_PS1_EviT6_lT7_lT5_lS6_lS7_lS5_lT8_i.has_recursion, 0
	.set _ZL26rocblas_hemvn_kernel_upperILb1ELi64ELi4ELi33ELi32ELi16El19rocblas_complex_numIfEPKS1_PS1_EviT6_lT7_lT5_lS6_lS7_lS5_lT8_i.has_indirect_call, 0
	.section	.AMDGPU.csdata,"",@progbits
; Kernel info:
; codeLenInByte = 9608
; TotalNumSgprs: 44
; NumVgprs: 160
; NumAgprs: 0
; TotalNumVgprs: 160
; ScratchSize: 0
; MemoryBound: 1
; FloatMode: 240
; IeeeMode: 1
; LDSByteSize: 9600 bytes/workgroup (compile time only)
; SGPRBlocks: 5
; VGPRBlocks: 19
; NumSGPRsForWavesPerEU: 44
; NumVGPRsForWavesPerEU: 160
; AccumOffset: 160
; Occupancy: 3
; WaveLimiterHint : 0
; COMPUTE_PGM_RSRC2:SCRATCH_EN: 0
; COMPUTE_PGM_RSRC2:USER_SGPR: 2
; COMPUTE_PGM_RSRC2:TRAP_HANDLER: 0
; COMPUTE_PGM_RSRC2:TGID_X_EN: 1
; COMPUTE_PGM_RSRC2:TGID_Y_EN: 0
; COMPUTE_PGM_RSRC2:TGID_Z_EN: 1
; COMPUTE_PGM_RSRC2:TIDIG_COMP_CNT: 1
; COMPUTE_PGM_RSRC3_GFX90A:ACCUM_OFFSET: 39
; COMPUTE_PGM_RSRC3_GFX90A:TG_SPLIT: 0
	.section	.text._ZL36rocblas_hemvn_kernel_upper_block_sumILi64El19rocblas_complex_numIfEPS1_S1_EviT1_lS3_lT2_lT0_lPT3_i,"axG",@progbits,_ZL36rocblas_hemvn_kernel_upper_block_sumILi64El19rocblas_complex_numIfEPS1_S1_EviT1_lS3_lT2_lT0_lPT3_i,comdat
	.globl	_ZL36rocblas_hemvn_kernel_upper_block_sumILi64El19rocblas_complex_numIfEPS1_S1_EviT1_lS3_lT2_lT0_lPT3_i ; -- Begin function _ZL36rocblas_hemvn_kernel_upper_block_sumILi64El19rocblas_complex_numIfEPS1_S1_EviT1_lS3_lT2_lT0_lPT3_i
	.p2align	8
	.type	_ZL36rocblas_hemvn_kernel_upper_block_sumILi64El19rocblas_complex_numIfEPS1_S1_EviT1_lS3_lT2_lT0_lPT3_i,@function
_ZL36rocblas_hemvn_kernel_upper_block_sumILi64El19rocblas_complex_numIfEPS1_S1_EviT1_lS3_lT2_lT0_lPT3_i: ; @_ZL36rocblas_hemvn_kernel_upper_block_sumILi64El19rocblas_complex_numIfEPS1_S1_EviT1_lS3_lT2_lT0_lPT3_i
; %bb.0:
	s_load_dwordx4 s[12:15], s[0:1], 0x0
	s_load_dwordx2 s[16:17], s[0:1], 0x18
	s_waitcnt lgkmcnt(0)
	s_or_b32 s4, s13, s14
	s_bitset0_b32 s4, 31
	s_cmp_eq_u32 s4, 0
	v_cmp_eq_f32_e64 s[4:5], s16, 1.0
	v_cmp_eq_f32_e64 s[6:7], s17, 0
	s_mov_b32 s19, s14
	s_cselect_b64 s[14:15], -1, 0
	s_and_b64 s[4:5], s[4:5], s[6:7]
	s_and_b64 s[4:5], s[14:15], s[4:5]
	s_and_b64 vcc, exec, s[4:5]
	s_cbranch_vccnz .LBB5_17
; %bb.1:
	s_load_dwordx8 s[4:11], s[0:1], 0x30
	s_load_dwordx2 s[20:21], s[0:1], 0x28
	s_mov_b32 s18, s13
	v_lshl_or_b32 v0, s2, 6, v0
	s_waitcnt lgkmcnt(0)
	s_mul_i32 s9, s9, s3
	s_mul_hi_u32 s13, s8, s3
	s_mul_i32 s8, s8, s3
	s_add_i32 s9, s13, s9
	s_lshl_b64 s[8:9], s[8:9], 3
	s_add_u32 s8, s20, s8
	s_addc_u32 s9, s21, s9
	s_lshl_b64 s[4:5], s[4:5], 3
	s_add_u32 s8, s8, s4
	s_addc_u32 s9, s9, s5
	s_mov_b64 s[20:21], -1
	s_andn2_b64 vcc, exec, s[14:15]
	v_cmp_gt_i32_e64 s[4:5], s12, v0
	s_cbranch_vccnz .LBB5_7
; %bb.2:
	s_and_saveexec_b64 s[14:15], s[4:5]
	s_cbranch_execz .LBB5_6
; %bb.3:
	v_ashrrev_i32_e32 v1, 31, v0
	v_cmp_neq_f32_e64 s[4:5], s16, 0
	v_cmp_neq_f32_e64 s[20:21], s17, 0
	v_mul_lo_u32 v2, s7, v0
	v_mul_lo_u32 v1, s6, v1
	v_mad_u64_u32 v[4:5], s[22:23], s6, v0, 0
	v_add3_u32 v5, v5, v1, v2
	s_or_b64 s[4:5], s[4:5], s[20:21]
	v_mov_b32_e32 v2, 0
	s_andn2_b64 vcc, exec, s[4:5]
	v_lshl_add_u64 v[4:5], v[4:5], 3, s[8:9]
	v_mov_b32_e32 v3, 0
	s_cbranch_vccnz .LBB5_5
; %bb.4:
	global_load_dwordx2 v[6:7], v[4:5], off
	s_waitcnt vmcnt(0)
	v_pk_mul_f32 v[8:9], v[6:7], s[16:17] op_sel:[1,1] op_sel_hi:[1,0]
	s_nop 0
	v_pk_fma_f32 v[2:3], v[6:7], s[16:17], v[8:9] neg_lo:[0,0,1] neg_hi:[0,0,1]
	v_pk_fma_f32 v[6:7], v[6:7], s[16:17], v[8:9] op_sel_hi:[0,1,1]
	v_mov_b32_e32 v3, v7
.LBB5_5:
	global_store_dwordx2 v[4:5], v[2:3], off
.LBB5_6:
	s_or_b64 exec, exec, s[14:15]
	s_mov_b64 s[20:21], 0
.LBB5_7:
	s_andn2_b64 vcc, exec, s[20:21]
	s_cbranch_vccnz .LBB5_17
; %bb.8:
	v_cmp_gt_i32_e32 vcc, s12, v0
	s_and_saveexec_b64 s[4:5], vcc
	s_cbranch_execz .LBB5_17
; %bb.9:
	v_mov_b32_e32 v3, 0
	v_ashrrev_i32_e32 v1, 31, v0
	s_cmp_lt_i32 s2, 0
	v_mov_b32_e32 v2, v3
	s_cbranch_scc1 .LBB5_12
; %bb.10:
	s_load_dword s0, s[0:1], 0x58
	s_ashr_i32 s13, s12, 31
	s_mul_hi_u32 s1, s12, s3
	s_mul_i32 s4, s13, s3
	s_add_i32 s1, s1, s4
	s_mul_i32 s3, s12, s3
	s_waitcnt lgkmcnt(0)
	s_mul_i32 s1, s1, s0
	s_mul_hi_u32 s4, s3, s0
	s_add_i32 s1, s4, s1
	s_mul_i32 s0, s3, s0
	s_lshl_b64 s[0:1], s[0:1], 3
	s_add_u32 s0, s10, s0
	s_addc_u32 s1, s11, s1
	v_mov_b32_e32 v2, 0
	v_lshl_add_u64 v[4:5], v[0:1], 3, s[0:1]
	s_add_i32 s2, s2, 1
	s_lshl_b64 s[0:1], s[12:13], 3
	v_mov_b32_e32 v3, v2
.LBB5_11:                               ; =>This Inner Loop Header: Depth=1
	global_load_dwordx2 v[6:7], v[4:5], off
	s_add_i32 s2, s2, -1
	v_lshl_add_u64 v[4:5], v[4:5], 0, s[0:1]
	s_cmp_eq_u32 s2, 0
	s_waitcnt vmcnt(0)
	v_pk_add_f32 v[2:3], v[2:3], v[6:7]
	s_cbranch_scc0 .LBB5_11
.LBB5_12:
	v_cmp_neq_f32_e64 s[0:1], s16, 0
	v_cmp_neq_f32_e64 s[2:3], s17, 0
	s_or_b64 s[0:1], s[0:1], s[2:3]
	v_pk_mul_f32 v[8:9], v[2:3], s[18:19] op_sel:[1,1] op_sel_hi:[1,0]
	s_andn2_b64 vcc, exec, s[0:1]
	v_pk_fma_f32 v[4:5], v[2:3], s[18:19], v[8:9] op_sel_hi:[0,1,1]
	v_mul_lo_u32 v10, s7, v0
	v_mul_lo_u32 v1, s6, v1
	s_cbranch_vccz .LBB5_14
; %bb.13:
	v_pk_mul_f32 v[12:13], v[2:3], s[18:19]
	v_mad_u64_u32 v[6:7], s[0:1], s6, v0, 0
	v_add3_u32 v7, v7, v1, v10
	v_sub_f32_e32 v4, v12, v8
	s_cbranch_execz .LBB5_15
	s_branch .LBB5_16
.LBB5_14:
                                        ; implicit-def: $vgpr6_vgpr7
.LBB5_15:
	v_mad_u64_u32 v[6:7], s[0:1], s6, v0, 0
	v_add3_u32 v7, v7, v1, v10
	v_lshl_add_u64 v[0:1], v[6:7], 3, s[8:9]
	global_load_dwordx2 v[0:1], v[0:1], off
	v_pk_fma_f32 v[2:3], v[2:3], s[18:19], v[8:9] neg_lo:[0,0,1] neg_hi:[0,0,1]
	s_waitcnt vmcnt(0)
	v_pk_mul_f32 v[8:9], v[0:1], s[16:17] op_sel:[1,1] op_sel_hi:[1,0]
	s_nop 0
	v_pk_fma_f32 v[10:11], v[0:1], s[16:17], v[8:9] neg_lo:[0,0,1] neg_hi:[0,0,1]
	v_pk_fma_f32 v[0:1], v[0:1], s[16:17], v[8:9] op_sel_hi:[0,1,1]
	v_mov_b32_e32 v11, v1
	v_mov_b32_e32 v3, v5
	v_pk_add_f32 v[4:5], v[2:3], v[10:11]
.LBB5_16:
	v_lshl_add_u64 v[0:1], v[6:7], 3, s[8:9]
	global_store_dwordx2 v[0:1], v[4:5], off
.LBB5_17:
	s_endpgm
	.section	.rodata,"a",@progbits
	.p2align	6, 0x0
	.amdhsa_kernel _ZL36rocblas_hemvn_kernel_upper_block_sumILi64El19rocblas_complex_numIfEPS1_S1_EviT1_lS3_lT2_lT0_lPT3_i
		.amdhsa_group_segment_fixed_size 0
		.amdhsa_private_segment_fixed_size 0
		.amdhsa_kernarg_size 344
		.amdhsa_user_sgpr_count 2
		.amdhsa_user_sgpr_dispatch_ptr 0
		.amdhsa_user_sgpr_queue_ptr 0
		.amdhsa_user_sgpr_kernarg_segment_ptr 1
		.amdhsa_user_sgpr_dispatch_id 0
		.amdhsa_user_sgpr_kernarg_preload_length 0
		.amdhsa_user_sgpr_kernarg_preload_offset 0
		.amdhsa_user_sgpr_private_segment_size 0
		.amdhsa_uses_dynamic_stack 0
		.amdhsa_enable_private_segment 0
		.amdhsa_system_sgpr_workgroup_id_x 1
		.amdhsa_system_sgpr_workgroup_id_y 0
		.amdhsa_system_sgpr_workgroup_id_z 1
		.amdhsa_system_sgpr_workgroup_info 0
		.amdhsa_system_vgpr_workitem_id 0
		.amdhsa_next_free_vgpr 14
		.amdhsa_next_free_sgpr 24
		.amdhsa_accum_offset 16
		.amdhsa_reserve_vcc 1
		.amdhsa_float_round_mode_32 0
		.amdhsa_float_round_mode_16_64 0
		.amdhsa_float_denorm_mode_32 3
		.amdhsa_float_denorm_mode_16_64 3
		.amdhsa_dx10_clamp 1
		.amdhsa_ieee_mode 1
		.amdhsa_fp16_overflow 0
		.amdhsa_tg_split 0
		.amdhsa_exception_fp_ieee_invalid_op 0
		.amdhsa_exception_fp_denorm_src 0
		.amdhsa_exception_fp_ieee_div_zero 0
		.amdhsa_exception_fp_ieee_overflow 0
		.amdhsa_exception_fp_ieee_underflow 0
		.amdhsa_exception_fp_ieee_inexact 0
		.amdhsa_exception_int_div_zero 0
	.end_amdhsa_kernel
	.section	.text._ZL36rocblas_hemvn_kernel_upper_block_sumILi64El19rocblas_complex_numIfEPS1_S1_EviT1_lS3_lT2_lT0_lPT3_i,"axG",@progbits,_ZL36rocblas_hemvn_kernel_upper_block_sumILi64El19rocblas_complex_numIfEPS1_S1_EviT1_lS3_lT2_lT0_lPT3_i,comdat
.Lfunc_end5:
	.size	_ZL36rocblas_hemvn_kernel_upper_block_sumILi64El19rocblas_complex_numIfEPS1_S1_EviT1_lS3_lT2_lT0_lPT3_i, .Lfunc_end5-_ZL36rocblas_hemvn_kernel_upper_block_sumILi64El19rocblas_complex_numIfEPS1_S1_EviT1_lS3_lT2_lT0_lPT3_i
                                        ; -- End function
	.set _ZL36rocblas_hemvn_kernel_upper_block_sumILi64El19rocblas_complex_numIfEPS1_S1_EviT1_lS3_lT2_lT0_lPT3_i.num_vgpr, 14
	.set _ZL36rocblas_hemvn_kernel_upper_block_sumILi64El19rocblas_complex_numIfEPS1_S1_EviT1_lS3_lT2_lT0_lPT3_i.num_agpr, 0
	.set _ZL36rocblas_hemvn_kernel_upper_block_sumILi64El19rocblas_complex_numIfEPS1_S1_EviT1_lS3_lT2_lT0_lPT3_i.numbered_sgpr, 24
	.set _ZL36rocblas_hemvn_kernel_upper_block_sumILi64El19rocblas_complex_numIfEPS1_S1_EviT1_lS3_lT2_lT0_lPT3_i.num_named_barrier, 0
	.set _ZL36rocblas_hemvn_kernel_upper_block_sumILi64El19rocblas_complex_numIfEPS1_S1_EviT1_lS3_lT2_lT0_lPT3_i.private_seg_size, 0
	.set _ZL36rocblas_hemvn_kernel_upper_block_sumILi64El19rocblas_complex_numIfEPS1_S1_EviT1_lS3_lT2_lT0_lPT3_i.uses_vcc, 1
	.set _ZL36rocblas_hemvn_kernel_upper_block_sumILi64El19rocblas_complex_numIfEPS1_S1_EviT1_lS3_lT2_lT0_lPT3_i.uses_flat_scratch, 0
	.set _ZL36rocblas_hemvn_kernel_upper_block_sumILi64El19rocblas_complex_numIfEPS1_S1_EviT1_lS3_lT2_lT0_lPT3_i.has_dyn_sized_stack, 0
	.set _ZL36rocblas_hemvn_kernel_upper_block_sumILi64El19rocblas_complex_numIfEPS1_S1_EviT1_lS3_lT2_lT0_lPT3_i.has_recursion, 0
	.set _ZL36rocblas_hemvn_kernel_upper_block_sumILi64El19rocblas_complex_numIfEPS1_S1_EviT1_lS3_lT2_lT0_lPT3_i.has_indirect_call, 0
	.section	.AMDGPU.csdata,"",@progbits
; Kernel info:
; codeLenInByte = 680
; TotalNumSgprs: 30
; NumVgprs: 14
; NumAgprs: 0
; TotalNumVgprs: 14
; ScratchSize: 0
; MemoryBound: 0
; FloatMode: 240
; IeeeMode: 1
; LDSByteSize: 0 bytes/workgroup (compile time only)
; SGPRBlocks: 3
; VGPRBlocks: 1
; NumSGPRsForWavesPerEU: 30
; NumVGPRsForWavesPerEU: 14
; AccumOffset: 16
; Occupancy: 8
; WaveLimiterHint : 0
; COMPUTE_PGM_RSRC2:SCRATCH_EN: 0
; COMPUTE_PGM_RSRC2:USER_SGPR: 2
; COMPUTE_PGM_RSRC2:TRAP_HANDLER: 0
; COMPUTE_PGM_RSRC2:TGID_X_EN: 1
; COMPUTE_PGM_RSRC2:TGID_Y_EN: 0
; COMPUTE_PGM_RSRC2:TGID_Z_EN: 1
; COMPUTE_PGM_RSRC2:TIDIG_COMP_CNT: 0
; COMPUTE_PGM_RSRC3_GFX90A:ACCUM_OFFSET: 3
; COMPUTE_PGM_RSRC3_GFX90A:TG_SPLIT: 0
	.section	.text._ZL26rocblas_hemvn_kernel_upperILb1ELi64ELi4ELi33ELi32ELi16Ei19rocblas_complex_numIfEPKS1_PS1_EviT6_lT7_lT5_lS6_lS7_lS5_lT8_i,"axG",@progbits,_ZL26rocblas_hemvn_kernel_upperILb1ELi64ELi4ELi33ELi32ELi16Ei19rocblas_complex_numIfEPKS1_PS1_EviT6_lT7_lT5_lS6_lS7_lS5_lT8_i,comdat
	.globl	_ZL26rocblas_hemvn_kernel_upperILb1ELi64ELi4ELi33ELi32ELi16Ei19rocblas_complex_numIfEPKS1_PS1_EviT6_lT7_lT5_lS6_lS7_lS5_lT8_i ; -- Begin function _ZL26rocblas_hemvn_kernel_upperILb1ELi64ELi4ELi33ELi32ELi16Ei19rocblas_complex_numIfEPKS1_PS1_EviT6_lT7_lT5_lS6_lS7_lS5_lT8_i
	.p2align	8
	.type	_ZL26rocblas_hemvn_kernel_upperILb1ELi64ELi4ELi33ELi32ELi16Ei19rocblas_complex_numIfEPKS1_PS1_EviT6_lT7_lT5_lS6_lS7_lS5_lT8_i,@function
_ZL26rocblas_hemvn_kernel_upperILb1ELi64ELi4ELi33ELi32ELi16Ei19rocblas_complex_numIfEPKS1_PS1_EviT6_lT7_lT5_lS6_lS7_lS5_lT8_i: ; @_ZL26rocblas_hemvn_kernel_upperILb1ELi64ELi4ELi33ELi32ELi16Ei19rocblas_complex_numIfEPKS1_PS1_EviT6_lT7_lT5_lS6_lS7_lS5_lT8_i
; %bb.0:
	s_load_dwordx2 s[4:5], s[0:1], 0x84
	s_add_u32 s8, s0, 0x78
	s_addc_u32 s9, s1, 0
	s_waitcnt lgkmcnt(0)
	s_lshr_b32 s6, s4, 16
	s_and_b32 s4, s4, 0xffff
	s_and_b32 s5, s5, 0xffff
	s_mul_i32 s4, s6, s4
	s_mul_i32 s4, s4, s5
	s_cmpk_lg_i32 s4, 0x100
	s_cbranch_scc1 .LBB6_196
; %bb.1:
	s_load_dwordx2 s[4:5], s[0:1], 0x4
	s_mov_b64 s[6:7], -1
	s_waitcnt lgkmcnt(0)
	s_or_b32 s4, s4, s5
	s_bitset0_b32 s4, 31
	s_cmp_lg_u32 s4, 0
	s_cselect_b64 s[4:5], -1, 0
	s_and_b64 vcc, exec, s[4:5]
	s_cbranch_vccnz .LBB6_3
; %bb.2:
	s_load_dwordx2 s[6:7], s[0:1], 0x58
	s_waitcnt lgkmcnt(0)
	v_cmp_neq_f32_e64 s[10:11], s6, 1.0
	v_cmp_neq_f32_e64 s[6:7], s7, 0
	s_or_b64 s[6:7], s[10:11], s[6:7]
.LBB6_3:
	s_andn2_b64 vcc, exec, s[6:7]
	s_cbranch_vccnz .LBB6_196
; %bb.4:
	s_andn2_b64 vcc, exec, s[4:5]
	s_cbranch_vccnz .LBB6_196
; %bb.5:
	s_load_dwordx2 s[10:11], s[0:1], 0x40
	s_load_dwordx2 s[12:13], s[0:1], 0x50
	s_load_dword s35, s[0:1], 0x48
	s_load_dword s33, s[8:9], 0x0
	;; [unrolled: 1-line block ×3, first 2 shown]
	s_load_dwordx4 s[4:7], s[0:1], 0x30
	s_waitcnt lgkmcnt(0)
	s_mul_i32 s8, s13, s3
	s_mul_hi_u32 s9, s12, s3
	s_add_i32 s9, s9, s8
	s_mul_i32 s8, s12, s3
	s_lshl_b64 s[8:9], s[8:9], 3
	s_add_u32 s8, s6, s8
	s_addc_u32 s9, s7, s9
	s_lshl_b64 s[6:7], s[10:11], 3
	s_add_u32 s6, s8, s6
	s_addc_u32 s7, s9, s7
	s_ashr_i32 s37, s36, 31
	s_lshr_b32 s9, s37, 26
	v_and_b32_e32 v50, 0x3ff, v0
	s_lshl_b32 s24, s2, 6
	s_add_i32 s9, s36, s9
	s_andn2_b32 s9, s9, 63
	v_add_u32_e32 v48, s24, v50
	v_bfe_u32 v49, v0, 10, 10
	s_add_i32 s8, s33, -1
	s_sub_i32 s34, s36, s9
	v_mul_lo_u32 v0, s35, v48
	s_cmp_eq_u32 s2, s8
	v_ashrrev_i32_e32 v1, 31, v0
	s_cselect_b32 s18, s34, 0
	v_lshl_add_u64 v[12:13], v[0:1], 3, s[6:7]
	v_cmp_eq_u32_e64 s[14:15], 0, v49
	s_and_saveexec_b64 s[6:7], s[14:15]
	s_cbranch_execz .LBB6_10
; %bb.6:
	s_cmp_lg_u32 s18, 0
	s_cselect_b64 s[8:9], -1, 0
	v_cmp_le_i32_e32 vcc, s18, v50
	v_mov_b32_e32 v0, 0x2380
	s_and_b64 s[8:9], s[8:9], vcc
	v_lshl_add_u32 v0, v50, 3, v0
	s_and_saveexec_b64 s[10:11], s[8:9]
	s_xor_b64 s[8:9], exec, s[10:11]
; %bb.7:
	v_mov_b32_e32 v2, 0
	v_mov_b32_e32 v3, v2
	ds_write_b64 v0, v[2:3]
                                        ; implicit-def: $vgpr0
; %bb.8:
	s_andn2_saveexec_b64 s[8:9], s[8:9]
	s_cbranch_execz .LBB6_10
; %bb.9:
	global_load_dwordx2 v[2:3], v[12:13], off
	s_waitcnt vmcnt(0)
	ds_write_b64 v0, v[2:3]
.LBB6_10:
	s_or_b64 exec, exec, s[6:7]
	s_load_dwordx4 s[8:11], s[0:1], 0x18
	s_load_dword s22, s[0:1], 0x28
	s_mul_i32 s5, s5, s3
	s_mul_hi_u32 s6, s4, s3
	s_add_i32 s5, s6, s5
	s_mul_i32 s4, s4, s3
	s_lshl_b64 s[4:5], s[4:5], 3
	s_waitcnt lgkmcnt(0)
	s_add_u32 s6, s8, s4
	s_addc_u32 s7, s9, s5
	s_lshl_b64 s[4:5], s[10:11], 3
	s_add_u32 s6, s6, s4
	s_addc_u32 s7, s7, s5
	s_ashr_i32 s25, s24, 31
	v_lshl_add_u32 v22, v49, 6, v50
	s_lshl_b64 s[4:5], s[24:25], 3
	v_and_b32_e32 v2, 31, v50
	v_lshrrev_b32_e32 v10, 5, v22
	s_add_u32 s4, s6, s4
	s_addc_u32 s5, s7, s5
	v_mad_u64_u32 v[14:15], s[6:7], s22, v10, v[2:3]
	v_ashrrev_i32_e32 v15, 31, v14
	v_lshl_add_u64 v[0:1], v[14:15], 3, s[4:5]
	s_mul_i32 s4, s22, s24
	s_ashr_i32 s5, s4, 31
	s_cmp_eq_u32 s18, 0
	s_cselect_b64 s[20:21], -1, 0
	s_cmp_lg_u32 s18, 0
	s_cselect_b64 s[26:27], -1, 0
	v_lshl_add_u64 v[6:7], s[4:5], 3, v[0:1]
	s_and_b64 vcc, exec, s[26:27]
	v_cmp_gt_i32_e64 s[4:5], s18, v2
	v_lshlrev_b32_e32 v0, 3, v2
	s_cbranch_vccz .LBB6_26
; %bb.11:
	v_sub_co_u32_e32 v4, vcc, v6, v0
	s_ashr_i32 s19, s18, 31
	s_nop 0
	v_subbrev_co_u32_e32 v5, vcc, 0, v7, vcc
	v_lshl_add_u64 v[4:5], s[18:19], 3, v[4:5]
	v_mov_b32_e32 v8, 0
	v_lshl_add_u64 v[4:5], v[4:5], 0, -8
	v_cndmask_b32_e64 v5, v5, v7, s[4:5]
	v_cndmask_b32_e64 v4, v4, v6, s[4:5]
	v_cmp_gt_i32_e32 vcc, s18, v10
	v_mov_b32_e32 v9, v8
	s_and_saveexec_b64 s[6:7], vcc
	s_cbranch_execz .LBB6_13
; %bb.12:
	global_load_dwordx2 v[8:9], v[4:5], off
.LBB6_13:
	s_or_b64 exec, exec, s[6:7]
	s_movk_i32 s6, 0x108
	v_mad_u32_u24 v3, v10, s6, v0
	v_mul_u32_u24_e32 v1, 0x108, v10
	s_waitcnt vmcnt(0)
	ds_write_b64 v3, v[8:9]
	v_add_u32_e32 v3, 8, v10
	v_cmp_le_i32_e32 vcc, s18, v3
	v_add_u32_e32 v1, v1, v0
	s_and_saveexec_b64 s[6:7], vcc
	s_xor_b64 s[6:7], exec, s[6:7]
; %bb.14:
	v_mov_b32_e32 v8, 0
	v_mov_b32_e32 v9, v8
	ds_write_b64 v1, v[8:9] offset:2112
; %bb.15:
	s_andn2_saveexec_b64 s[6:7], s[6:7]
	s_cbranch_execz .LBB6_17
; %bb.16:
	s_lshl_b32 s8, s22, 3
	s_ashr_i32 s9, s8, 31
	v_lshl_add_u64 v[8:9], s[8:9], 3, v[4:5]
	global_load_dwordx2 v[8:9], v[8:9], off
	s_waitcnt vmcnt(0)
	ds_write_b64 v1, v[8:9] offset:2112
.LBB6_17:
	s_or_b64 exec, exec, s[6:7]
	v_add_u32_e32 v3, 16, v10
	v_cmp_le_i32_e32 vcc, s18, v3
	s_and_saveexec_b64 s[6:7], vcc
	s_xor_b64 s[6:7], exec, s[6:7]
; %bb.18:
	v_mov_b32_e32 v8, 0
	v_mov_b32_e32 v9, v8
	ds_write_b64 v1, v[8:9] offset:4224
; %bb.19:
	s_andn2_saveexec_b64 s[6:7], s[6:7]
	s_cbranch_execz .LBB6_21
; %bb.20:
	s_lshl_b32 s8, s22, 4
	s_ashr_i32 s9, s8, 31
	v_lshl_add_u64 v[8:9], s[8:9], 3, v[4:5]
	global_load_dwordx2 v[8:9], v[8:9], off
	s_waitcnt vmcnt(0)
	ds_write_b64 v1, v[8:9] offset:4224
.LBB6_21:
	s_or_b64 exec, exec, s[6:7]
	v_add_u32_e32 v3, 24, v10
	v_cmp_le_i32_e32 vcc, s18, v3
	s_and_saveexec_b64 s[6:7], vcc
	s_xor_b64 s[6:7], exec, s[6:7]
; %bb.22:
	v_mov_b32_e32 v8, 0
	v_mov_b32_e32 v9, v8
	ds_write_b64 v1, v[8:9] offset:6336
                                        ; implicit-def: $vgpr1
; %bb.23:
	s_andn2_saveexec_b64 s[6:7], s[6:7]
	s_cbranch_execz .LBB6_25
; %bb.24:
	s_mul_i32 s8, s22, 24
	s_ashr_i32 s9, s8, 31
	v_lshl_add_u64 v[8:9], s[8:9], 3, v[4:5]
	global_load_dwordx2 v[8:9], v[8:9], off
	s_waitcnt vmcnt(0)
	ds_write_b64 v1, v[8:9] offset:6336
.LBB6_25:
	s_or_b64 exec, exec, s[6:7]
	v_mov_b32_e32 v1, 0
	v_lshl_add_u64 v[4:5], v[4:5], 0, v[0:1]
	s_lshl_b64 s[6:7], s[18:19], 3
	v_mov_b32_e32 v1, s7
	v_subrev_co_u32_e32 v4, vcc, s6, v4
	s_nop 1
	v_subb_co_u32_e32 v5, vcc, v5, v1, vcc
	v_lshl_add_u64 v[4:5], v[4:5], 0, 8
	v_cndmask_b32_e64 v5, v5, v7, s[4:5]
	v_cndmask_b32_e64 v4, v4, v6, s[4:5]
	s_branch .LBB6_28
.LBB6_26:
                                        ; implicit-def: $vgpr4_vgpr5
	s_cbranch_execz .LBB6_28
; %bb.27:
	s_lshl_b32 s4, s22, 3
	s_ashr_i32 s5, s4, 31
	s_ashr_i32 s23, s22, 31
	v_lshl_add_u64 v[4:5], s[4:5], 3, v[6:7]
	s_lshl_b64 s[4:5], s[22:23], 6
	v_lshl_add_u64 v[8:9], v[4:5], 0, s[4:5]
	v_lshl_add_u64 v[16:17], v[8:9], 0, s[4:5]
	global_load_dwordx2 v[18:19], v[6:7], off
	global_load_dwordx2 v[20:21], v[4:5], off
	;; [unrolled: 1-line block ×4, first 2 shown]
	v_mul_u32_u24_e32 v1, 0x108, v10
	v_lshl_add_u32 v1, v2, 3, v1
	v_mov_b64_e32 v[4:5], v[6:7]
	s_waitcnt vmcnt(3)
	ds_write_b64 v1, v[18:19]
	s_waitcnt vmcnt(2)
	ds_write_b64 v1, v[20:21] offset:2112
	s_waitcnt vmcnt(1)
	ds_write_b64 v1, v[24:25] offset:4224
	;; [unrolled: 2-line block ×3, first 2 shown]
.LBB6_28:
	v_lshlrev_b32_e32 v11, 2, v10
	v_mul_u32_u24_e32 v3, 0x108, v2
	v_cmp_le_u32_e64 s[6:7], v11, v2
	s_mov_b64 s[4:5], 0
	s_waitcnt lgkmcnt(0)
	s_barrier
                                        ; implicit-def: $vgpr6
	s_and_saveexec_b64 s[8:9], s[6:7]
	s_xor_b64 s[8:9], exec, s[8:9]
	s_cbranch_execz .LBB6_32
; %bb.29:
	v_cmp_eq_u32_e32 vcc, v11, v2
                                        ; implicit-def: $vgpr6
	s_and_saveexec_b64 s[10:11], vcc
	s_xor_b64 s[10:11], exec, s[10:11]
; %bb.30:
	s_mov_b64 s[4:5], exec
	v_add_u32_e32 v6, v0, v3
; %bb.31:
	s_or_b64 exec, exec, s[10:11]
	s_and_b64 s[4:5], s[4:5], exec
.LBB6_32:
	s_or_saveexec_b64 s[8:9], s[8:9]
	v_lshl_or_b32 v1, v2, 8, v0
	v_mov_b32_e32 v7, 0
	v_lshl_add_u32 v1, v11, 3, v1
	s_xor_b64 exec, exec, s[8:9]
	s_cbranch_execz .LBB6_34
; %bb.33:
	s_movk_i32 s10, 0x420
	v_mad_u32_u24 v6, v10, s10, v0
	ds_read_b64 v[6:7], v6
	s_or_b64 s[4:5], s[4:5], exec
	s_waitcnt lgkmcnt(0)
	v_xor_b32_e32 v7, 0x80000000, v7
	ds_write_b32 v1, v6
	v_mov_b32_e32 v6, v1
.LBB6_34:
	s_or_b64 exec, exec, s[8:9]
	s_and_saveexec_b64 s[8:9], s[4:5]
; %bb.35:
	ds_write_b32 v6, v7 offset:4
; %bb.36:
	s_or_b64 exec, exec, s[8:9]
	v_or_b32_e32 v16, 1, v11
	v_cmp_ge_u32_e64 s[8:9], v11, v2
	s_mov_b64 s[4:5], 0
                                        ; implicit-def: $vgpr7
                                        ; implicit-def: $vgpr6
	s_and_saveexec_b64 s[10:11], s[8:9]
	s_xor_b64 s[10:11], exec, s[10:11]
	s_cbranch_execnz .LBB6_66
; %bb.37:
	s_andn2_saveexec_b64 s[10:11], s[10:11]
	s_cbranch_execnz .LBB6_67
.LBB6_38:
	s_or_b64 exec, exec, s[10:11]
	s_and_saveexec_b64 s[10:11], s[4:5]
.LBB6_39:
	ds_write_b32 v6, v7 offset:4
.LBB6_40:
	s_or_b64 exec, exec, s[10:11]
	v_or_b32_e32 v17, 2, v11
	v_cmp_le_u32_e64 s[10:11], v17, v2
	s_mov_b64 s[4:5], 0
                                        ; implicit-def: $vgpr6
	s_and_saveexec_b64 s[12:13], s[10:11]
	s_xor_b64 s[12:13], exec, s[12:13]
	s_cbranch_execnz .LBB6_70
; %bb.41:
	s_or_saveexec_b64 s[12:13], s[12:13]
	v_mov_b32_e32 v7, 0
	s_xor_b64 exec, exec, s[12:13]
	s_cbranch_execnz .LBB6_73
.LBB6_42:
	s_or_b64 exec, exec, s[12:13]
	s_and_saveexec_b64 s[12:13], s[4:5]
.LBB6_43:
	ds_write_b32 v6, v7 offset:4
.LBB6_44:
	s_or_b64 exec, exec, s[12:13]
	v_or_b32_e32 v18, 3, v11
	v_cmp_le_u32_e64 s[12:13], v18, v2
	s_mov_b64 s[4:5], 0
                                        ; implicit-def: $vgpr6
	s_and_saveexec_b64 s[16:17], s[12:13]
	s_xor_b64 s[16:17], exec, s[16:17]
	s_cbranch_execnz .LBB6_74
; %bb.45:
	s_or_saveexec_b64 s[16:17], s[16:17]
	v_mov_b32_e32 v7, 0
	s_xor_b64 exec, exec, s[16:17]
	s_cbranch_execnz .LBB6_77
.LBB6_46:
	s_or_b64 exec, exec, s[16:17]
	s_and_saveexec_b64 s[16:17], s[4:5]
.LBB6_47:
	ds_write_b32 v6, v7 offset:4
.LBB6_48:
	s_or_b64 exec, exec, s[16:17]
	s_movk_i32 s4, 0x420
	v_mad_u32_u24 v1, v10, s4, v0
	s_movk_i32 s4, 0x108
	v_mad_u32_u24 v25, v16, s4, v0
	s_waitcnt lgkmcnt(0)
	s_barrier
	v_lshlrev_b32_e32 v19, 3, v11
	ds_read2_b64 v[6:9], v25 offset1:33
	ds_read_b64 v[20:21], v1
	ds_read_b128 v[26:29], v19 offset:9088
	ds_read_b64 v[34:35], v25 offset:528
	ds_read_b128 v[30:33], v19 offset:9104
	v_mul_u32_u24_e32 v23, 33, v2
	v_lshlrev_b32_e32 v23, 3, v23
	v_mov_b32_e32 v52, 0
	s_waitcnt lgkmcnt(2)
	v_pk_mul_f32 v[36:37], v[26:27], v[20:21] op_sel:[1,1] op_sel_hi:[0,1]
	v_pk_fma_f32 v[38:39], v[26:27], v[20:21], v[36:37] neg_lo:[0,0,1] neg_hi:[0,0,1]
	v_pk_fma_f32 v[20:21], v[26:27], v[20:21], v[36:37] op_sel_hi:[1,0,1]
	v_pk_mul_f32 v[26:27], v[28:29], v[6:7] op_sel:[1,1] op_sel_hi:[0,1]
	v_mov_b32_e32 v39, v21
	v_pk_fma_f32 v[36:37], v[28:29], v[6:7], v[26:27] neg_lo:[0,0,1] neg_hi:[0,0,1]
	v_pk_fma_f32 v[6:7], v[28:29], v[6:7], v[26:27] op_sel_hi:[1,0,1]
	v_pk_add_f32 v[20:21], v[38:39], 0 op_sel_hi:[1,0]
	v_mov_b32_e32 v37, v7
	v_pk_add_f32 v[6:7], v[20:21], v[36:37]
	s_waitcnt lgkmcnt(0)
	v_pk_mul_f32 v[20:21], v[30:31], v[8:9] op_sel:[1,1] op_sel_hi:[0,1]
	v_pk_fma_f32 v[26:27], v[30:31], v[8:9], v[20:21] neg_lo:[0,0,1] neg_hi:[0,0,1]
	v_pk_fma_f32 v[8:9], v[30:31], v[8:9], v[20:21] op_sel_hi:[1,0,1]
	v_lshl_add_u32 v24, v10, 3, v23
	v_mov_b32_e32 v27, v9
	v_pk_mul_f32 v[8:9], v[32:33], v[34:35] op_sel:[1,1] op_sel_hi:[0,1]
	v_pk_fma_f32 v[20:21], v[32:33], v[34:35], v[8:9] neg_lo:[0,0,1] neg_hi:[0,0,1]
	v_pk_fma_f32 v[8:9], v[32:33], v[34:35], v[8:9] op_sel_hi:[1,0,1]
	v_pk_add_f32 v[6:7], v[6:7], v[26:27]
	v_mov_b32_e32 v21, v9
	v_mov_b32_e32 v53, v52
	v_pk_add_f32 v[6:7], v[6:7], v[20:21]
	v_cmp_gt_u32_e64 s[4:5], 32, v22
	s_barrier
	ds_write_b64 v24, v[6:7]
	s_waitcnt lgkmcnt(0)
	s_barrier
	s_and_saveexec_b64 s[16:17], s[4:5]
	s_cbranch_execz .LBB6_50
; %bb.49:
	ds_read2_b64 v[6:9], v23 offset1:7
	ds_read2_b64 v[26:29], v23 offset0:1 offset1:2
	ds_read2_b64 v[30:33], v23 offset0:3 offset1:4
	s_waitcnt lgkmcnt(1)
	v_add_f32_e32 v1, v26, v6
	v_add_f32_e32 v6, v27, v7
	;; [unrolled: 1-line block ×4, first 2 shown]
	ds_read2_b64 v[26:29], v23 offset0:5 offset1:6
	s_waitcnt lgkmcnt(1)
	v_add_f32_e32 v1, v1, v30
	v_add_f32_e32 v6, v6, v31
	;; [unrolled: 1-line block ×4, first 2 shown]
	s_waitcnt lgkmcnt(0)
	v_add_f32_e32 v1, v1, v26
	v_add_f32_e32 v7, v6, v27
	;; [unrolled: 1-line block ×4, first 2 shown]
	v_pk_add_f32 v[52:53], v[6:7], v[8:9]
.LBB6_50:
	s_or_b64 exec, exec, s[16:17]
	s_lshl_b32 s28, s22, 5
	s_ashr_i32 s29, s28, 31
	v_lshl_add_u64 v[8:9], s[28:29], 3, v[4:5]
	s_mov_b64 s[16:17], 0x100
	v_lshl_add_u64 v[6:7], v[8:9], 0, s[16:17]
	s_and_b64 vcc, exec, s[26:27]
	s_barrier
	s_cbranch_vccz .LBB6_78
; %bb.51:
	v_sub_co_u32_e32 v4, vcc, v8, v0
	s_ashr_i32 s19, s18, 31
	s_nop 0
	v_subbrev_co_u32_e32 v5, vcc, 0, v9, vcc
	v_or_b32_e32 v1, 32, v2
	v_lshl_add_u64 v[4:5], s[18:19], 3, v[4:5]
	v_mov_b32_e32 v20, 0
	v_lshl_add_u64 v[4:5], v[4:5], 0, -8
	v_cmp_gt_i32_e32 vcc, s18, v1
	s_sub_i32 s23, s18, 32
	v_cmp_gt_i32_e64 s[16:17], s23, v10
	v_cndmask_b32_e32 v5, v5, v7, vcc
	v_cndmask_b32_e32 v4, v4, v6, vcc
	v_mov_b32_e32 v21, v20
	s_and_saveexec_b64 s[30:31], s[16:17]
	s_cbranch_execz .LBB6_53
; %bb.52:
	global_load_dwordx2 v[20:21], v[4:5], off
.LBB6_53:
	s_or_b64 exec, exec, s[30:31]
	s_movk_i32 s16, 0x108
	v_mad_u32_u24 v25, v10, s16, v0
	v_mul_u32_u24_e32 v1, 0x108, v10
	s_waitcnt vmcnt(0)
	ds_write_b64 v25, v[20:21]
	v_add_u32_e32 v20, 8, v10
	v_cmp_le_i32_e64 s[16:17], s23, v20
	v_add_u32_e32 v1, v1, v0
	s_and_saveexec_b64 s[30:31], s[16:17]
	s_xor_b64 s[16:17], exec, s[30:31]
; %bb.54:
	v_mov_b32_e32 v20, 0
	v_mov_b32_e32 v21, v20
	ds_write_b64 v1, v[20:21] offset:2112
; %bb.55:
	s_andn2_saveexec_b64 s[16:17], s[16:17]
	s_cbranch_execz .LBB6_57
; %bb.56:
	s_lshl_b32 s30, s22, 3
	s_ashr_i32 s31, s30, 31
	v_lshl_add_u64 v[20:21], s[30:31], 3, v[4:5]
	global_load_dwordx2 v[20:21], v[20:21], off
	s_waitcnt vmcnt(0)
	ds_write_b64 v1, v[20:21] offset:2112
.LBB6_57:
	s_or_b64 exec, exec, s[16:17]
	v_add_u32_e32 v20, 16, v10
	v_cmp_le_i32_e64 s[16:17], s23, v20
	s_and_saveexec_b64 s[30:31], s[16:17]
	s_xor_b64 s[16:17], exec, s[30:31]
; %bb.58:
	v_mov_b32_e32 v20, 0
	v_mov_b32_e32 v21, v20
	ds_write_b64 v1, v[20:21] offset:4224
; %bb.59:
	s_andn2_saveexec_b64 s[16:17], s[16:17]
	s_cbranch_execz .LBB6_61
; %bb.60:
	s_lshl_b32 s30, s22, 4
	s_ashr_i32 s31, s30, 31
	v_lshl_add_u64 v[20:21], s[30:31], 3, v[4:5]
	global_load_dwordx2 v[20:21], v[20:21], off
	s_waitcnt vmcnt(0)
	ds_write_b64 v1, v[20:21] offset:4224
.LBB6_61:
	s_or_b64 exec, exec, s[16:17]
	v_add_u32_e32 v20, 24, v10
	v_cmp_le_i32_e64 s[16:17], s23, v20
	s_and_saveexec_b64 s[30:31], s[16:17]
	s_xor_b64 s[16:17], exec, s[30:31]
; %bb.62:
	v_mov_b32_e32 v20, 0
	v_mov_b32_e32 v21, v20
	ds_write_b64 v1, v[20:21] offset:6336
                                        ; implicit-def: $vgpr1
; %bb.63:
	s_andn2_saveexec_b64 s[16:17], s[16:17]
	s_cbranch_execz .LBB6_65
; %bb.64:
	s_mul_i32 s30, s22, 24
	s_ashr_i32 s31, s30, 31
	v_lshl_add_u64 v[20:21], s[30:31], 3, v[4:5]
	global_load_dwordx2 v[20:21], v[20:21], off
	s_waitcnt vmcnt(0)
	ds_write_b64 v1, v[20:21] offset:6336
.LBB6_65:
	s_or_b64 exec, exec, s[16:17]
	v_mov_b32_e32 v1, 0
	v_lshl_add_u64 v[4:5], v[4:5], 0, v[0:1]
	s_lshl_b64 s[16:17], s[18:19], 3
	v_mov_b32_e32 v1, s17
	v_subrev_co_u32_e64 v4, s[16:17], s16, v4
	s_nop 1
	v_subb_co_u32_e64 v5, s[16:17], v5, v1, s[16:17]
	s_mov_b64 s[16:17], 0x108
	s_nop 0
	v_lshl_add_u64 v[4:5], v[4:5], 0, s[16:17]
	v_cndmask_b32_e32 v5, v5, v7, vcc
	v_cndmask_b32_e32 v4, v4, v6, vcc
	s_branch .LBB6_80
.LBB6_66:
	s_movk_i32 s12, 0x108
	v_mad_u32_u24 v6, v16, s12, v0
	ds_read_b64 v[8:9], v6
	s_mov_b64 s[4:5], exec
	v_add_u32_e32 v6, 8, v1
	s_waitcnt lgkmcnt(0)
	v_xor_b32_e32 v7, 0x80000000, v9
	ds_write_b32 v1, v8 offset:8
	s_andn2_saveexec_b64 s[10:11], s[10:11]
	s_cbranch_execz .LBB6_38
.LBB6_67:
	v_cmp_eq_u32_e32 vcc, v16, v2
	s_mov_b64 s[12:13], s[4:5]
                                        ; implicit-def: $vgpr6
	s_and_saveexec_b64 s[16:17], vcc
; %bb.68:
	v_add_u32_e32 v6, v0, v3
	s_or_b64 s[12:13], s[4:5], exec
; %bb.69:
	s_or_b64 exec, exec, s[16:17]
	s_andn2_b64 s[4:5], s[4:5], exec
	s_and_b64 s[12:13], s[12:13], exec
	v_mov_b32_e32 v7, 0
	s_or_b64 s[4:5], s[4:5], s[12:13]
	s_or_b64 exec, exec, s[10:11]
	s_and_saveexec_b64 s[10:11], s[4:5]
	s_cbranch_execnz .LBB6_39
	s_branch .LBB6_40
.LBB6_70:
	v_cmp_eq_u32_e32 vcc, v17, v2
                                        ; implicit-def: $vgpr6
	s_and_saveexec_b64 s[16:17], vcc
; %bb.71:
	s_mov_b64 s[4:5], exec
	v_add_u32_e32 v6, v0, v3
; %bb.72:
	s_or_b64 exec, exec, s[16:17]
	s_and_b64 s[4:5], s[4:5], exec
	s_or_saveexec_b64 s[12:13], s[12:13]
	v_mov_b32_e32 v7, 0
	s_xor_b64 exec, exec, s[12:13]
	s_cbranch_execz .LBB6_42
.LBB6_73:
	s_movk_i32 s16, 0x108
	v_mad_u32_u24 v6, v17, s16, v0
	ds_read_b64 v[8:9], v6
	v_add_u32_e32 v6, 16, v1
	s_or_b64 s[4:5], s[4:5], exec
	s_waitcnt lgkmcnt(0)
	v_xor_b32_e32 v7, 0x80000000, v9
	ds_write_b32 v1, v8 offset:16
	s_or_b64 exec, exec, s[12:13]
	s_and_saveexec_b64 s[12:13], s[4:5]
	s_cbranch_execnz .LBB6_43
	s_branch .LBB6_44
.LBB6_74:
	v_cmp_eq_u32_e32 vcc, v18, v2
                                        ; implicit-def: $vgpr6
	s_and_saveexec_b64 s[28:29], vcc
; %bb.75:
	s_mov_b64 s[4:5], exec
	v_add_u32_e32 v6, v0, v3
; %bb.76:
	s_or_b64 exec, exec, s[28:29]
	s_and_b64 s[4:5], s[4:5], exec
                                        ; implicit-def: $vgpr1
	s_or_saveexec_b64 s[16:17], s[16:17]
	v_mov_b32_e32 v7, 0
	s_xor_b64 exec, exec, s[16:17]
	s_cbranch_execz .LBB6_46
.LBB6_77:
	s_movk_i32 s19, 0x108
	v_mad_u32_u24 v6, v18, s19, v0
	ds_read_b64 v[8:9], v6
	v_add_u32_e32 v6, 24, v1
	s_or_b64 s[4:5], s[4:5], exec
	s_waitcnt lgkmcnt(0)
	v_xor_b32_e32 v7, 0x80000000, v9
	ds_write_b32 v1, v8 offset:24
	s_or_b64 exec, exec, s[16:17]
	s_and_saveexec_b64 s[16:17], s[4:5]
	s_cbranch_execnz .LBB6_47
	s_branch .LBB6_48
.LBB6_78:
                                        ; implicit-def: $vgpr4_vgpr5
	s_cbranch_execz .LBB6_80
; %bb.79:
	s_lshl_b32 s16, s22, 3
	s_ashr_i32 s17, s16, 31
	s_ashr_i32 s23, s22, 31
	v_lshl_add_u64 v[4:5], s[16:17], 3, v[8:9]
	s_lshl_b64 s[16:17], s[22:23], 6
	v_lshl_add_u64 v[20:21], v[4:5], 0, s[16:17]
	v_lshl_add_u64 v[26:27], v[20:21], 0, s[16:17]
	global_load_dwordx2 v[28:29], v[8:9], off offset:256
	global_load_dwordx2 v[30:31], v[4:5], off offset:256
	;; [unrolled: 1-line block ×4, first 2 shown]
	s_movk_i32 s16, 0x108
	v_mad_u32_u24 v1, v10, s16, v0
	v_mov_b64_e32 v[4:5], v[6:7]
	s_waitcnt vmcnt(3)
	ds_write_b64 v1, v[28:29]
	s_waitcnt vmcnt(2)
	ds_write_b64 v1, v[30:31] offset:2112
	s_waitcnt vmcnt(1)
	ds_write_b64 v1, v[32:33] offset:4224
	;; [unrolled: 2-line block ×3, first 2 shown]
.LBB6_80:
	v_mul_u32_u24_e32 v1, 0x420, v10
	s_mov_b64 s[16:17], 0
	s_waitcnt lgkmcnt(0)
	s_barrier
                                        ; implicit-def: $vgpr6
	s_and_saveexec_b64 s[30:31], s[6:7]
	s_xor_b64 s[6:7], exec, s[30:31]
	s_cbranch_execz .LBB6_84
; %bb.81:
	v_cmp_eq_u32_e32 vcc, v11, v2
                                        ; implicit-def: $vgpr6
	s_and_saveexec_b64 s[30:31], vcc
	s_xor_b64 s[30:31], exec, s[30:31]
; %bb.82:
	s_mov_b64 s[16:17], exec
	v_add_u32_e32 v6, v0, v3
; %bb.83:
	s_or_b64 exec, exec, s[30:31]
	s_and_b64 s[16:17], s[16:17], exec
.LBB6_84:
	s_or_saveexec_b64 s[6:7], s[6:7]
	v_mov_b32_e32 v7, 0
	v_add_u32_e32 v8, v0, v1
	v_lshl_add_u32 v1, v11, 3, v23
	s_xor_b64 exec, exec, s[6:7]
	s_cbranch_execz .LBB6_86
; %bb.85:
	ds_read_b64 v[6:7], v8
	s_or_b64 s[16:17], s[16:17], exec
	s_waitcnt lgkmcnt(0)
	v_xor_b32_e32 v7, 0x80000000, v7
	ds_write_b32 v1, v6
	v_mov_b32_e32 v6, v1
.LBB6_86:
	s_or_b64 exec, exec, s[6:7]
	v_mul_u32_u24_e32 v9, 0x108, v16
	s_and_saveexec_b64 s[6:7], s[16:17]
; %bb.87:
	ds_write_b32 v6, v7 offset:4
; %bb.88:
	s_or_b64 exec, exec, s[6:7]
	s_mov_b64 s[6:7], 0
	v_add_u32_e32 v9, v0, v9
                                        ; implicit-def: $vgpr7
                                        ; implicit-def: $vgpr6
	s_and_saveexec_b64 s[16:17], s[8:9]
	s_xor_b64 s[8:9], exec, s[16:17]
	s_cbranch_execnz .LBB6_118
; %bb.89:
	s_andn2_saveexec_b64 s[8:9], s[8:9]
	s_cbranch_execnz .LBB6_119
.LBB6_90:
	s_or_b64 exec, exec, s[8:9]
	s_and_saveexec_b64 s[8:9], s[6:7]
.LBB6_91:
	ds_write_b32 v6, v7 offset:4
.LBB6_92:
	s_or_b64 exec, exec, s[8:9]
	s_mov_b64 s[6:7], 0
                                        ; implicit-def: $vgpr6
	s_and_saveexec_b64 s[8:9], s[10:11]
	s_xor_b64 s[8:9], exec, s[8:9]
	s_cbranch_execnz .LBB6_122
; %bb.93:
	s_or_saveexec_b64 s[8:9], s[8:9]
	v_mov_b32_e32 v7, 0
	s_xor_b64 exec, exec, s[8:9]
	s_cbranch_execnz .LBB6_125
.LBB6_94:
	s_or_b64 exec, exec, s[8:9]
	s_and_saveexec_b64 s[8:9], s[6:7]
.LBB6_95:
	ds_write_b32 v6, v7 offset:4
.LBB6_96:
	s_or_b64 exec, exec, s[8:9]
	s_mov_b64 s[6:7], 0
                                        ; implicit-def: $vgpr6
	s_and_saveexec_b64 s[8:9], s[12:13]
	s_xor_b64 s[8:9], exec, s[8:9]
	s_cbranch_execnz .LBB6_126
; %bb.97:
	s_or_saveexec_b64 s[8:9], s[8:9]
	v_mov_b32_e32 v3, 0
	s_xor_b64 exec, exec, s[8:9]
	s_cbranch_execnz .LBB6_129
.LBB6_98:
	s_or_b64 exec, exec, s[8:9]
	v_add_u32_e32 v25, 0x2380, v19
	s_and_saveexec_b64 s[8:9], s[6:7]
.LBB6_99:
	ds_write_b32 v6, v3 offset:4
.LBB6_100:
	s_or_b64 exec, exec, s[8:9]
	s_waitcnt lgkmcnt(0)
	s_barrier
	ds_read_b64 v[6:7], v8
	ds_read_b128 v[16:19], v25 offset:256
	ds_read2_b64 v[26:29], v9 offset1:33
	ds_read_b64 v[20:21], v9 offset:528
	ds_read_b128 v[30:33], v25 offset:272
	v_cmp_eq_u32_e64 s[6:7], 1, v10
	s_waitcnt lgkmcnt(3)
	v_pk_mul_f32 v[34:35], v[16:17], v[6:7] op_sel:[1,1] op_sel_hi:[0,1]
	v_pk_fma_f32 v[36:37], v[16:17], v[6:7], v[34:35] neg_lo:[0,0,1] neg_hi:[0,0,1]
	v_pk_fma_f32 v[6:7], v[16:17], v[6:7], v[34:35] op_sel_hi:[1,0,1]
	s_waitcnt lgkmcnt(2)
	v_pk_mul_f32 v[16:17], v[18:19], v[26:27] op_sel:[1,1] op_sel_hi:[0,1]
	v_pk_fma_f32 v[34:35], v[18:19], v[26:27], v[16:17] neg_lo:[0,0,1] neg_hi:[0,0,1]
	v_pk_fma_f32 v[16:17], v[18:19], v[26:27], v[16:17] op_sel_hi:[1,0,1]
	v_mov_b32_e32 v37, v7
	v_mov_b32_e32 v35, v17
	s_waitcnt lgkmcnt(0)
	v_pk_mul_f32 v[16:17], v[30:31], v[28:29] op_sel:[1,1] op_sel_hi:[0,1]
	v_pk_add_f32 v[6:7], v[36:37], 0 op_sel_hi:[1,0]
	v_pk_fma_f32 v[18:19], v[30:31], v[28:29], v[16:17] neg_lo:[0,0,1] neg_hi:[0,0,1]
	v_pk_fma_f32 v[16:17], v[30:31], v[28:29], v[16:17] op_sel_hi:[1,0,1]
	v_pk_add_f32 v[6:7], v[6:7], v[34:35]
	v_mov_b32_e32 v19, v17
	v_pk_mul_f32 v[16:17], v[32:33], v[20:21] op_sel:[1,1] op_sel_hi:[0,1]
	v_pk_add_f32 v[6:7], v[6:7], v[18:19]
	v_pk_fma_f32 v[18:19], v[32:33], v[20:21], v[16:17] neg_lo:[0,0,1] neg_hi:[0,0,1]
	v_pk_fma_f32 v[16:17], v[32:33], v[20:21], v[16:17] op_sel_hi:[1,0,1]
	s_nop 0
	v_mov_b32_e32 v19, v17
	v_pk_add_f32 v[6:7], v[6:7], v[18:19]
	s_barrier
	ds_write_b64 v24, v[6:7]
	s_waitcnt lgkmcnt(0)
	s_barrier
	s_and_saveexec_b64 s[8:9], s[6:7]
	s_cbranch_execz .LBB6_102
; %bb.101:
	ds_read2_b64 v[16:19], v23 offset1:7
	ds_read2_b64 v[26:29], v23 offset0:1 offset1:2
	ds_read2_b64 v[30:33], v23 offset0:3 offset1:4
	s_waitcnt lgkmcnt(1)
	v_add_f32_e32 v1, v26, v16
	v_add_f32_e32 v3, v27, v17
	;; [unrolled: 1-line block ×4, first 2 shown]
	ds_read2_b64 v[26:29], v23 offset0:5 offset1:6
	s_waitcnt lgkmcnt(1)
	v_add_f32_e32 v1, v1, v30
	v_add_f32_e32 v3, v3, v31
	;; [unrolled: 1-line block ×4, first 2 shown]
	s_waitcnt lgkmcnt(0)
	v_add_f32_e32 v6, v1, v26
	v_add_f32_e32 v7, v3, v27
	v_pk_add_f32 v[6:7], v[6:7], v[28:29]
	s_nop 0
	v_pk_add_f32 v[52:53], v[6:7], v[18:19]
.LBB6_102:
	s_or_b64 exec, exec, s[8:9]
	s_movk_i32 s8, 0xff00
	s_mov_b32 s9, -1
	v_lshl_add_u64 v[6:7], v[4:5], 0, s[8:9]
	s_and_b64 vcc, exec, s[26:27]
	s_barrier
	s_cbranch_vccz .LBB6_130
; %bb.103:
	v_sub_co_u32_e32 v18, vcc, v4, v0
	s_ashr_i32 s19, s18, 31
	s_nop 0
	v_subbrev_co_u32_e32 v19, vcc, 0, v5, vcc
	s_movk_i32 s8, 0xfef8
	v_lshl_add_u64 v[18:19], s[18:19], 3, v[18:19]
	s_mov_b32 s9, -1
	v_mov_b32_e32 v16, 0
	v_lshl_add_u64 v[18:19], v[18:19], 0, s[8:9]
	v_cmp_gt_i32_e32 vcc, s18, v2
	s_sub_i32 s12, s18, 32
	v_cmp_gt_i32_e64 s[8:9], s12, v10
	v_cndmask_b32_e32 v3, v19, v7, vcc
	v_cndmask_b32_e32 v2, v18, v6, vcc
	v_mov_b32_e32 v17, v16
	s_and_saveexec_b64 s[10:11], s[8:9]
	s_cbranch_execz .LBB6_105
; %bb.104:
	global_load_dwordx2 v[16:17], v[2:3], off
.LBB6_105:
	s_or_b64 exec, exec, s[10:11]
	s_movk_i32 s8, 0x108
	v_mad_u32_u24 v11, v10, s8, v0
	v_mul_u32_u24_e32 v1, 0x108, v10
	s_waitcnt vmcnt(0)
	ds_write_b64 v11, v[16:17]
	v_add_u32_e32 v11, 8, v10
	v_cmp_le_i32_e64 s[8:9], s12, v11
	v_add_u32_e32 v1, v1, v0
	s_and_saveexec_b64 s[10:11], s[8:9]
	s_xor_b64 s[8:9], exec, s[10:11]
; %bb.106:
	v_mov_b32_e32 v16, 0
	v_mov_b32_e32 v17, v16
	ds_write_b64 v1, v[16:17] offset:2112
; %bb.107:
	s_andn2_saveexec_b64 s[8:9], s[8:9]
	s_cbranch_execz .LBB6_109
; %bb.108:
	s_lshl_b32 s10, s22, 3
	s_ashr_i32 s11, s10, 31
	v_lshl_add_u64 v[16:17], s[10:11], 3, v[2:3]
	global_load_dwordx2 v[16:17], v[16:17], off
	s_waitcnt vmcnt(0)
	ds_write_b64 v1, v[16:17] offset:2112
.LBB6_109:
	s_or_b64 exec, exec, s[8:9]
	v_add_u32_e32 v18, 16, v10
	v_cmp_le_i32_e64 s[8:9], s12, v18
	s_and_saveexec_b64 s[10:11], s[8:9]
	s_xor_b64 s[8:9], exec, s[10:11]
; %bb.110:
	v_mov_b32_e32 v16, 0
	v_mov_b32_e32 v17, v16
	ds_write_b64 v1, v[16:17] offset:4224
; %bb.111:
	s_andn2_saveexec_b64 s[8:9], s[8:9]
	s_cbranch_execz .LBB6_113
; %bb.112:
	s_lshl_b32 s10, s22, 4
	s_ashr_i32 s11, s10, 31
	v_lshl_add_u64 v[16:17], s[10:11], 3, v[2:3]
	global_load_dwordx2 v[16:17], v[16:17], off
	s_waitcnt vmcnt(0)
	ds_write_b64 v1, v[16:17] offset:4224
.LBB6_113:
	s_or_b64 exec, exec, s[8:9]
	v_add_u32_e32 v19, 24, v10
	v_cmp_le_i32_e64 s[8:9], s12, v19
	s_and_saveexec_b64 s[10:11], s[8:9]
	s_xor_b64 s[8:9], exec, s[10:11]
; %bb.114:
	v_mov_b32_e32 v16, 0
	v_mov_b32_e32 v17, v16
	ds_write_b64 v1, v[16:17] offset:6336
                                        ; implicit-def: $vgpr1
; %bb.115:
	s_andn2_saveexec_b64 s[8:9], s[8:9]
	s_cbranch_execz .LBB6_117
; %bb.116:
	s_mul_i32 s10, s22, 24
	s_ashr_i32 s11, s10, 31
	v_lshl_add_u64 v[16:17], s[10:11], 3, v[2:3]
	global_load_dwordx2 v[16:17], v[16:17], off
	s_waitcnt vmcnt(0)
	ds_write_b64 v1, v[16:17] offset:6336
.LBB6_117:
	s_or_b64 exec, exec, s[8:9]
	v_mov_b32_e32 v1, 0
	v_lshl_add_u64 v[2:3], v[2:3], 0, v[0:1]
	s_lshl_b64 s[8:9], s[18:19], 3
	v_mov_b32_e32 v1, s9
	v_subrev_co_u32_e64 v2, s[8:9], s8, v2
	s_nop 1
	v_subb_co_u32_e64 v3, s[8:9], v3, v1, s[8:9]
	v_lshl_add_u64 v[2:3], v[2:3], 0, 8
	v_cndmask_b32_e32 v17, v3, v7, vcc
	v_cndmask_b32_e32 v16, v2, v6, vcc
	s_branch .LBB6_132
.LBB6_118:
	ds_read_b64 v[20:21], v9
	s_mov_b64 s[6:7], exec
	v_add_u32_e32 v6, 8, v1
                                        ; implicit-def: $vgpr16
	s_waitcnt lgkmcnt(0)
	v_xor_b32_e32 v7, 0x80000000, v21
	ds_write_b32 v1, v20 offset:8
	s_andn2_saveexec_b64 s[8:9], s[8:9]
	s_cbranch_execz .LBB6_90
.LBB6_119:
	v_cmp_eq_u32_e32 vcc, v16, v2
	s_mov_b64 s[16:17], s[6:7]
                                        ; implicit-def: $vgpr6
	s_and_saveexec_b64 s[30:31], vcc
; %bb.120:
	v_add_u32_e32 v6, v0, v3
	s_or_b64 s[16:17], s[6:7], exec
; %bb.121:
	s_or_b64 exec, exec, s[30:31]
	s_andn2_b64 s[6:7], s[6:7], exec
	s_and_b64 s[16:17], s[16:17], exec
	v_mov_b32_e32 v7, 0
	s_or_b64 s[6:7], s[6:7], s[16:17]
	s_or_b64 exec, exec, s[8:9]
	s_and_saveexec_b64 s[8:9], s[6:7]
	s_cbranch_execnz .LBB6_91
	s_branch .LBB6_92
.LBB6_122:
	v_cmp_eq_u32_e32 vcc, v17, v2
                                        ; implicit-def: $vgpr6
	s_and_saveexec_b64 s[10:11], vcc
; %bb.123:
	s_mov_b64 s[6:7], exec
	v_add_u32_e32 v6, v0, v3
; %bb.124:
	s_or_b64 exec, exec, s[10:11]
	s_and_b64 s[6:7], s[6:7], exec
	s_or_saveexec_b64 s[8:9], s[8:9]
	v_mov_b32_e32 v7, 0
	s_xor_b64 exec, exec, s[8:9]
	s_cbranch_execz .LBB6_94
.LBB6_125:
	ds_read_b64 v[16:17], v9 offset:264
	v_add_u32_e32 v6, 16, v1
	s_or_b64 s[6:7], s[6:7], exec
	s_waitcnt lgkmcnt(0)
	v_xor_b32_e32 v7, 0x80000000, v17
	ds_write_b32 v1, v16 offset:16
	s_or_b64 exec, exec, s[8:9]
	s_and_saveexec_b64 s[8:9], s[6:7]
	s_cbranch_execnz .LBB6_95
	s_branch .LBB6_96
.LBB6_126:
	v_cmp_eq_u32_e32 vcc, v18, v2
                                        ; implicit-def: $vgpr6
	s_and_saveexec_b64 s[10:11], vcc
; %bb.127:
	s_mov_b64 s[6:7], exec
	v_add_u32_e32 v6, v0, v3
; %bb.128:
	s_or_b64 exec, exec, s[10:11]
	s_and_b64 s[6:7], s[6:7], exec
                                        ; implicit-def: $vgpr1
	s_or_saveexec_b64 s[8:9], s[8:9]
	v_mov_b32_e32 v3, 0
	s_xor_b64 exec, exec, s[8:9]
	s_cbranch_execz .LBB6_98
.LBB6_129:
	ds_read_b64 v[16:17], v9 offset:528
	v_add_u32_e32 v6, 24, v1
	s_or_b64 s[6:7], s[6:7], exec
	s_waitcnt lgkmcnt(0)
	v_xor_b32_e32 v3, 0x80000000, v17
	ds_write_b32 v1, v16 offset:24
	s_or_b64 exec, exec, s[8:9]
	v_add_u32_e32 v25, 0x2380, v19
	s_and_saveexec_b64 s[8:9], s[6:7]
	s_cbranch_execnz .LBB6_99
	s_branch .LBB6_100
.LBB6_130:
                                        ; implicit-def: $vgpr16_vgpr17
                                        ; implicit-def: $vgpr11
                                        ; implicit-def: $vgpr18
                                        ; implicit-def: $vgpr19
	s_cbranch_execz .LBB6_132
; %bb.131:
	s_lshl_b32 s8, s22, 3
	s_ashr_i32 s9, s8, 31
	s_ashr_i32 s23, s22, 31
	v_lshl_add_u64 v[2:3], s[8:9], 3, v[4:5]
	s_lshl_b64 s[8:9], s[22:23], 6
	v_lshl_add_u64 v[16:17], v[2:3], 0, s[8:9]
	v_lshl_add_u64 v[18:19], v[16:17], 0, s[8:9]
	global_load_dwordx2 v[20:21], v[4:5], off offset:-256
	global_load_dwordx2 v[26:27], v[2:3], off offset:-256
	;; [unrolled: 1-line block ×4, first 2 shown]
	s_movk_i32 s8, 0x108
	v_add_u32_e32 v11, 8, v10
	v_add_u32_e32 v18, 16, v10
	;; [unrolled: 1-line block ×3, first 2 shown]
	v_mad_u32_u24 v0, v10, s8, v0
	v_mov_b64_e32 v[16:17], v[6:7]
	s_waitcnt vmcnt(3)
	ds_write_b64 v0, v[20:21]
	s_waitcnt vmcnt(2)
	ds_write_b64 v0, v[26:27] offset:2112
	s_waitcnt vmcnt(1)
	ds_write_b64 v0, v[28:29] offset:4224
	;; [unrolled: 2-line block ×3, first 2 shown]
.LBB6_132:
	v_lshlrev_b32_e32 v4, 3, v10
	v_lshlrev_b32_e32 v6, 3, v11
	;; [unrolled: 1-line block ×4, first 2 shown]
	v_add_u32_e32 v5, v23, v4
	v_add_u32_e32 v7, v23, v6
	;; [unrolled: 1-line block ×4, first 2 shown]
	s_waitcnt lgkmcnt(0)
	s_barrier
	ds_read2_b64 v[0:3], v9 offset1:33
	ds_read_b64 v[20:21], v8
	ds_read_b64 v[18:19], v9 offset:528
	ds_read_b64 v[26:27], v5
	ds_read_b64 v[28:29], v7
	ds_read_b64 v[30:31], v6 offset:9088
	ds_read_b64 v[32:33], v4 offset:9088
	ds_read_b64 v[34:35], v11
	ds_read_b64 v[36:37], v36
	ds_read_b64 v[38:39], v38 offset:9088
	ds_read_b64 v[40:41], v10 offset:9088
	ds_read_b128 v[8:11], v25 offset:256
	ds_read_b128 v[4:7], v25 offset:272
	s_waitcnt lgkmcnt(6)
	v_pk_mul_f32 v[42:43], v[26:27], v[32:33] op_sel:[1,1] op_sel_hi:[1,0]
	v_pk_mul_f32 v[44:45], v[28:29], v[30:31] op_sel:[1,1] op_sel_hi:[1,0]
	v_pk_fma_f32 v[56:57], v[26:27], v[32:33], v[42:43]
	v_pk_fma_f32 v[26:27], v[26:27], v[32:33], v[42:43] op_sel_hi:[0,1,1] neg_lo:[0,0,1] neg_hi:[0,0,1]
	s_waitcnt lgkmcnt(2)
	v_pk_mul_f32 v[46:47], v[34:35], v[40:41] op_sel:[1,1] op_sel_hi:[1,0]
	v_mov_b32_e32 v57, v27
	v_pk_fma_f32 v[32:33], v[28:29], v[30:31], v[44:45]
	v_pk_fma_f32 v[28:29], v[28:29], v[30:31], v[44:45] op_sel_hi:[0,1,1] neg_lo:[0,0,1] neg_hi:[0,0,1]
	v_pk_add_f32 v[26:27], v[56:57], 0 op_sel_hi:[1,0]
	v_mov_b32_e32 v33, v29
	v_pk_fma_f32 v[28:29], v[34:35], v[40:41], v[46:47]
	v_pk_fma_f32 v[30:31], v[34:35], v[40:41], v[46:47] op_sel_hi:[0,1,1] neg_lo:[0,0,1] neg_hi:[0,0,1]
	v_pk_mul_f32 v[54:55], v[36:37], v[38:39] op_sel:[1,1] op_sel_hi:[1,0]
	v_pk_add_f32 v[26:27], v[26:27], v[32:33]
	v_mov_b32_e32 v29, v31
	v_pk_add_f32 v[26:27], v[26:27], v[28:29]
	v_pk_fma_f32 v[28:29], v[36:37], v[38:39], v[54:55]
	v_pk_fma_f32 v[30:31], v[36:37], v[38:39], v[54:55] op_sel_hi:[0,1,1] neg_lo:[0,0,1] neg_hi:[0,0,1]
	v_mov_b32_e32 v29, v31
	v_pk_add_f32 v[26:27], v[26:27], v[28:29]
	s_waitcnt lgkmcnt(0)
	s_barrier
	ds_write_b64 v24, v[26:27]
	s_waitcnt lgkmcnt(0)
	s_barrier
	s_and_saveexec_b64 s[8:9], s[6:7]
	s_cbranch_execz .LBB6_134
; %bb.133:
	ds_read2_b64 v[26:29], v23 offset1:1
	ds_read2_b64 v[30:33], v23 offset0:2 offset1:3
	ds_read2_b64 v[34:37], v23 offset0:4 offset1:5
	s_waitcnt lgkmcnt(2)
	v_pk_add_f32 v[26:27], v[52:53], v[26:27]
	s_nop 0
	v_pk_add_f32 v[38:39], v[26:27], v[28:29]
	ds_read2_b64 v[26:29], v23 offset0:6 offset1:7
	s_waitcnt lgkmcnt(2)
	v_pk_add_f32 v[30:31], v[38:39], v[30:31]
	s_nop 0
	v_pk_add_f32 v[30:31], v[30:31], v[32:33]
	s_waitcnt lgkmcnt(1)
	v_pk_add_f32 v[30:31], v[30:31], v[34:35]
	s_nop 0
	v_pk_add_f32 v[30:31], v[30:31], v[36:37]
	;; [unrolled: 4-line block ×3, first 2 shown]
.LBB6_134:
	s_or_b64 exec, exec, s[8:9]
	v_pk_mul_f32 v[26:27], v[8:9], v[20:21] op_sel:[1,1] op_sel_hi:[0,1]
	v_pk_fma_f32 v[28:29], v[8:9], v[20:21], v[26:27] neg_lo:[0,0,1] neg_hi:[0,0,1]
	v_pk_fma_f32 v[8:9], v[8:9], v[20:21], v[26:27] op_sel_hi:[1,0,1]
	v_pk_mul_f32 v[20:21], v[10:11], v[0:1] op_sel:[1,1] op_sel_hi:[0,1]
	v_mov_b32_e32 v29, v9
	v_pk_fma_f32 v[26:27], v[10:11], v[0:1], v[20:21] neg_lo:[0,0,1] neg_hi:[0,0,1]
	v_pk_fma_f32 v[0:1], v[10:11], v[0:1], v[20:21] op_sel_hi:[1,0,1]
	v_pk_add_f32 v[8:9], v[28:29], 0 op_sel_hi:[1,0]
	v_mov_b32_e32 v27, v1
	v_pk_add_f32 v[0:1], v[8:9], v[26:27]
	v_pk_mul_f32 v[8:9], v[4:5], v[2:3] op_sel:[1,1] op_sel_hi:[0,1]
	v_pk_fma_f32 v[10:11], v[4:5], v[2:3], v[8:9] neg_lo:[0,0,1] neg_hi:[0,0,1]
	v_pk_fma_f32 v[2:3], v[4:5], v[2:3], v[8:9] op_sel_hi:[1,0,1]
	s_nop 0
	v_mov_b32_e32 v11, v3
	v_pk_mul_f32 v[2:3], v[6:7], v[18:19] op_sel:[1,1] op_sel_hi:[0,1]
	v_pk_fma_f32 v[4:5], v[6:7], v[18:19], v[2:3] neg_lo:[0,0,1] neg_hi:[0,0,1]
	v_pk_fma_f32 v[2:3], v[6:7], v[18:19], v[2:3] op_sel_hi:[1,0,1]
	v_pk_add_f32 v[0:1], v[0:1], v[10:11]
	v_mov_b32_e32 v5, v3
	v_pk_add_f32 v[0:1], v[0:1], v[4:5]
	s_barrier
	ds_write_b64 v24, v[0:1]
	s_waitcnt lgkmcnt(0)
	s_barrier
	s_and_saveexec_b64 s[6:7], s[4:5]
	s_cbranch_execz .LBB6_136
; %bb.135:
	ds_read2_b64 v[0:3], v23 offset1:1
	ds_read2_b64 v[4:7], v23 offset0:2 offset1:3
	ds_read2_b64 v[8:11], v23 offset0:4 offset1:5
	s_waitcnt lgkmcnt(2)
	v_pk_add_f32 v[0:1], v[52:53], v[0:1]
	s_nop 0
	v_pk_add_f32 v[18:19], v[0:1], v[2:3]
	ds_read2_b64 v[0:3], v23 offset0:6 offset1:7
	s_waitcnt lgkmcnt(2)
	v_pk_add_f32 v[4:5], v[18:19], v[4:5]
	s_nop 0
	v_pk_add_f32 v[4:5], v[4:5], v[6:7]
	s_waitcnt lgkmcnt(1)
	v_pk_add_f32 v[4:5], v[4:5], v[8:9]
	s_nop 0
	v_pk_add_f32 v[4:5], v[4:5], v[10:11]
	;; [unrolled: 4-line block ×3, first 2 shown]
.LBB6_136:
	s_or_b64 exec, exec, s[6:7]
	s_load_dwordx2 s[0:1], s[0:1], 0x68
	s_mul_hi_u32 s4, s36, s3
	s_mul_i32 s37, s37, s3
	s_add_i32 s4, s4, s37
	s_mul_i32 s3, s36, s3
	s_mul_i32 s4, s4, s33
	s_mul_hi_u32 s5, s3, s33
	s_add_i32 s5, s5, s4
	s_mul_i32 s4, s3, s33
	s_lshl_b64 s[4:5], s[4:5], 3
	s_waitcnt lgkmcnt(0)
	s_add_u32 s3, s0, s4
	s_addc_u32 s4, s1, s5
	s_mul_hi_i32 s1, s36, s2
	s_mul_i32 s0, s36, s2
	s_lshl_b64 s[0:1], s[0:1], 3
	s_add_u32 s6, s3, s0
	s_addc_u32 s7, s4, s1
	s_add_i32 s8, s2, 1
	s_cmp_ge_u32 s8, s33
	v_lshlrev_b32_e32 v51, 3, v50
	s_barrier
	s_cbranch_scc1 .LBB6_194
; %bb.137:
	v_lshrrev_b32_e32 v2, 4, v22
	v_mov_b32_e32 v4, 0x2180
	s_mul_i32 s0, s35, s24
	v_lshl_add_u32 v136, v49, 5, v4
	v_lshlrev_b32_e32 v4, 5, v2
	v_mul_i32_i24_e32 v6, 0xffffffe8, v2
	v_and_b32_e32 v2, 48, v50
	s_ashr_i32 s1, s0, 31
	v_and_b32_e32 v3, 15, v50
	s_movk_i32 s10, 0x218
	s_lshl_b32 s4, s22, 4
	v_lshlrev_b32_e32 v2, 3, v2
	s_lshl_b64 s[0:1], s[0:1], 3
	s_lshl_b32 s19, s35, 6
	s_ashr_i32 s5, s4, 31
	v_mad_u32_u24 v139, v3, s10, v2
	v_or_b32_e32 v2, 0x78, v51
	s_ashr_i32 s23, s22, 31
	s_lshl_b32 s16, s22, 1
	s_mul_i32 s24, s22, 3
	s_mul_i32 s35, s35, s8
	v_lshlrev_b32_e32 v134, 2, v49
	v_mov_b32_e32 v0, s1
	v_subrev_co_u32_e32 v54, vcc, s0, v12
	s_add_i32 s3, s33, -2
	v_mad_u32_u24 v138, v3, s10, v4
	v_mad_u32_u24 v140, v3, s10, v2
	s_ashr_i32 s17, s16, 31
	s_ashr_i32 s25, s24, 31
	s_lshl_b64 s[12:13], s[22:23], 3
	s_lshl_b32 s8, s35, 6
	s_lshl_b64 s[26:27], s[28:29], 3
	s_lshl_b64 s[10:11], s[4:5], 5
	;; [unrolled: 1-line block ×3, first 2 shown]
	v_subb_co_u32_e32 v55, vcc, v13, v0, vcc
	v_mad_u64_u32 v[0:1], s[0:1], s22, v134, v[50:51]
	v_lshlrev_b64 v[2:3], 3, v[14:15]
	s_add_u32 s36, s30, s26
	v_ashrrev_i32_e32 v1, 31, v0
	v_sub_co_u32_e32 v56, vcc, 0, v2
	s_addc_u32 s37, s31, s27
	s_nop 0
	v_subb_co_u32_e32 v57, vcc, 0, v3, vcc
	v_lshlrev_b64 v[2:3], 3, v[0:1]
	s_add_u32 s38, s12, s26
	v_lshl_add_u64 v[4:5], s[26:27], 0, v[2:3]
	s_addc_u32 s39, s13, s27
	s_lshl_b64 s[16:17], s[16:17], 3
	v_lshl_add_u64 v[58:59], v[16:17], 0, v[4:5]
	v_lshl_add_u64 v[4:5], s[36:37], 0, v[2:3]
	s_add_u32 s40, s26, s16
	v_lshl_add_u64 v[60:61], v[16:17], 0, v[4:5]
	v_lshl_add_u64 v[4:5], s[38:39], 0, v[2:3]
	s_addc_u32 s41, s27, s17
	s_lshl_b64 s[24:25], s[24:25], 3
	v_lshl_add_u64 v[62:63], v[16:17], 0, v[4:5]
	v_lshl_add_u64 v[4:5], s[40:41], 0, v[2:3]
	s_add_u32 s40, s26, s24
	s_addc_u32 s41, s27, s25
	v_lshl_add_u64 v[64:65], v[16:17], 0, v[4:5]
	v_lshl_add_u64 v[4:5], s[40:41], 0, v[2:3]
	s_lshl_b64 s[40:41], s[4:5], 3
	s_add_u32 s42, s26, s40
	s_addc_u32 s43, s27, s41
	s_add_u32 s38, s38, s40
	v_lshl_add_u64 v[66:67], v[16:17], 0, v[4:5]
	v_lshl_add_u64 v[4:5], s[42:43], 0, v[2:3]
	s_addc_u32 s39, s39, s41
	v_lshl_add_u64 v[68:69], v[16:17], 0, v[4:5]
	v_lshl_add_u64 v[4:5], s[38:39], 0, v[2:3]
	s_add_u32 s38, s42, s16
	s_addc_u32 s39, s43, s17
	v_lshl_add_u64 v[70:71], v[16:17], 0, v[4:5]
	v_lshl_add_u64 v[4:5], s[38:39], 0, v[2:3]
	s_add_u32 s38, s36, s40
	s_addc_u32 s39, s37, s41
	v_lshl_add_u64 v[72:73], v[16:17], 0, v[4:5]
	v_lshl_add_u64 v[4:5], s[38:39], 0, v[2:3]
	s_add_u32 s38, s42, s24
	s_addc_u32 s39, s43, s25
	v_lshl_add_u64 v[74:75], v[16:17], 0, v[4:5]
	v_lshl_add_u64 v[4:5], s[38:39], 0, v[2:3]
	s_lshl_b64 s[38:39], s[4:5], 4
	s_add_u32 s26, s38, s26
	s_addc_u32 s27, s39, s27
	s_add_u32 s40, s26, s12
	v_lshl_add_u64 v[76:77], v[16:17], 0, v[4:5]
	v_lshl_add_u64 v[4:5], s[26:27], 0, v[2:3]
	s_addc_u32 s41, s27, s13
	v_lshl_add_u64 v[78:79], v[16:17], 0, v[4:5]
	v_lshl_add_u64 v[4:5], s[40:41], 0, v[2:3]
	s_add_u32 s40, s26, s16
	s_addc_u32 s41, s27, s17
	s_add_u32 s36, s36, s38
	s_addc_u32 s37, s37, s39
	s_add_u32 s26, s26, s24
	v_lshl_add_u64 v[80:81], v[16:17], 0, v[4:5]
	v_lshl_add_u64 v[4:5], s[40:41], 0, v[2:3]
	s_addc_u32 s27, s27, s25
	v_lshl_add_u64 v[0:1], s[28:29], 0, v[0:1]
	v_lshl_add_u64 v[82:83], v[16:17], 0, v[4:5]
	;; [unrolled: 1-line block ×4, first 2 shown]
	v_lshlrev_b64 v[0:1], 3, v[0:1]
	v_lshl_add_u64 v[86:87], v[16:17], 0, v[2:3]
	s_mulk_i32 s22, 0x180
	s_mul_hi_i32 s23, s4, 24
	v_mad_i64_i32 v[2:3], s[4:5], s4, 24, v[0:1]
	s_add_u32 s4, s22, s30
	s_addc_u32 s5, s23, s31
	v_lshl_add_u64 v[84:85], v[16:17], 0, v[4:5]
	v_lshl_add_u64 v[4:5], v[2:3], 0, s[12:13]
	;; [unrolled: 1-line block ×3, first 2 shown]
	s_movk_i32 s9, 0x860
	v_lshl_add_u64 v[90:91], v[16:17], 0, v[4:5]
	v_lshl_add_u64 v[4:5], v[2:3], 0, s[16:17]
	;; [unrolled: 1-line block ×4, first 2 shown]
	v_mov_b32_e32 v158, 0
	v_add_u32_e32 v135, 0x2180, v51
	v_add_u32_e32 v137, 0x2380, v51
	v_cmp_gt_u32_e64 s[0:1], 64, v22
	v_lshl_add_u64 v[88:89], v[16:17], 0, v[2:3]
	v_lshl_add_u64 v[92:93], v[16:17], 0, v[4:5]
	;; [unrolled: 1-line block ×3, first 2 shown]
	v_add_u32_e32 v141, v138, v6
	v_mov_b32_e32 v98, 0
	v_mov_b32_e32 v99, v158
	v_mad_u32_u24 v142, v49, s9, v51
	v_or_b32_e32 v143, 2, v134
	v_or_b32_e32 v144, 3, v134
	v_add_u32_e32 v145, 16, v134
	v_add_u32_e32 v146, 17, v134
	;; [unrolled: 1-line block ×13, first 2 shown]
	s_cmp_eq_u32 s3, s2
	s_cselect_b32 s24, s34, 0
	s_and_saveexec_b64 s[4:5], s[14:15]
	s_cbranch_execz .LBB6_142
.LBB6_138:
	s_cmp_lg_u32 s24, 0
	s_cselect_b64 s[12:13], -1, 0
	v_cmp_le_i32_e32 vcc, s24, v50
	s_and_b64 s[12:13], s[12:13], vcc
	s_and_saveexec_b64 s[16:17], s[12:13]
	s_xor_b64 s[12:13], exec, s[16:17]
; %bb.139:
	ds_write_b64 v135, v[98:99]
; %bb.140:
	s_andn2_saveexec_b64 s[12:13], s[12:13]
	s_cbranch_execz .LBB6_142
; %bb.141:
	s_ashr_i32 s9, s8, 31
	v_lshl_add_u64 v[0:1], s[8:9], 3, v[54:55]
	global_load_dwordx2 v[0:1], v[0:1], off
	s_waitcnt vmcnt(0)
	ds_write_b64 v135, v[0:1]
.LBB6_142:                              ; =>This Inner Loop Header: Depth=1
	s_or_b64 exec, exec, s[4:5]
	s_cmp_eq_u32 s24, 0
	s_cselect_b64 s[12:13], -1, 0
	s_cmp_lg_u32 s24, 0
	s_cselect_b64 s[16:17], -1, 0
	v_lshl_add_u64 v[0:1], v[58:59], 0, v[56:57]
	s_and_b64 vcc, exec, s[16:17]
	s_waitcnt lgkmcnt(0)
	s_barrier
	s_cbranch_vccz .LBB6_150
; %bb.143:                              ;   in Loop: Header=BB6_142 Depth=1
	v_mov_b32_e32 v102, 0
	v_mov_b32_e32 v103, v158
	v_cmp_gt_i32_e32 vcc, s24, v134
	v_mov_b64_e32 v[104:105], v[102:103]
	s_and_saveexec_b64 s[4:5], vcc
	s_cbranch_execz .LBB6_145
; %bb.144:                              ;   in Loop: Header=BB6_142 Depth=1
	global_load_dwordx2 v[104:105], v[0:1], off
.LBB6_145:                              ;   in Loop: Header=BB6_142 Depth=1
	s_or_b64 exec, exec, s[4:5]
	v_or_b32_e32 v2, 1, v134
	v_cmp_gt_i32_e32 vcc, s24, v2
	s_and_saveexec_b64 s[4:5], vcc
	s_cbranch_execz .LBB6_147
; %bb.146:                              ;   in Loop: Header=BB6_142 Depth=1
	v_lshl_add_u64 v[2:3], v[62:63], 0, v[56:57]
	global_load_dwordx2 v[102:103], v[2:3], off
.LBB6_147:                              ;   in Loop: Header=BB6_142 Depth=1
	s_or_b64 exec, exec, s[4:5]
	v_mov_b32_e32 v159, v158
	v_cmp_gt_i32_e32 vcc, s24, v143
	v_mov_b64_e32 v[106:107], v[158:159]
	s_and_saveexec_b64 s[4:5], vcc
	s_cbranch_execz .LBB6_149
; %bb.148:                              ;   in Loop: Header=BB6_142 Depth=1
	v_lshl_add_u64 v[2:3], v[64:65], 0, v[56:57]
	global_load_dwordx2 v[106:107], v[2:3], off
.LBB6_149:                              ;   in Loop: Header=BB6_142 Depth=1
	s_or_b64 exec, exec, s[4:5]
	v_cmp_gt_i32_e64 s[4:5], s24, v144
	s_branch .LBB6_152
.LBB6_150:                              ;   in Loop: Header=BB6_142 Depth=1
	s_mov_b64 s[4:5], 0
                                        ; implicit-def: $vgpr106_vgpr107
                                        ; implicit-def: $vgpr102_vgpr103
                                        ; implicit-def: $vgpr104_vgpr105
	s_cbranch_execz .LBB6_152
; %bb.151:                              ;   in Loop: Header=BB6_142 Depth=1
	global_load_dwordx2 v[104:105], v[0:1], off
	v_lshl_add_u64 v[0:1], v[62:63], 0, v[56:57]
	global_load_dwordx2 v[102:103], v[0:1], off
	v_lshl_add_u64 v[0:1], v[60:61], 0, v[56:57]
	global_load_dwordx2 v[106:107], v[0:1], off
	s_or_b64 s[4:5], s[4:5], exec
.LBB6_152:                              ;   in Loop: Header=BB6_142 Depth=1
	v_mov_b32_e32 v108, 0
	v_mov_b32_e32 v109, 0
	s_and_saveexec_b64 s[22:23], s[4:5]
	s_cbranch_execz .LBB6_154
; %bb.153:                              ;   in Loop: Header=BB6_142 Depth=1
	v_lshl_add_u64 v[0:1], v[66:67], 0, v[56:57]
	global_load_dwordx2 v[108:109], v[0:1], off
.LBB6_154:                              ;   in Loop: Header=BB6_142 Depth=1
	s_or_b64 exec, exec, s[22:23]
	ds_read_b64 v[0:1], v137
	s_andn2_b64 vcc, exec, s[16:17]
	s_waitcnt vmcnt(0) lgkmcnt(0)
	v_pk_mul_f32 v[2:3], v[104:105], v[0:1] op_sel:[1,0]
	v_pk_mul_f32 v[4:5], v[102:103], v[0:1] op_sel:[1,0]
	v_pk_fma_f32 v[6:7], v[104:105], v[0:1], v[2:3] op_sel:[0,0,1] op_sel_hi:[1,1,0]
	v_pk_fma_f32 v[2:3], v[104:105], v[0:1], v[2:3] op_sel:[0,0,1] op_sel_hi:[0,1,0] neg_lo:[0,0,1] neg_hi:[0,0,1]
	v_pk_fma_f32 v[8:9], v[102:103], v[0:1], v[4:5] op_sel:[0,0,1] op_sel_hi:[1,1,0]
	v_pk_fma_f32 v[4:5], v[102:103], v[0:1], v[4:5] op_sel:[0,0,1] op_sel_hi:[0,1,0] neg_lo:[0,0,1] neg_hi:[0,0,1]
	v_mov_b32_e32 v7, v3
	v_pk_mul_f32 v[2:3], v[106:107], v[0:1] op_sel:[1,0]
	v_mov_b32_e32 v9, v5
	v_pk_fma_f32 v[4:5], v[106:107], v[0:1], v[2:3] op_sel:[0,0,1] op_sel_hi:[1,1,0]
	v_pk_fma_f32 v[2:3], v[106:107], v[0:1], v[2:3] op_sel:[0,0,1] op_sel_hi:[0,1,0] neg_lo:[0,0,1] neg_hi:[0,0,1]
	v_mov_b32_e32 v5, v3
	v_pk_mul_f32 v[2:3], v[108:109], v[0:1] op_sel:[1,0]
	ds_write2_b64 v142, v[6:7], v[8:9] offset1:67
	v_pk_fma_f32 v[6:7], v[108:109], v[0:1], v[2:3] op_sel:[0,0,1] op_sel_hi:[1,1,0]
	v_pk_fma_f32 v[0:1], v[108:109], v[0:1], v[2:3] op_sel:[0,0,1] op_sel_hi:[0,1,0] neg_lo:[0,0,1] neg_hi:[0,0,1]
	v_mov_b32_e32 v7, v1
	ds_write2_b64 v142, v[4:5], v[6:7] offset0:134 offset1:201
	ds_read_b128 v[4:7], v136
	ds_read_b128 v[0:3], v136 offset:16
	s_waitcnt lgkmcnt(0)
	s_barrier
	ds_read2_b64 v[20:23], v138 offset1:1
	ds_read2_b64 v[16:19], v138 offset0:2 offset1:3
	v_cndmask_b32_e64 v8, 0, 1, s[16:17]
	v_cmp_ne_u32_e64 s[4:5], 1, v8
	v_lshl_add_u64 v[8:9], v[68:69], 0, v[56:57]
	s_waitcnt lgkmcnt(0)
	s_barrier
	s_cbranch_vccnz .LBB6_162
; %bb.155:                              ;   in Loop: Header=BB6_142 Depth=1
	v_mov_b32_e32 v110, 0
	v_mov_b32_e32 v111, v158
	v_cmp_gt_i32_e32 vcc, s24, v145
	v_mov_b64_e32 v[112:113], v[110:111]
	s_and_saveexec_b64 s[16:17], vcc
	s_cbranch_execz .LBB6_157
; %bb.156:                              ;   in Loop: Header=BB6_142 Depth=1
	global_load_dwordx2 v[112:113], v[8:9], off
.LBB6_157:                              ;   in Loop: Header=BB6_142 Depth=1
	s_or_b64 exec, exec, s[16:17]
	v_cmp_gt_i32_e32 vcc, s24, v146
	s_and_saveexec_b64 s[16:17], vcc
	s_cbranch_execz .LBB6_159
; %bb.158:                              ;   in Loop: Header=BB6_142 Depth=1
	v_lshl_add_u64 v[10:11], v[70:71], 0, v[56:57]
	global_load_dwordx2 v[110:111], v[10:11], off
.LBB6_159:                              ;   in Loop: Header=BB6_142 Depth=1
	s_or_b64 exec, exec, s[16:17]
	v_mov_b32_e32 v159, v158
	v_cmp_gt_i32_e32 vcc, s24, v147
	v_mov_b64_e32 v[114:115], v[158:159]
	s_and_saveexec_b64 s[16:17], vcc
	s_cbranch_execz .LBB6_161
; %bb.160:                              ;   in Loop: Header=BB6_142 Depth=1
	v_lshl_add_u64 v[10:11], v[72:73], 0, v[56:57]
	global_load_dwordx2 v[114:115], v[10:11], off
.LBB6_161:                              ;   in Loop: Header=BB6_142 Depth=1
	s_or_b64 exec, exec, s[16:17]
	v_cmp_gt_i32_e64 s[16:17], s24, v148
	s_branch .LBB6_164
.LBB6_162:                              ;   in Loop: Header=BB6_142 Depth=1
	s_mov_b64 s[16:17], 0
                                        ; implicit-def: $vgpr114_vgpr115
                                        ; implicit-def: $vgpr110_vgpr111
                                        ; implicit-def: $vgpr112_vgpr113
	s_cbranch_execz .LBB6_164
; %bb.163:                              ;   in Loop: Header=BB6_142 Depth=1
	global_load_dwordx2 v[112:113], v[8:9], off
	v_lshl_add_u64 v[8:9], v[70:71], 0, v[56:57]
	global_load_dwordx2 v[110:111], v[8:9], off
	v_lshl_add_u64 v[8:9], v[74:75], 0, v[56:57]
	global_load_dwordx2 v[114:115], v[8:9], off
	s_or_b64 s[16:17], s[16:17], exec
.LBB6_164:                              ;   in Loop: Header=BB6_142 Depth=1
	v_mov_b32_e32 v116, 0
	v_mov_b32_e32 v117, 0
	s_and_saveexec_b64 s[22:23], s[16:17]
	s_cbranch_execz .LBB6_166
; %bb.165:                              ;   in Loop: Header=BB6_142 Depth=1
	v_lshl_add_u64 v[8:9], v[76:77], 0, v[56:57]
	global_load_dwordx2 v[116:117], v[8:9], off
.LBB6_166:                              ;   in Loop: Header=BB6_142 Depth=1
	s_or_b64 exec, exec, s[22:23]
	ds_read_b64 v[24:25], v137
	ds_read_b128 v[12:15], v136 offset:128
	ds_read_b128 v[8:11], v136 offset:144
	s_and_b64 vcc, exec, s[4:5]
	s_waitcnt vmcnt(0) lgkmcnt(2)
	v_pk_mul_f32 v[26:27], v[112:113], v[24:25] op_sel:[1,1] op_sel_hi:[1,0]
	v_pk_mul_f32 v[28:29], v[110:111], v[24:25] op_sel:[1,1] op_sel_hi:[1,0]
	v_pk_fma_f32 v[30:31], v[112:113], v[24:25], v[26:27]
	v_pk_fma_f32 v[26:27], v[112:113], v[24:25], v[26:27] op_sel_hi:[0,1,1] neg_lo:[0,0,1] neg_hi:[0,0,1]
	v_mov_b32_e32 v31, v27
	v_pk_fma_f32 v[26:27], v[110:111], v[24:25], v[28:29]
	v_pk_fma_f32 v[28:29], v[110:111], v[24:25], v[28:29] op_sel_hi:[0,1,1] neg_lo:[0,0,1] neg_hi:[0,0,1]
	v_mov_b32_e32 v27, v29
	ds_write2_b64 v142, v[30:31], v[26:27] offset1:67
	v_pk_mul_f32 v[26:27], v[114:115], v[24:25] op_sel:[1,1] op_sel_hi:[1,0]
	s_nop 0
	v_pk_fma_f32 v[28:29], v[114:115], v[24:25], v[26:27]
	v_pk_fma_f32 v[26:27], v[114:115], v[24:25], v[26:27] op_sel_hi:[0,1,1] neg_lo:[0,0,1] neg_hi:[0,0,1]
	v_mov_b32_e32 v29, v27
	v_pk_mul_f32 v[26:27], v[116:117], v[24:25] op_sel:[1,1] op_sel_hi:[1,0]
	s_nop 0
	v_pk_fma_f32 v[30:31], v[116:117], v[24:25], v[26:27]
	v_pk_fma_f32 v[24:25], v[116:117], v[24:25], v[26:27] op_sel_hi:[0,1,1] neg_lo:[0,0,1] neg_hi:[0,0,1]
	v_mov_b32_e32 v31, v25
	ds_write2_b64 v142, v[28:29], v[30:31] offset0:134 offset1:201
	s_waitcnt lgkmcnt(0)
	s_barrier
	ds_read2_b64 v[36:39], v138 offset1:1
	ds_read2_b64 v[32:35], v138 offset0:2 offset1:3
	v_lshl_add_u64 v[24:25], v[78:79], 0, v[56:57]
	s_waitcnt lgkmcnt(0)
	s_barrier
	s_cbranch_vccnz .LBB6_174
; %bb.167:                              ;   in Loop: Header=BB6_142 Depth=1
	v_mov_b32_e32 v118, 0
	v_mov_b32_e32 v119, v158
	v_cmp_gt_i32_e32 vcc, s24, v149
	v_mov_b64_e32 v[120:121], v[118:119]
	s_and_saveexec_b64 s[16:17], vcc
	s_cbranch_execz .LBB6_169
; %bb.168:                              ;   in Loop: Header=BB6_142 Depth=1
	global_load_dwordx2 v[120:121], v[24:25], off
.LBB6_169:                              ;   in Loop: Header=BB6_142 Depth=1
	s_or_b64 exec, exec, s[16:17]
	v_cmp_gt_i32_e32 vcc, s24, v150
	s_and_saveexec_b64 s[16:17], vcc
	s_cbranch_execz .LBB6_171
; %bb.170:                              ;   in Loop: Header=BB6_142 Depth=1
	v_lshl_add_u64 v[26:27], v[80:81], 0, v[56:57]
	global_load_dwordx2 v[118:119], v[26:27], off
.LBB6_171:                              ;   in Loop: Header=BB6_142 Depth=1
	s_or_b64 exec, exec, s[16:17]
	v_mov_b32_e32 v159, v158
	v_cmp_gt_i32_e32 vcc, s24, v151
	v_mov_b64_e32 v[122:123], v[158:159]
	s_and_saveexec_b64 s[16:17], vcc
	s_cbranch_execz .LBB6_173
; %bb.172:                              ;   in Loop: Header=BB6_142 Depth=1
	v_lshl_add_u64 v[26:27], v[82:83], 0, v[56:57]
	global_load_dwordx2 v[122:123], v[26:27], off
.LBB6_173:                              ;   in Loop: Header=BB6_142 Depth=1
	s_or_b64 exec, exec, s[16:17]
	v_cmp_gt_i32_e64 s[16:17], s24, v152
	s_branch .LBB6_176
.LBB6_174:                              ;   in Loop: Header=BB6_142 Depth=1
	s_mov_b64 s[16:17], 0
                                        ; implicit-def: $vgpr122_vgpr123
                                        ; implicit-def: $vgpr118_vgpr119
                                        ; implicit-def: $vgpr120_vgpr121
	s_cbranch_execz .LBB6_176
; %bb.175:                              ;   in Loop: Header=BB6_142 Depth=1
	global_load_dwordx2 v[120:121], v[24:25], off
	v_lshl_add_u64 v[24:25], v[80:81], 0, v[56:57]
	global_load_dwordx2 v[118:119], v[24:25], off
	v_lshl_add_u64 v[24:25], v[84:85], 0, v[56:57]
	global_load_dwordx2 v[122:123], v[24:25], off
	s_or_b64 s[16:17], s[16:17], exec
.LBB6_176:                              ;   in Loop: Header=BB6_142 Depth=1
	v_mov_b32_e32 v124, 0
	v_mov_b32_e32 v125, 0
	s_and_saveexec_b64 s[22:23], s[16:17]
	s_cbranch_execz .LBB6_178
; %bb.177:                              ;   in Loop: Header=BB6_142 Depth=1
	v_lshl_add_u64 v[24:25], v[86:87], 0, v[56:57]
	global_load_dwordx2 v[124:125], v[24:25], off
.LBB6_178:                              ;   in Loop: Header=BB6_142 Depth=1
	s_or_b64 exec, exec, s[22:23]
	ds_read_b64 v[24:25], v137
	s_and_b64 vcc, exec, s[4:5]
	v_lshl_add_u64 v[132:133], v[88:89], 0, v[56:57]
	s_waitcnt vmcnt(0) lgkmcnt(0)
	v_pk_mul_f32 v[26:27], v[120:121], v[24:25] op_sel:[1,0]
	v_pk_mul_f32 v[28:29], v[118:119], v[24:25] op_sel:[1,0]
	v_pk_fma_f32 v[30:31], v[120:121], v[24:25], v[26:27] op_sel:[0,0,1] op_sel_hi:[1,1,0]
	v_pk_fma_f32 v[26:27], v[120:121], v[24:25], v[26:27] op_sel:[0,0,1] op_sel_hi:[0,1,0] neg_lo:[0,0,1] neg_hi:[0,0,1]
	v_pk_fma_f32 v[40:41], v[118:119], v[24:25], v[28:29] op_sel:[0,0,1] op_sel_hi:[1,1,0]
	v_pk_fma_f32 v[28:29], v[118:119], v[24:25], v[28:29] op_sel:[0,0,1] op_sel_hi:[0,1,0] neg_lo:[0,0,1] neg_hi:[0,0,1]
	v_mov_b32_e32 v31, v27
	v_pk_mul_f32 v[26:27], v[122:123], v[24:25] op_sel:[1,0]
	v_mov_b32_e32 v41, v29
	v_pk_fma_f32 v[28:29], v[122:123], v[24:25], v[26:27] op_sel:[0,0,1] op_sel_hi:[1,1,0]
	v_pk_fma_f32 v[26:27], v[122:123], v[24:25], v[26:27] op_sel:[0,0,1] op_sel_hi:[0,1,0] neg_lo:[0,0,1] neg_hi:[0,0,1]
	v_mov_b32_e32 v29, v27
	v_pk_mul_f32 v[26:27], v[124:125], v[24:25] op_sel:[1,0]
	ds_write2_b64 v142, v[30:31], v[40:41] offset1:67
	v_pk_fma_f32 v[30:31], v[124:125], v[24:25], v[26:27] op_sel:[0,0,1] op_sel_hi:[1,1,0]
	v_pk_fma_f32 v[24:25], v[124:125], v[24:25], v[26:27] op_sel:[0,0,1] op_sel_hi:[0,1,0] neg_lo:[0,0,1] neg_hi:[0,0,1]
	v_mov_b32_e32 v31, v25
	ds_write2_b64 v142, v[28:29], v[30:31] offset0:134 offset1:201
	ds_read_b128 v[28:31], v136 offset:256
	ds_read_b128 v[24:27], v136 offset:272
	s_waitcnt lgkmcnt(0)
	s_barrier
	ds_read2_b64 v[44:47], v138 offset1:1
	ds_read2_b64 v[40:43], v138 offset0:2 offset1:3
	s_waitcnt lgkmcnt(0)
	s_barrier
	s_cbranch_vccnz .LBB6_186
; %bb.179:                              ;   in Loop: Header=BB6_142 Depth=1
	v_mov_b32_e32 v126, 0
	v_mov_b32_e32 v127, v158
	v_cmp_gt_i32_e32 vcc, s24, v153
	v_mov_b64_e32 v[128:129], v[126:127]
	s_and_saveexec_b64 s[4:5], vcc
	s_cbranch_execz .LBB6_181
; %bb.180:                              ;   in Loop: Header=BB6_142 Depth=1
	global_load_dwordx2 v[128:129], v[132:133], off
.LBB6_181:                              ;   in Loop: Header=BB6_142 Depth=1
	s_or_b64 exec, exec, s[4:5]
	v_cmp_gt_i32_e32 vcc, s24, v154
	s_and_saveexec_b64 s[4:5], vcc
	s_cbranch_execz .LBB6_183
; %bb.182:                              ;   in Loop: Header=BB6_142 Depth=1
	v_lshl_add_u64 v[126:127], v[90:91], 0, v[56:57]
	global_load_dwordx2 v[126:127], v[126:127], off
.LBB6_183:                              ;   in Loop: Header=BB6_142 Depth=1
	s_or_b64 exec, exec, s[4:5]
	v_mov_b32_e32 v159, v158
	v_cmp_gt_i32_e32 vcc, s24, v155
	v_mov_b64_e32 v[130:131], v[158:159]
	s_and_saveexec_b64 s[4:5], vcc
	s_cbranch_execz .LBB6_185
; %bb.184:                              ;   in Loop: Header=BB6_142 Depth=1
	v_lshl_add_u64 v[130:131], v[92:93], 0, v[56:57]
	global_load_dwordx2 v[130:131], v[130:131], off
.LBB6_185:                              ;   in Loop: Header=BB6_142 Depth=1
	s_or_b64 exec, exec, s[4:5]
	v_cmp_gt_i32_e64 s[4:5], s24, v156
	s_branch .LBB6_188
.LBB6_186:                              ;   in Loop: Header=BB6_142 Depth=1
	s_mov_b64 s[4:5], 0
                                        ; implicit-def: $vgpr130_vgpr131
                                        ; implicit-def: $vgpr126_vgpr127
                                        ; implicit-def: $vgpr128_vgpr129
	s_cbranch_execz .LBB6_188
; %bb.187:                              ;   in Loop: Header=BB6_142 Depth=1
	s_waitcnt vmcnt(0)
	v_lshl_add_u64 v[126:127], v[90:91], 0, v[56:57]
	v_lshl_add_u64 v[130:131], v[94:95], 0, v[56:57]
	global_load_dwordx2 v[128:129], v[132:133], off
	s_or_b64 s[4:5], s[4:5], exec
	global_load_dwordx2 v[126:127], v[126:127], off
	s_nop 0
	global_load_dwordx2 v[130:131], v[130:131], off
.LBB6_188:                              ;   in Loop: Header=BB6_142 Depth=1
	v_mov_b32_e32 v132, 0
	v_mov_b32_e32 v133, 0
	s_and_saveexec_b64 s[16:17], s[4:5]
	s_cbranch_execz .LBB6_190
; %bb.189:                              ;   in Loop: Header=BB6_142 Depth=1
	v_lshl_add_u64 v[132:133], v[96:97], 0, v[56:57]
	global_load_dwordx2 v[132:133], v[132:133], off
.LBB6_190:                              ;   in Loop: Header=BB6_142 Depth=1
	s_or_b64 exec, exec, s[16:17]
	v_pk_add_f32 v[44:45], v[44:45], 0 op_sel_hi:[1,0]
	v_pk_add_f32 v[36:37], v[36:37], 0 op_sel_hi:[1,0]
	v_pk_add_f32 v[44:45], v[44:45], v[46:47]
	v_pk_add_f32 v[36:37], v[36:37], v[38:39]
	;; [unrolled: 1-line block ×5, first 2 shown]
	ds_read_b64 v[40:41], v137
	v_pk_add_f32 v[46:47], v[32:33], v[34:35]
	v_pk_add_f32 v[20:21], v[20:21], 0 op_sel_hi:[1,0]
	v_cmp_gt_i32_e32 vcc, s24, v50
	v_pk_add_f32 v[160:161], v[20:21], v[22:23]
	s_waitcnt vmcnt(0) lgkmcnt(0)
	v_pk_mul_f32 v[32:33], v[128:129], v[40:41] op_sel:[1,0]
	v_pk_add_f32 v[16:17], v[160:161], v[16:17]
	v_pk_fma_f32 v[34:35], v[128:129], v[40:41], v[32:33] op_sel:[0,0,1] op_sel_hi:[1,1,0]
	v_pk_fma_f32 v[32:33], v[128:129], v[40:41], v[32:33] op_sel:[0,0,1] op_sel_hi:[0,1,0] neg_lo:[0,0,1] neg_hi:[0,0,1]
	v_mov_b32_e32 v35, v33
	v_pk_mul_f32 v[32:33], v[126:127], v[40:41] op_sel:[1,0]
	v_pk_add_f32 v[16:17], v[16:17], v[18:19]
	v_pk_fma_f32 v[36:37], v[126:127], v[40:41], v[32:33] op_sel:[0,0,1] op_sel_hi:[1,1,0]
	v_pk_fma_f32 v[32:33], v[126:127], v[40:41], v[32:33] op_sel:[0,0,1] op_sel_hi:[0,1,0] neg_lo:[0,0,1] neg_hi:[0,0,1]
	v_mov_b32_e32 v37, v33
	v_pk_mul_f32 v[32:33], v[130:131], v[40:41] op_sel:[1,0]
	ds_write2_b64 v142, v[34:35], v[36:37] offset1:67
	v_pk_fma_f32 v[34:35], v[130:131], v[40:41], v[32:33] op_sel:[0,0,1] op_sel_hi:[1,1,0]
	v_pk_fma_f32 v[32:33], v[130:131], v[40:41], v[32:33] op_sel:[0,0,1] op_sel_hi:[0,1,0] neg_lo:[0,0,1] neg_hi:[0,0,1]
	v_mov_b32_e32 v35, v33
	v_pk_mul_f32 v[32:33], v[132:133], v[40:41] op_sel:[1,0]
	s_or_b64 s[4:5], s[12:13], vcc
	v_pk_fma_f32 v[36:37], v[132:133], v[40:41], v[32:33] op_sel:[0,0,1] op_sel_hi:[1,1,0]
	v_pk_fma_f32 v[32:33], v[132:133], v[40:41], v[32:33] op_sel:[0,0,1] op_sel_hi:[0,1,0] neg_lo:[0,0,1] neg_hi:[0,0,1]
	v_mov_b32_e32 v37, v33
	ds_write2_b64 v142, v[34:35], v[36:37] offset0:134 offset1:201
	ds_read_b128 v[36:39], v136 offset:384
	ds_read_b128 v[32:35], v136 offset:400
	s_waitcnt lgkmcnt(0)
	s_barrier
	ds_read2_b64 v[40:43], v138 offset1:1
	ds_read2_b64 v[20:23], v138 offset0:2 offset1:3
	s_and_b64 s[12:13], s[0:1], s[4:5]
	s_waitcnt lgkmcnt(0)
	s_barrier
	v_pk_add_f32 v[18:19], v[40:41], 0 op_sel_hi:[1,0]
	s_nop 0
	v_pk_add_f32 v[18:19], v[18:19], v[42:43]
	s_nop 0
	v_pk_add_f32 v[18:19], v[18:19], v[20:21]
	;; [unrolled: 2-line block ×3, first 2 shown]
	ds_write2_b64 v141, v[16:17], v[46:47] offset1:16
	ds_write2_b64 v141, v[44:45], v[18:19] offset0:32 offset1:48
	s_waitcnt lgkmcnt(0)
	s_barrier
	s_and_saveexec_b64 s[4:5], s[12:13]
	s_cbranch_execz .LBB6_192
; %bb.191:                              ;   in Loop: Header=BB6_142 Depth=1
	ds_read_b64 v[40:41], v139
	ds_read2_b64 v[16:19], v139 offset0:1 offset1:2
	ds_read2_b64 v[20:23], v139 offset0:3 offset1:4
	v_ashrrev_i32_e32 v101, 31, v100
	v_lshl_add_u64 v[44:45], v[100:101], 3, s[6:7]
	s_waitcnt lgkmcnt(1)
	v_add_f32_e32 v16, v16, v40
	v_add_f32_e32 v17, v17, v41
	;; [unrolled: 1-line block ×4, first 2 shown]
	ds_read2_b64 v[16:19], v139 offset0:5 offset1:6
	s_waitcnt lgkmcnt(1)
	v_add_f32_e32 v20, v40, v20
	v_add_f32_e32 v21, v41, v21
	;; [unrolled: 1-line block ×4, first 2 shown]
	ds_read2_b64 v[20:23], v139 offset0:7 offset1:8
	s_waitcnt lgkmcnt(1)
	v_pk_add_f32 v[16:17], v[40:41], v[16:17]
	ds_read2_b64 v[40:43], v139 offset0:9 offset1:10
	v_pk_add_f32 v[16:17], v[16:17], v[18:19]
	s_waitcnt lgkmcnt(1)
	v_pk_add_f32 v[16:17], v[16:17], v[20:21]
	s_nop 0
	v_pk_add_f32 v[20:21], v[16:17], v[22:23]
	ds_read2_b64 v[16:19], v139 offset0:11 offset1:12
	s_waitcnt lgkmcnt(1)
	v_pk_add_f32 v[40:41], v[20:21], v[40:41]
	ds_read2_b64 v[20:23], v139 offset0:13 offset1:14
	v_pk_add_f32 v[40:41], v[40:41], v[42:43]
	ds_read_b64 v[42:43], v140
	s_waitcnt lgkmcnt(2)
	v_pk_add_f32 v[16:17], v[40:41], v[16:17]
	s_nop 0
	v_pk_add_f32 v[16:17], v[16:17], v[18:19]
	s_waitcnt lgkmcnt(1)
	v_pk_add_f32 v[16:17], v[16:17], v[20:21]
	s_nop 0
	v_pk_add_f32 v[16:17], v[16:17], v[22:23]
	s_waitcnt lgkmcnt(0)
	v_pk_add_f32 v[16:17], v[16:17], v[42:43]
	global_store_dwordx2 v[44:45], v[16:17], off
.LBB6_192:                              ;   in Loop: Header=BB6_142 Depth=1
	s_or_b64 exec, exec, s[4:5]
	v_mov_b32_e32 v16, v104
	v_mov_b32_e32 v17, v104
	;; [unrolled: 1-line block ×3, first 2 shown]
	v_pk_mul_f32 v[104:105], v[104:105], v[4:5]
	v_mov_b32_e32 v18, v102
	v_mov_b32_e32 v19, v102
	;; [unrolled: 1-line block ×3, first 2 shown]
	v_pk_fma_f32 v[168:169], v[16:17], v[4:5], v[104:105] op_sel:[0,0,1] op_sel_hi:[1,1,0] neg_lo:[0,0,1] neg_hi:[0,0,1]
	v_pk_fma_f32 v[4:5], v[16:17], v[4:5], v[104:105] op_sel:[0,0,1] op_sel_hi:[1,1,0]
	v_pk_mul_f32 v[16:17], v[102:103], v[6:7]
	v_mov_b32_e32 v169, v5
	v_mov_b32_e32 v20, v106
	;; [unrolled: 1-line block ×4, first 2 shown]
	v_pk_add_f32 v[4:5], v[52:53], v[168:169]
	v_pk_fma_f32 v[52:53], v[18:19], v[6:7], v[16:17] op_sel:[0,0,1] op_sel_hi:[1,1,0] neg_lo:[0,0,1] neg_hi:[0,0,1]
	v_pk_fma_f32 v[6:7], v[18:19], v[6:7], v[16:17] op_sel:[0,0,1] op_sel_hi:[1,1,0]
	v_mov_b32_e32 v22, v108
	v_mov_b32_e32 v53, v7
	v_pk_mul_f32 v[6:7], v[106:107], v[0:1]
	v_mov_b32_e32 v23, v108
	v_pk_fma_f32 v[16:17], v[20:21], v[0:1], v[6:7] op_sel:[0,0,1] op_sel_hi:[1,1,0] neg_lo:[0,0,1] neg_hi:[0,0,1]
	v_pk_fma_f32 v[0:1], v[20:21], v[0:1], v[6:7] op_sel:[0,0,1] op_sel_hi:[1,1,0]
	v_mov_b32_e32 v108, v109
	v_pk_add_f32 v[4:5], v[4:5], v[52:53]
	v_mov_b32_e32 v17, v1
	v_pk_add_f32 v[0:1], v[4:5], v[16:17]
	v_pk_mul_f32 v[4:5], v[108:109], v[2:3]
	v_mov_b32_e32 v40, v120
	v_pk_fma_f32 v[6:7], v[22:23], v[2:3], v[4:5] op_sel:[0,0,1] op_sel_hi:[1,1,0] neg_lo:[0,0,1] neg_hi:[0,0,1]
	v_pk_fma_f32 v[2:3], v[22:23], v[2:3], v[4:5] op_sel:[0,0,1] op_sel_hi:[1,1,0]
	v_mov_b32_e32 v4, v15
	v_mov_b32_e32 v7, v3
	v_pk_mul_f32 v[2:3], v[112:113], v[12:13] op_sel:[1,1] op_sel_hi:[0,1]
	v_pk_add_f32 v[0:1], v[0:1], v[6:7]
	v_pk_mul_f32 v[4:5], v[110:111], v[4:5] op_sel:[1,0] op_sel_hi:[0,0]
	v_pk_fma_f32 v[6:7], v[112:113], v[12:13], v[2:3] neg_lo:[0,0,1] neg_hi:[0,0,1]
	v_pk_fma_f32 v[2:3], v[112:113], v[12:13], v[2:3] op_sel_hi:[1,0,1]
	v_mov_b32_e32 v41, v120
	v_mov_b32_e32 v7, v3
	v_pk_fma_f32 v[2:3], v[110:111], v[14:15], v[4:5] neg_lo:[0,0,1] neg_hi:[0,0,1]
	v_pk_fma_f32 v[4:5], v[110:111], v[14:15], v[4:5] op_sel_hi:[1,0,1]
	v_pk_add_f32 v[0:1], v[0:1], v[6:7]
	v_mov_b32_e32 v3, v5
	v_pk_add_f32 v[0:1], v[0:1], v[2:3]
	v_pk_mul_f32 v[2:3], v[114:115], v[8:9] op_sel:[1,1] op_sel_hi:[0,1]
	v_pk_fma_f32 v[4:5], v[114:115], v[8:9], v[2:3] neg_lo:[0,0,1] neg_hi:[0,0,1]
	v_pk_fma_f32 v[2:3], v[114:115], v[8:9], v[2:3] op_sel_hi:[1,0,1]
	v_mov_b32_e32 v120, v121
	v_mov_b32_e32 v2, v11
	;; [unrolled: 1-line block ×3, first 2 shown]
	v_pk_mul_f32 v[2:3], v[116:117], v[2:3] op_sel:[1,0] op_sel_hi:[0,0]
	v_pk_add_f32 v[0:1], v[0:1], v[4:5]
	v_pk_fma_f32 v[4:5], v[116:117], v[10:11], v[2:3] neg_lo:[0,0,1] neg_hi:[0,0,1]
	v_pk_fma_f32 v[2:3], v[116:117], v[10:11], v[2:3] op_sel_hi:[1,0,1]
	v_mov_b32_e32 v42, v118
	v_mov_b32_e32 v5, v3
	v_pk_mul_f32 v[2:3], v[120:121], v[28:29]
	v_mov_b32_e32 v43, v118
	v_mov_b32_e32 v118, v119
	v_pk_add_f32 v[0:1], v[0:1], v[4:5]
	v_pk_fma_f32 v[4:5], v[40:41], v[28:29], v[2:3] op_sel:[0,0,1] op_sel_hi:[1,1,0] neg_lo:[0,0,1] neg_hi:[0,0,1]
	v_pk_fma_f32 v[2:3], v[40:41], v[28:29], v[2:3] op_sel:[0,0,1] op_sel_hi:[1,1,0]
	v_mov_b32_e32 v44, v122
	v_mov_b32_e32 v5, v3
	v_pk_mul_f32 v[2:3], v[118:119], v[30:31]
	v_mov_b32_e32 v45, v122
	v_mov_b32_e32 v122, v123
	v_pk_add_f32 v[0:1], v[0:1], v[4:5]
	v_pk_fma_f32 v[4:5], v[42:43], v[30:31], v[2:3] op_sel:[0,0,1] op_sel_hi:[1,1,0] neg_lo:[0,0,1] neg_hi:[0,0,1]
	v_pk_fma_f32 v[2:3], v[42:43], v[30:31], v[2:3] op_sel:[0,0,1] op_sel_hi:[1,1,0]
	;; [unrolled: 8-line block ×5, first 2 shown]
	v_mov_b32_e32 v164, v130
	v_mov_b32_e32 v5, v3
	v_pk_mul_f32 v[2:3], v[126:127], v[38:39]
	v_mov_b32_e32 v165, v130
	v_mov_b32_e32 v130, v131
	v_pk_fma_f32 v[6:7], v[162:163], v[38:39], v[2:3] op_sel:[0,0,1] op_sel_hi:[1,1,0] neg_lo:[0,0,1] neg_hi:[0,0,1]
	v_pk_fma_f32 v[2:3], v[162:163], v[38:39], v[2:3] op_sel:[0,0,1] op_sel_hi:[1,1,0]
	v_mov_b32_e32 v166, v132
	v_mov_b32_e32 v7, v3
	v_pk_mul_f32 v[2:3], v[130:131], v[32:33]
	v_mov_b32_e32 v167, v132
	v_mov_b32_e32 v132, v133
	v_pk_fma_f32 v[8:9], v[164:165], v[32:33], v[2:3] op_sel:[0,0,1] op_sel_hi:[1,1,0] neg_lo:[0,0,1] neg_hi:[0,0,1]
	v_pk_fma_f32 v[2:3], v[164:165], v[32:33], v[2:3] op_sel:[0,0,1] op_sel_hi:[1,1,0]
	v_pk_add_f32 v[0:1], v[0:1], v[4:5]
	v_mov_b32_e32 v9, v3
	v_pk_mul_f32 v[2:3], v[132:133], v[34:35]
	v_pk_add_f32 v[0:1], v[0:1], v[6:7]
	v_pk_fma_f32 v[10:11], v[166:167], v[34:35], v[2:3] op_sel:[0,0,1] op_sel_hi:[1,1,0] neg_lo:[0,0,1] neg_hi:[0,0,1]
	v_pk_fma_f32 v[2:3], v[166:167], v[34:35], v[2:3] op_sel:[0,0,1] op_sel_hi:[1,1,0]
	v_pk_add_f32 v[0:1], v[0:1], v[8:9]
	v_mov_b32_e32 v11, v3
	s_add_i32 s4, s2, 1
	s_add_i32 s8, s8, s19
	;; [unrolled: 1-line block ×3, first 2 shown]
	v_pk_add_f32 v[52:53], v[0:1], v[10:11]
	v_add_u32_e32 v100, 64, v100
	v_lshl_add_u64 v[58:59], v[58:59], 0, s[10:11]
	v_lshl_add_u64 v[60:61], v[60:61], 0, s[10:11]
	;; [unrolled: 1-line block ×19, first 2 shown]
	s_cmp_ge_u32 s2, s33
	v_lshl_add_u64 v[96:97], v[96:97], 0, s[10:11]
	s_barrier
	s_cbranch_scc1 .LBB6_194
; %bb.193:                              ;   in Loop: Header=BB6_142 Depth=1
	s_mov_b32 s2, s4
	s_cmp_eq_u32 s3, s2
	s_cselect_b32 s24, s34, 0
	s_and_saveexec_b64 s[4:5], s[14:15]
	s_cbranch_execnz .LBB6_138
	s_branch .LBB6_142
.LBB6_194:
	s_movk_i32 s0, 0x218
	v_cmp_gt_i32_e32 vcc, s18, v50
	v_mad_u32_u24 v0, v49, s0, v51
	s_or_b64 s[0:1], s[20:21], vcc
	s_and_b64 s[0:1], s[14:15], s[0:1]
	ds_write_b64 v0, v[52:53]
	s_waitcnt lgkmcnt(0)
	s_barrier
	s_and_saveexec_b64 s[2:3], s[0:1]
	s_cbranch_execz .LBB6_196
; %bb.195:
	ds_read2_b64 v[0:3], v51 offset1:67
	ds_read2_b64 v[4:7], v51 offset0:134 offset1:201
	v_ashrrev_i32_e32 v49, 31, v48
	v_lshl_add_u64 v[8:9], v[48:49], 3, s[6:7]
	s_waitcnt lgkmcnt(1)
	v_pk_add_f32 v[0:1], v[2:3], v[0:1]
	s_waitcnt lgkmcnt(0)
	v_pk_add_f32 v[0:1], v[4:5], v[0:1]
	s_nop 0
	v_pk_add_f32 v[0:1], v[0:1], v[6:7]
	global_store_dwordx2 v[8:9], v[0:1], off
.LBB6_196:
	s_endpgm
	.section	.rodata,"a",@progbits
	.p2align	6, 0x0
	.amdhsa_kernel _ZL26rocblas_hemvn_kernel_upperILb1ELi64ELi4ELi33ELi32ELi16Ei19rocblas_complex_numIfEPKS1_PS1_EviT6_lT7_lT5_lS6_lS7_lS5_lT8_i
		.amdhsa_group_segment_fixed_size 9600
		.amdhsa_private_segment_fixed_size 0
		.amdhsa_kernarg_size 376
		.amdhsa_user_sgpr_count 2
		.amdhsa_user_sgpr_dispatch_ptr 0
		.amdhsa_user_sgpr_queue_ptr 0
		.amdhsa_user_sgpr_kernarg_segment_ptr 1
		.amdhsa_user_sgpr_dispatch_id 0
		.amdhsa_user_sgpr_kernarg_preload_length 0
		.amdhsa_user_sgpr_kernarg_preload_offset 0
		.amdhsa_user_sgpr_private_segment_size 0
		.amdhsa_uses_dynamic_stack 0
		.amdhsa_enable_private_segment 0
		.amdhsa_system_sgpr_workgroup_id_x 1
		.amdhsa_system_sgpr_workgroup_id_y 0
		.amdhsa_system_sgpr_workgroup_id_z 1
		.amdhsa_system_sgpr_workgroup_info 0
		.amdhsa_system_vgpr_workitem_id 1
		.amdhsa_next_free_vgpr 170
		.amdhsa_next_free_sgpr 44
		.amdhsa_accum_offset 172
		.amdhsa_reserve_vcc 1
		.amdhsa_float_round_mode_32 0
		.amdhsa_float_round_mode_16_64 0
		.amdhsa_float_denorm_mode_32 3
		.amdhsa_float_denorm_mode_16_64 3
		.amdhsa_dx10_clamp 1
		.amdhsa_ieee_mode 1
		.amdhsa_fp16_overflow 0
		.amdhsa_tg_split 0
		.amdhsa_exception_fp_ieee_invalid_op 0
		.amdhsa_exception_fp_denorm_src 0
		.amdhsa_exception_fp_ieee_div_zero 0
		.amdhsa_exception_fp_ieee_overflow 0
		.amdhsa_exception_fp_ieee_underflow 0
		.amdhsa_exception_fp_ieee_inexact 0
		.amdhsa_exception_int_div_zero 0
	.end_amdhsa_kernel
	.section	.text._ZL26rocblas_hemvn_kernel_upperILb1ELi64ELi4ELi33ELi32ELi16Ei19rocblas_complex_numIfEPKS1_PS1_EviT6_lT7_lT5_lS6_lS7_lS5_lT8_i,"axG",@progbits,_ZL26rocblas_hemvn_kernel_upperILb1ELi64ELi4ELi33ELi32ELi16Ei19rocblas_complex_numIfEPKS1_PS1_EviT6_lT7_lT5_lS6_lS7_lS5_lT8_i,comdat
.Lfunc_end6:
	.size	_ZL26rocblas_hemvn_kernel_upperILb1ELi64ELi4ELi33ELi32ELi16Ei19rocblas_complex_numIfEPKS1_PS1_EviT6_lT7_lT5_lS6_lS7_lS5_lT8_i, .Lfunc_end6-_ZL26rocblas_hemvn_kernel_upperILb1ELi64ELi4ELi33ELi32ELi16Ei19rocblas_complex_numIfEPKS1_PS1_EviT6_lT7_lT5_lS6_lS7_lS5_lT8_i
                                        ; -- End function
	.set _ZL26rocblas_hemvn_kernel_upperILb1ELi64ELi4ELi33ELi32ELi16Ei19rocblas_complex_numIfEPKS1_PS1_EviT6_lT7_lT5_lS6_lS7_lS5_lT8_i.num_vgpr, 170
	.set _ZL26rocblas_hemvn_kernel_upperILb1ELi64ELi4ELi33ELi32ELi16Ei19rocblas_complex_numIfEPKS1_PS1_EviT6_lT7_lT5_lS6_lS7_lS5_lT8_i.num_agpr, 0
	.set _ZL26rocblas_hemvn_kernel_upperILb1ELi64ELi4ELi33ELi32ELi16Ei19rocblas_complex_numIfEPKS1_PS1_EviT6_lT7_lT5_lS6_lS7_lS5_lT8_i.numbered_sgpr, 44
	.set _ZL26rocblas_hemvn_kernel_upperILb1ELi64ELi4ELi33ELi32ELi16Ei19rocblas_complex_numIfEPKS1_PS1_EviT6_lT7_lT5_lS6_lS7_lS5_lT8_i.num_named_barrier, 0
	.set _ZL26rocblas_hemvn_kernel_upperILb1ELi64ELi4ELi33ELi32ELi16Ei19rocblas_complex_numIfEPKS1_PS1_EviT6_lT7_lT5_lS6_lS7_lS5_lT8_i.private_seg_size, 0
	.set _ZL26rocblas_hemvn_kernel_upperILb1ELi64ELi4ELi33ELi32ELi16Ei19rocblas_complex_numIfEPKS1_PS1_EviT6_lT7_lT5_lS6_lS7_lS5_lT8_i.uses_vcc, 1
	.set _ZL26rocblas_hemvn_kernel_upperILb1ELi64ELi4ELi33ELi32ELi16Ei19rocblas_complex_numIfEPKS1_PS1_EviT6_lT7_lT5_lS6_lS7_lS5_lT8_i.uses_flat_scratch, 0
	.set _ZL26rocblas_hemvn_kernel_upperILb1ELi64ELi4ELi33ELi32ELi16Ei19rocblas_complex_numIfEPKS1_PS1_EviT6_lT7_lT5_lS6_lS7_lS5_lT8_i.has_dyn_sized_stack, 0
	.set _ZL26rocblas_hemvn_kernel_upperILb1ELi64ELi4ELi33ELi32ELi16Ei19rocblas_complex_numIfEPKS1_PS1_EviT6_lT7_lT5_lS6_lS7_lS5_lT8_i.has_recursion, 0
	.set _ZL26rocblas_hemvn_kernel_upperILb1ELi64ELi4ELi33ELi32ELi16Ei19rocblas_complex_numIfEPKS1_PS1_EviT6_lT7_lT5_lS6_lS7_lS5_lT8_i.has_indirect_call, 0
	.section	.AMDGPU.csdata,"",@progbits
; Kernel info:
; codeLenInByte = 9392
; TotalNumSgprs: 50
; NumVgprs: 170
; NumAgprs: 0
; TotalNumVgprs: 170
; ScratchSize: 0
; MemoryBound: 1
; FloatMode: 240
; IeeeMode: 1
; LDSByteSize: 9600 bytes/workgroup (compile time only)
; SGPRBlocks: 6
; VGPRBlocks: 21
; NumSGPRsForWavesPerEU: 50
; NumVGPRsForWavesPerEU: 170
; AccumOffset: 172
; Occupancy: 2
; WaveLimiterHint : 1
; COMPUTE_PGM_RSRC2:SCRATCH_EN: 0
; COMPUTE_PGM_RSRC2:USER_SGPR: 2
; COMPUTE_PGM_RSRC2:TRAP_HANDLER: 0
; COMPUTE_PGM_RSRC2:TGID_X_EN: 1
; COMPUTE_PGM_RSRC2:TGID_Y_EN: 0
; COMPUTE_PGM_RSRC2:TGID_Z_EN: 1
; COMPUTE_PGM_RSRC2:TIDIG_COMP_CNT: 1
; COMPUTE_PGM_RSRC3_GFX90A:ACCUM_OFFSET: 42
; COMPUTE_PGM_RSRC3_GFX90A:TG_SPLIT: 0
	.section	.text._ZL36rocblas_hemvn_kernel_upper_block_sumILi64Ei19rocblas_complex_numIfEPS1_S1_EviT1_lS3_lT2_lT0_lPT3_i,"axG",@progbits,_ZL36rocblas_hemvn_kernel_upper_block_sumILi64Ei19rocblas_complex_numIfEPS1_S1_EviT1_lS3_lT2_lT0_lPT3_i,comdat
	.globl	_ZL36rocblas_hemvn_kernel_upper_block_sumILi64Ei19rocblas_complex_numIfEPS1_S1_EviT1_lS3_lT2_lT0_lPT3_i ; -- Begin function _ZL36rocblas_hemvn_kernel_upper_block_sumILi64Ei19rocblas_complex_numIfEPS1_S1_EviT1_lS3_lT2_lT0_lPT3_i
	.p2align	8
	.type	_ZL36rocblas_hemvn_kernel_upper_block_sumILi64Ei19rocblas_complex_numIfEPS1_S1_EviT1_lS3_lT2_lT0_lPT3_i,@function
_ZL36rocblas_hemvn_kernel_upper_block_sumILi64Ei19rocblas_complex_numIfEPS1_S1_EviT1_lS3_lT2_lT0_lPT3_i: ; @_ZL36rocblas_hemvn_kernel_upper_block_sumILi64Ei19rocblas_complex_numIfEPS1_S1_EviT1_lS3_lT2_lT0_lPT3_i
; %bb.0:
	s_load_dwordx4 s[8:11], s[0:1], 0x0
	s_load_dwordx2 s[12:13], s[0:1], 0x18
	s_waitcnt lgkmcnt(0)
	s_or_b32 s4, s9, s10
	s_bitset0_b32 s4, 31
	s_cmp_eq_u32 s4, 0
	v_cmp_eq_f32_e64 s[4:5], s12, 1.0
	v_cmp_eq_f32_e64 s[6:7], s13, 0
	s_cselect_b64 s[16:17], -1, 0
	s_and_b64 s[4:5], s[4:5], s[6:7]
	s_and_b64 s[4:5], s[16:17], s[4:5]
	s_and_b64 vcc, exec, s[4:5]
	s_cbranch_vccnz .LBB7_17
; %bb.1:
	s_load_dwordx4 s[4:7], s[0:1], 0x40
	s_load_dwordx4 s[24:27], s[0:1], 0x28
	s_load_dword s20, s[0:1], 0x38
	s_mov_b32 s14, s9
	s_mov_b32 s15, s10
	s_waitcnt lgkmcnt(0)
	s_mul_i32 s5, s5, s3
	s_mul_hi_u32 s9, s4, s3
	s_mul_i32 s4, s4, s3
	s_add_i32 s5, s9, s5
	s_lshl_b64 s[4:5], s[4:5], 3
	s_add_u32 s9, s24, s4
	s_addc_u32 s11, s25, s5
	s_lshl_b64 s[4:5], s[26:27], 3
	s_add_u32 s10, s9, s4
	v_lshl_or_b32 v0, s2, 6, v0
	s_addc_u32 s11, s11, s5
	s_mov_b64 s[18:19], -1
	s_andn2_b64 vcc, exec, s[16:17]
	v_cmp_gt_i32_e64 s[4:5], s8, v0
	s_cbranch_vccnz .LBB7_7
; %bb.2:
	s_and_saveexec_b64 s[16:17], s[4:5]
	s_cbranch_execz .LBB7_6
; %bb.3:
	v_cmp_neq_f32_e64 s[4:5], s12, 0
	v_cmp_neq_f32_e64 s[18:19], s13, 0
	v_mul_lo_u32 v4, s20, v0
	v_ashrrev_i32_e32 v5, 31, v4
	s_or_b64 s[4:5], s[4:5], s[18:19]
	v_mov_b32_e32 v2, 0
	s_andn2_b64 vcc, exec, s[4:5]
	v_lshl_add_u64 v[4:5], v[4:5], 3, s[10:11]
	v_mov_b32_e32 v3, 0
	s_cbranch_vccnz .LBB7_5
; %bb.4:
	global_load_dwordx2 v[6:7], v[4:5], off
	s_waitcnt vmcnt(0)
	v_pk_mul_f32 v[8:9], v[6:7], s[12:13] op_sel:[1,1] op_sel_hi:[1,0]
	s_nop 0
	v_pk_fma_f32 v[2:3], v[6:7], s[12:13], v[8:9] neg_lo:[0,0,1] neg_hi:[0,0,1]
	v_pk_fma_f32 v[6:7], v[6:7], s[12:13], v[8:9] op_sel_hi:[0,1,1]
	v_mov_b32_e32 v3, v7
.LBB7_5:
	global_store_dwordx2 v[4:5], v[2:3], off
.LBB7_6:
	s_or_b64 exec, exec, s[16:17]
	s_mov_b64 s[18:19], 0
.LBB7_7:
	s_andn2_b64 vcc, exec, s[18:19]
	s_cbranch_vccnz .LBB7_17
; %bb.8:
	v_cmp_gt_i32_e32 vcc, s8, v0
	s_and_saveexec_b64 s[4:5], vcc
	s_cbranch_execz .LBB7_17
; %bb.9:
	v_mov_b32_e32 v3, 0
	s_cmp_lt_i32 s2, 0
	v_mov_b32_e32 v2, v3
	s_cbranch_scc1 .LBB7_12
; %bb.10:
	s_load_dword s0, s[0:1], 0x58
	s_ashr_i32 s9, s8, 31
	s_mul_hi_u32 s1, s8, s3
	s_mul_i32 s4, s9, s3
	s_add_i32 s1, s1, s4
	s_mul_i32 s3, s8, s3
	s_waitcnt lgkmcnt(0)
	s_mul_i32 s1, s1, s0
	s_mul_hi_u32 s4, s3, s0
	s_add_i32 s1, s4, s1
	s_mul_i32 s0, s3, s0
	s_lshl_b64 s[0:1], s[0:1], 3
	s_add_u32 s0, s6, s0
	s_addc_u32 s1, s7, s1
	v_mov_b32_e32 v1, 0
	v_lshl_add_u64 v[4:5], v[0:1], 3, s[0:1]
	s_add_i32 s2, s2, 1
	s_lshl_b64 s[0:1], s[8:9], 3
	v_mov_b32_e32 v2, v1
	v_mov_b32_e32 v3, v1
.LBB7_11:                               ; =>This Inner Loop Header: Depth=1
	global_load_dwordx2 v[6:7], v[4:5], off
	s_add_i32 s2, s2, -1
	v_lshl_add_u64 v[4:5], v[4:5], 0, s[0:1]
	s_cmp_eq_u32 s2, 0
	s_waitcnt vmcnt(0)
	v_pk_add_f32 v[2:3], v[2:3], v[6:7]
	s_cbranch_scc0 .LBB7_11
.LBB7_12:
	v_cmp_neq_f32_e64 s[0:1], s12, 0
	v_cmp_neq_f32_e64 s[2:3], s13, 0
	s_or_b64 s[0:1], s[0:1], s[2:3]
	v_pk_mul_f32 v[6:7], v[2:3], s[14:15] op_sel:[1,1] op_sel_hi:[1,0]
	v_mul_lo_u32 v4, s20, v0
	s_andn2_b64 vcc, exec, s[0:1]
	v_pk_fma_f32 v[0:1], v[2:3], s[14:15], v[6:7] op_sel_hi:[0,1,1]
	v_ashrrev_i32_e32 v5, 31, v4
	s_cbranch_vccz .LBB7_14
; %bb.13:
	v_pk_mul_f32 v[8:9], v[2:3], s[14:15]
	s_nop 0
	v_sub_f32_e32 v0, v8, v6
	s_cbranch_execz .LBB7_15
	s_branch .LBB7_16
.LBB7_14:
.LBB7_15:
	v_lshl_add_u64 v[8:9], v[4:5], 3, s[10:11]
	global_load_dwordx2 v[8:9], v[8:9], off
	v_pk_fma_f32 v[2:3], v[2:3], s[14:15], v[6:7] neg_lo:[0,0,1] neg_hi:[0,0,1]
	s_waitcnt vmcnt(0)
	v_pk_mul_f32 v[6:7], v[8:9], s[12:13] op_sel:[1,1] op_sel_hi:[1,0]
	s_nop 0
	v_pk_fma_f32 v[10:11], v[8:9], s[12:13], v[6:7] neg_lo:[0,0,1] neg_hi:[0,0,1]
	v_pk_fma_f32 v[6:7], v[8:9], s[12:13], v[6:7] op_sel_hi:[0,1,1]
	v_mov_b32_e32 v11, v7
	v_mov_b32_e32 v3, v1
	v_pk_add_f32 v[0:1], v[2:3], v[10:11]
.LBB7_16:
	v_lshl_add_u64 v[2:3], v[4:5], 3, s[10:11]
	global_store_dwordx2 v[2:3], v[0:1], off
.LBB7_17:
	s_endpgm
	.section	.rodata,"a",@progbits
	.p2align	6, 0x0
	.amdhsa_kernel _ZL36rocblas_hemvn_kernel_upper_block_sumILi64Ei19rocblas_complex_numIfEPS1_S1_EviT1_lS3_lT2_lT0_lPT3_i
		.amdhsa_group_segment_fixed_size 0
		.amdhsa_private_segment_fixed_size 0
		.amdhsa_kernarg_size 344
		.amdhsa_user_sgpr_count 2
		.amdhsa_user_sgpr_dispatch_ptr 0
		.amdhsa_user_sgpr_queue_ptr 0
		.amdhsa_user_sgpr_kernarg_segment_ptr 1
		.amdhsa_user_sgpr_dispatch_id 0
		.amdhsa_user_sgpr_kernarg_preload_length 0
		.amdhsa_user_sgpr_kernarg_preload_offset 0
		.amdhsa_user_sgpr_private_segment_size 0
		.amdhsa_uses_dynamic_stack 0
		.amdhsa_enable_private_segment 0
		.amdhsa_system_sgpr_workgroup_id_x 1
		.amdhsa_system_sgpr_workgroup_id_y 0
		.amdhsa_system_sgpr_workgroup_id_z 1
		.amdhsa_system_sgpr_workgroup_info 0
		.amdhsa_system_vgpr_workitem_id 0
		.amdhsa_next_free_vgpr 12
		.amdhsa_next_free_sgpr 28
		.amdhsa_accum_offset 12
		.amdhsa_reserve_vcc 1
		.amdhsa_float_round_mode_32 0
		.amdhsa_float_round_mode_16_64 0
		.amdhsa_float_denorm_mode_32 3
		.amdhsa_float_denorm_mode_16_64 3
		.amdhsa_dx10_clamp 1
		.amdhsa_ieee_mode 1
		.amdhsa_fp16_overflow 0
		.amdhsa_tg_split 0
		.amdhsa_exception_fp_ieee_invalid_op 0
		.amdhsa_exception_fp_denorm_src 0
		.amdhsa_exception_fp_ieee_div_zero 0
		.amdhsa_exception_fp_ieee_overflow 0
		.amdhsa_exception_fp_ieee_underflow 0
		.amdhsa_exception_fp_ieee_inexact 0
		.amdhsa_exception_int_div_zero 0
	.end_amdhsa_kernel
	.section	.text._ZL36rocblas_hemvn_kernel_upper_block_sumILi64Ei19rocblas_complex_numIfEPS1_S1_EviT1_lS3_lT2_lT0_lPT3_i,"axG",@progbits,_ZL36rocblas_hemvn_kernel_upper_block_sumILi64Ei19rocblas_complex_numIfEPS1_S1_EviT1_lS3_lT2_lT0_lPT3_i,comdat
.Lfunc_end7:
	.size	_ZL36rocblas_hemvn_kernel_upper_block_sumILi64Ei19rocblas_complex_numIfEPS1_S1_EviT1_lS3_lT2_lT0_lPT3_i, .Lfunc_end7-_ZL36rocblas_hemvn_kernel_upper_block_sumILi64Ei19rocblas_complex_numIfEPS1_S1_EviT1_lS3_lT2_lT0_lPT3_i
                                        ; -- End function
	.set _ZL36rocblas_hemvn_kernel_upper_block_sumILi64Ei19rocblas_complex_numIfEPS1_S1_EviT1_lS3_lT2_lT0_lPT3_i.num_vgpr, 12
	.set _ZL36rocblas_hemvn_kernel_upper_block_sumILi64Ei19rocblas_complex_numIfEPS1_S1_EviT1_lS3_lT2_lT0_lPT3_i.num_agpr, 0
	.set _ZL36rocblas_hemvn_kernel_upper_block_sumILi64Ei19rocblas_complex_numIfEPS1_S1_EviT1_lS3_lT2_lT0_lPT3_i.numbered_sgpr, 28
	.set _ZL36rocblas_hemvn_kernel_upper_block_sumILi64Ei19rocblas_complex_numIfEPS1_S1_EviT1_lS3_lT2_lT0_lPT3_i.num_named_barrier, 0
	.set _ZL36rocblas_hemvn_kernel_upper_block_sumILi64Ei19rocblas_complex_numIfEPS1_S1_EviT1_lS3_lT2_lT0_lPT3_i.private_seg_size, 0
	.set _ZL36rocblas_hemvn_kernel_upper_block_sumILi64Ei19rocblas_complex_numIfEPS1_S1_EviT1_lS3_lT2_lT0_lPT3_i.uses_vcc, 1
	.set _ZL36rocblas_hemvn_kernel_upper_block_sumILi64Ei19rocblas_complex_numIfEPS1_S1_EviT1_lS3_lT2_lT0_lPT3_i.uses_flat_scratch, 0
	.set _ZL36rocblas_hemvn_kernel_upper_block_sumILi64Ei19rocblas_complex_numIfEPS1_S1_EviT1_lS3_lT2_lT0_lPT3_i.has_dyn_sized_stack, 0
	.set _ZL36rocblas_hemvn_kernel_upper_block_sumILi64Ei19rocblas_complex_numIfEPS1_S1_EviT1_lS3_lT2_lT0_lPT3_i.has_recursion, 0
	.set _ZL36rocblas_hemvn_kernel_upper_block_sumILi64Ei19rocblas_complex_numIfEPS1_S1_EviT1_lS3_lT2_lT0_lPT3_i.has_indirect_call, 0
	.section	.AMDGPU.csdata,"",@progbits
; Kernel info:
; codeLenInByte = 632
; TotalNumSgprs: 34
; NumVgprs: 12
; NumAgprs: 0
; TotalNumVgprs: 12
; ScratchSize: 0
; MemoryBound: 0
; FloatMode: 240
; IeeeMode: 1
; LDSByteSize: 0 bytes/workgroup (compile time only)
; SGPRBlocks: 4
; VGPRBlocks: 1
; NumSGPRsForWavesPerEU: 34
; NumVGPRsForWavesPerEU: 12
; AccumOffset: 12
; Occupancy: 8
; WaveLimiterHint : 0
; COMPUTE_PGM_RSRC2:SCRATCH_EN: 0
; COMPUTE_PGM_RSRC2:USER_SGPR: 2
; COMPUTE_PGM_RSRC2:TRAP_HANDLER: 0
; COMPUTE_PGM_RSRC2:TGID_X_EN: 1
; COMPUTE_PGM_RSRC2:TGID_Y_EN: 0
; COMPUTE_PGM_RSRC2:TGID_Z_EN: 1
; COMPUTE_PGM_RSRC2:TIDIG_COMP_CNT: 0
; COMPUTE_PGM_RSRC3_GFX90A:ACCUM_OFFSET: 2
; COMPUTE_PGM_RSRC3_GFX90A:TG_SPLIT: 0
	.section	.text._ZL26rocblas_hemvn_kernel_lowerILb1ELi64ELi4ELi33ELi32ELi16ElPK19rocblas_complex_numIfES3_PS1_EviT6_lT7_lT5_lS6_lS7_lS5_lT8_i,"axG",@progbits,_ZL26rocblas_hemvn_kernel_lowerILb1ELi64ELi4ELi33ELi32ELi16ElPK19rocblas_complex_numIfES3_PS1_EviT6_lT7_lT5_lS6_lS7_lS5_lT8_i,comdat
	.globl	_ZL26rocblas_hemvn_kernel_lowerILb1ELi64ELi4ELi33ELi32ELi16ElPK19rocblas_complex_numIfES3_PS1_EviT6_lT7_lT5_lS6_lS7_lS5_lT8_i ; -- Begin function _ZL26rocblas_hemvn_kernel_lowerILb1ELi64ELi4ELi33ELi32ELi16ElPK19rocblas_complex_numIfES3_PS1_EviT6_lT7_lT5_lS6_lS7_lS5_lT8_i
	.p2align	8
	.type	_ZL26rocblas_hemvn_kernel_lowerILb1ELi64ELi4ELi33ELi32ELi16ElPK19rocblas_complex_numIfES3_PS1_EviT6_lT7_lT5_lS6_lS7_lS5_lT8_i,@function
_ZL26rocblas_hemvn_kernel_lowerILb1ELi64ELi4ELi33ELi32ELi16ElPK19rocblas_complex_numIfES3_PS1_EviT6_lT7_lT5_lS6_lS7_lS5_lT8_i: ; @_ZL26rocblas_hemvn_kernel_lowerILb1ELi64ELi4ELi33ELi32ELi16ElPK19rocblas_complex_numIfES3_PS1_EviT6_lT7_lT5_lS6_lS7_lS5_lT8_i
; %bb.0:
	s_load_dwordx2 s[6:7], s[0:1], 0x84
	s_add_u32 s4, s0, 0x78
	s_addc_u32 s5, s1, 0
	s_waitcnt lgkmcnt(0)
	s_lshr_b32 s8, s6, 16
	s_and_b32 s6, s6, 0xffff
	s_and_b32 s7, s7, 0xffff
	s_mul_i32 s6, s8, s6
	s_mul_i32 s6, s6, s7
	s_cmpk_lg_i32 s6, 0x100
	s_cbranch_scc1 .LBB8_145
; %bb.1:
	s_load_dwordx16 s[16:31], s[0:1], 0x8
	s_waitcnt lgkmcnt(0)
	s_mul_i32 s7, s19, s3
	s_mul_hi_u32 s8, s18, s3
	s_mul_i32 s6, s18, s3
	s_add_i32 s7, s8, s7
	s_lshl_b64 s[6:7], s[6:7], 3
	s_add_u32 s6, s16, s6
	s_addc_u32 s7, s17, s7
	s_load_dwordx2 s[8:9], s[6:7], 0x0
	s_load_dwordx2 s[34:35], s[0:1], 0x68
	s_load_dwordx8 s[36:43], s[0:1], 0x48
	s_waitcnt lgkmcnt(0)
	s_or_b32 s6, s8, s9
	s_bitset0_b32 s6, 31
	s_cmp_lg_u32 s6, 0
	s_cselect_b64 s[6:7], -1, 0
	s_mov_b64 s[8:9], -1
	s_and_b64 vcc, exec, s[6:7]
	s_cbranch_vccnz .LBB8_3
; %bb.2:
	s_mul_i32 s8, s43, s3
	s_mul_hi_u32 s9, s42, s3
	s_add_i32 s9, s9, s8
	s_mul_i32 s8, s42, s3
	s_lshl_b64 s[8:9], s[8:9], 3
	s_add_u32 s8, s40, s8
	s_addc_u32 s9, s41, s9
	s_load_dwordx2 s[10:11], s[8:9], 0x0
	s_waitcnt lgkmcnt(0)
	v_cmp_neq_f32_e64 s[8:9], s10, 1.0
	v_cmp_neq_f32_e64 s[10:11], s11, 0
	s_or_b64 s[8:9], s[8:9], s[10:11]
.LBB8_3:
	s_andn2_b64 vcc, exec, s[8:9]
	s_cbranch_vccnz .LBB8_145
; %bb.4:
	s_andn2_b64 vcc, exec, s[6:7]
	s_cbranch_vccnz .LBB8_145
; %bb.5:
	s_load_dword s42, s[4:5], 0x0
	s_load_dword s33, s[0:1], 0x0
	s_mul_i32 s0, s39, s3
	s_mul_hi_u32 s1, s38, s3
	s_add_i32 s1, s1, s0
	s_mul_i32 s0, s38, s3
	s_lshl_b64 s[0:1], s[0:1], 3
	s_add_u32 s4, s28, s0
	s_addc_u32 s5, s29, s1
	s_lshl_b64 s[0:1], s[30:31], 3
	s_add_u32 s0, s4, s0
	s_addc_u32 s1, s5, s1
	s_waitcnt lgkmcnt(0)
	s_ashr_i32 s43, s33, 31
	s_lshr_b32 s5, s43, 26
	s_add_i32 s5, s33, s5
	v_and_b32_e32 v77, 0x3ff, v0
	s_lshl_b32 s30, s2, 6
	s_andn2_b32 s5, s5, 63
	s_add_i32 s4, s42, -1
	s_sub_i32 s5, s33, s5
	v_add_u32_e32 v32, s30, v77
	s_cmp_eq_u32 s2, s4
	v_ashrrev_i32_e32 v33, 31, v32
	v_bfe_u32 v76, v0, 10, 10
	s_cselect_b32 s28, s5, 0
	v_mul_lo_u32 v2, s36, v33
	v_mul_lo_u32 v3, s37, v32
	v_mad_u64_u32 v[0:1], s[4:5], s36, v32, 0
	v_add3_u32 v1, v1, v2, v3
	v_lshl_add_u64 v[16:17], v[0:1], 3, s[0:1]
	v_cmp_ne_u32_e64 s[0:1], 0, v76
	v_cmp_eq_u32_e64 s[16:17], 0, v76
	s_and_saveexec_b64 s[4:5], s[16:17]
	s_cbranch_execz .LBB8_10
; %bb.6:
	s_cmp_lg_u32 s28, 0
	s_cselect_b64 s[6:7], -1, 0
	v_cmp_le_i32_e32 vcc, s28, v77
	v_mov_b32_e32 v0, 0x2380
	s_and_b64 s[6:7], s[6:7], vcc
	v_lshl_add_u32 v0, v77, 3, v0
	s_and_saveexec_b64 s[8:9], s[6:7]
	s_xor_b64 s[6:7], exec, s[8:9]
; %bb.7:
	v_mov_b32_e32 v2, 0
	v_mov_b32_e32 v3, v2
	ds_write_b64 v0, v[2:3]
                                        ; implicit-def: $vgpr0
; %bb.8:
	s_andn2_saveexec_b64 s[6:7], s[6:7]
	s_cbranch_execz .LBB8_10
; %bb.9:
	global_load_dwordx2 v[2:3], v[16:17], off
	s_waitcnt vmcnt(0)
	ds_write_b64 v0, v[2:3]
.LBB8_10:
	s_or_b64 exec, exec, s[4:5]
	s_mul_i32 s4, s27, s3
	s_mul_hi_u32 s5, s26, s3
	s_add_i32 s5, s5, s4
	s_mul_i32 s4, s26, s3
	s_lshl_b64 s[4:5], s[4:5], 3
	s_add_u32 s6, s20, s4
	s_addc_u32 s7, s21, s5
	s_lshl_b64 s[4:5], s[22:23], 3
	s_add_u32 s6, s6, s4
	s_addc_u32 s7, s7, s5
	s_ashr_i32 s31, s30, 31
	v_lshl_add_u32 v22, v76, 6, v77
	s_lshl_b64 s[4:5], s[30:31], 3
	v_and_b32_e32 v0, 31, v77
	v_lshrrev_b32_e32 v8, 5, v22
	s_add_u32 s4, s6, s4
	v_mov_b32_e32 v1, 0
	s_addc_u32 s5, s7, s5
	v_mad_u64_u32 v[18:19], s[6:7], s24, v8, v[0:1]
	v_mov_b32_e32 v2, v19
	v_mad_u64_u32 v[2:3], s[6:7], s25, v8, v[2:3]
	v_mov_b32_e32 v19, v2
	v_lshl_add_u64 v[2:3], v[18:19], 3, s[4:5]
	s_mul_hi_u32 s4, s24, s30
	s_mul_i32 s5, s24, s31
	s_add_i32 s4, s4, s5
	s_mul_i32 s5, s25, s30
	s_add_i32 s23, s4, s5
	s_cmp_lg_u32 s28, 0
	s_mul_i32 s22, s24, s30
	s_cselect_b64 s[26:27], -1, 0
	s_cmp_eq_u32 s28, 0
	v_lshl_add_u64 v[2:3], s[22:23], 3, v[2:3]
	s_cselect_b64 s[18:19], -1, 0
	s_mov_b64 s[4:5], -1
	s_and_b64 vcc, exec, s[26:27]
	s_cbranch_vccnz .LBB8_12
; %bb.11:
	s_lshl_b64 s[4:5], s[24:25], 6
	v_lshl_add_u64 v[4:5], v[2:3], 0, s[4:5]
	v_lshl_add_u64 v[6:7], v[4:5], 0, s[4:5]
	;; [unrolled: 1-line block ×3, first 2 shown]
	global_load_dwordx2 v[12:13], v[2:3], off
	global_load_dwordx2 v[14:15], v[4:5], off
	;; [unrolled: 1-line block ×4, first 2 shown]
	v_mul_u32_u24_e32 v1, 0x108, v8
	v_lshl_add_u32 v1, v0, 3, v1
	s_mov_b64 s[4:5], 0
	s_waitcnt vmcnt(3)
	ds_write_b64 v1, v[12:13]
	s_waitcnt vmcnt(2)
	ds_write_b64 v1, v[14:15] offset:2112
	s_waitcnt vmcnt(1)
	ds_write_b64 v1, v[20:21] offset:4224
	;; [unrolled: 2-line block ×3, first 2 shown]
.LBB8_12:
	s_andn2_b64 vcc, exec, s[4:5]
	s_cbranch_vccnz .LBB8_28
; %bb.13:
	v_lshlrev_b32_e32 v4, 3, v0
	v_sub_co_u32_e32 v6, vcc, v2, v4
	s_ashr_i32 s29, s28, 31
	s_nop 0
	v_subbrev_co_u32_e32 v7, vcc, 0, v3, vcc
	v_lshl_add_u64 v[6:7], s[28:29], 3, v[6:7]
	v_mov_b32_e32 v10, 0
	v_lshl_add_u64 v[6:7], v[6:7], 0, -8
	v_cmp_gt_i32_e32 vcc, s28, v0
	v_cmp_gt_i32_e64 s[4:5], s28, v8
	v_mov_b32_e32 v11, v10
	v_cndmask_b32_e32 v7, v7, v3, vcc
	v_cndmask_b32_e32 v6, v6, v2, vcc
	s_and_saveexec_b64 s[6:7], s[4:5]
	s_cbranch_execz .LBB8_15
; %bb.14:
	global_load_dwordx2 v[10:11], v[6:7], off
.LBB8_15:
	s_or_b64 exec, exec, s[6:7]
	v_lshlrev_b32_e32 v1, 3, v0
	s_movk_i32 s4, 0x108
	v_mad_u32_u24 v9, v8, s4, v1
	s_waitcnt vmcnt(0)
	ds_write_b64 v9, v[10:11]
	v_add_u32_e32 v9, 8, v8
	v_mul_u32_u24_e32 v5, 0x108, v8
	v_cmp_le_i32_e64 s[4:5], s28, v9
	s_and_saveexec_b64 s[6:7], s[4:5]
	s_xor_b64 s[4:5], exec, s[6:7]
; %bb.16:
	v_mov_b32_e32 v10, 0
	v_add_u32_e32 v9, v5, v1
	v_mov_b32_e32 v11, v10
	ds_write_b64 v9, v[10:11] offset:2112
; %bb.17:
	s_andn2_saveexec_b64 s[4:5], s[4:5]
	s_cbranch_execz .LBB8_19
; %bb.18:
	s_lshl_b64 s[6:7], s[24:25], 6
	v_lshl_add_u64 v[10:11], v[6:7], 0, s[6:7]
	global_load_dwordx2 v[10:11], v[10:11], off
	v_add_u32_e32 v9, v5, v1
	s_waitcnt vmcnt(0)
	ds_write_b64 v9, v[10:11] offset:2112
.LBB8_19:
	s_or_b64 exec, exec, s[4:5]
	v_add_u32_e32 v9, 16, v8
	v_cmp_le_i32_e64 s[4:5], s28, v9
	s_and_saveexec_b64 s[6:7], s[4:5]
	s_xor_b64 s[4:5], exec, s[6:7]
; %bb.20:
	v_mov_b32_e32 v10, 0
	v_add_u32_e32 v9, v5, v1
	v_mov_b32_e32 v11, v10
	ds_write_b64 v9, v[10:11] offset:4224
; %bb.21:
	s_andn2_saveexec_b64 s[4:5], s[4:5]
	s_cbranch_execz .LBB8_23
; %bb.22:
	s_lshl_b64 s[6:7], s[24:25], 7
	v_lshl_add_u64 v[10:11], v[6:7], 0, s[6:7]
	global_load_dwordx2 v[10:11], v[10:11], off
	v_add_u32_e32 v9, v5, v1
	s_waitcnt vmcnt(0)
	ds_write_b64 v9, v[10:11] offset:4224
.LBB8_23:
	s_or_b64 exec, exec, s[4:5]
	v_add_u32_e32 v9, 24, v8
	v_cmp_le_i32_e64 s[4:5], s28, v9
	s_and_saveexec_b64 s[6:7], s[4:5]
	s_xor_b64 s[4:5], exec, s[6:7]
; %bb.24:
	v_mov_b32_e32 v10, 0
	v_add_u32_e32 v1, v5, v1
	v_mov_b32_e32 v11, v10
	ds_write_b64 v1, v[10:11] offset:6336
                                        ; implicit-def: $vgpr5
                                        ; implicit-def: $vgpr1
; %bb.25:
	s_andn2_saveexec_b64 s[4:5], s[4:5]
	s_cbranch_execz .LBB8_27
; %bb.26:
	v_mov_b32_e32 v9, 0xc0
	v_mad_u64_u32 v[10:11], s[6:7], s24, v9, v[6:7]
	s_mul_i32 s6, s25, 0xc0
	s_nop 0
	v_add_u32_e32 v11, s6, v11
	global_load_dwordx2 v[10:11], v[10:11], off
	v_add_u32_e32 v1, v5, v1
	s_waitcnt vmcnt(0)
	ds_write_b64 v1, v[10:11] offset:6336
.LBB8_27:
	s_or_b64 exec, exec, s[4:5]
	v_mov_b32_e32 v5, 0
	v_lshl_add_u64 v[4:5], v[6:7], 0, v[4:5]
	s_lshl_b64 s[4:5], s[28:29], 3
	v_mov_b32_e32 v1, s5
	v_subrev_co_u32_e64 v4, s[4:5], s4, v4
	s_nop 1
	v_subb_co_u32_e64 v5, s[4:5], v5, v1, s[4:5]
	v_lshl_add_u64 v[4:5], v[4:5], 0, 8
	v_cndmask_b32_e32 v3, v5, v3, vcc
	v_cndmask_b32_e32 v2, v4, v2, vcc
.LBB8_28:
	v_lshlrev_b32_e32 v9, 2, v8
	v_lshlrev_b32_e32 v10, 3, v0
	v_mul_u32_u24_e32 v1, 0x108, v0
	v_cmp_ge_u32_e64 s[6:7], v9, v0
	s_mov_b64 s[4:5], 0
	s_waitcnt lgkmcnt(0)
	s_barrier
                                        ; implicit-def: $vgpr5
	s_and_saveexec_b64 s[8:9], s[6:7]
	s_xor_b64 s[8:9], exec, s[8:9]
	s_cbranch_execz .LBB8_32
; %bb.29:
	v_cmp_eq_u32_e32 vcc, v9, v0
                                        ; implicit-def: $vgpr5
	s_and_saveexec_b64 s[10:11], vcc
	s_xor_b64 s[10:11], exec, s[10:11]
; %bb.30:
	s_mov_b64 s[4:5], exec
	v_add_u32_e32 v5, v10, v1
; %bb.31:
	s_or_b64 exec, exec, s[10:11]
	s_and_b64 s[4:5], s[4:5], exec
.LBB8_32:
	s_or_saveexec_b64 s[8:9], s[8:9]
	v_lshl_or_b32 v4, v0, 8, v10
	v_mov_b32_e32 v6, 0
	s_xor_b64 exec, exec, s[8:9]
	s_cbranch_execz .LBB8_34
; %bb.33:
	s_movk_i32 s10, 0x420
	v_mad_u32_u24 v5, v8, s10, v10
	ds_read_b64 v[12:13], v5
	v_lshl_add_u32 v5, v9, 3, v4
	s_or_b64 s[4:5], s[4:5], exec
	s_waitcnt lgkmcnt(0)
	v_xor_b32_e32 v6, 0x80000000, v13
	ds_write_b32 v5, v12
.LBB8_34:
	s_or_b64 exec, exec, s[8:9]
	s_and_saveexec_b64 s[8:9], s[4:5]
; %bb.35:
	ds_write_b32 v5, v6 offset:4
; %bb.36:
	s_or_b64 exec, exec, s[8:9]
	v_or_b32_e32 v11, 1, v9
	v_cmp_ge_u32_e64 s[8:9], v11, v0
	s_mov_b64 s[4:5], 0
                                        ; implicit-def: $vgpr5
	s_and_saveexec_b64 s[10:11], s[8:9]
	s_xor_b64 s[10:11], exec, s[10:11]
	s_cbranch_execnz .LBB8_96
; %bb.37:
	s_or_saveexec_b64 s[10:11], s[10:11]
	v_mov_b32_e32 v6, 0
	s_xor_b64 exec, exec, s[10:11]
	s_cbranch_execnz .LBB8_99
.LBB8_38:
	s_or_b64 exec, exec, s[10:11]
	s_and_saveexec_b64 s[10:11], s[4:5]
.LBB8_39:
	ds_write_b32 v5, v6 offset:4
.LBB8_40:
	s_or_b64 exec, exec, s[10:11]
	v_or_b32_e32 v12, 2, v9
	v_cmp_ge_u32_e64 s[10:11], v12, v0
	s_mov_b64 s[4:5], 0
                                        ; implicit-def: $vgpr5
	s_and_saveexec_b64 s[12:13], s[10:11]
	s_xor_b64 s[12:13], exec, s[12:13]
	s_cbranch_execnz .LBB8_100
; %bb.41:
	s_or_saveexec_b64 s[12:13], s[12:13]
	v_mov_b32_e32 v6, 0
	s_xor_b64 exec, exec, s[12:13]
	s_cbranch_execnz .LBB8_103
.LBB8_42:
	s_or_b64 exec, exec, s[12:13]
	s_and_saveexec_b64 s[12:13], s[4:5]
.LBB8_43:
	ds_write_b32 v5, v6 offset:4
.LBB8_44:
	s_or_b64 exec, exec, s[12:13]
	v_or_b32_e32 v13, 3, v9
	v_cmp_ge_u32_e64 s[12:13], v13, v0
	s_mov_b64 s[4:5], 0
                                        ; implicit-def: $vgpr5
	s_and_saveexec_b64 s[14:15], s[12:13]
	s_xor_b64 s[14:15], exec, s[14:15]
	s_cbranch_execnz .LBB8_104
; %bb.45:
	s_or_saveexec_b64 s[14:15], s[14:15]
	v_mov_b32_e32 v6, 0
	s_xor_b64 exec, exec, s[14:15]
	s_cbranch_execnz .LBB8_107
.LBB8_46:
	s_or_b64 exec, exec, s[14:15]
	s_and_saveexec_b64 s[14:15], s[4:5]
.LBB8_47:
	ds_write_b32 v5, v6 offset:4
.LBB8_48:
	s_or_b64 exec, exec, s[14:15]
	s_movk_i32 s4, 0x420
	v_mad_u32_u24 v15, v8, s4, v10
	s_movk_i32 s4, 0x108
	v_mad_u32_u24 v25, v11, s4, v10
	s_waitcnt lgkmcnt(0)
	s_barrier
	v_lshlrev_b32_e32 v14, 3, v9
	ds_read2_b64 v[4:7], v25 offset1:33
	ds_read_b64 v[20:21], v15
	ds_read_b128 v[26:29], v14 offset:9088
	ds_read_b64 v[30:31], v25 offset:528
	ds_read_b128 v[36:39], v14 offset:9104
	v_mul_u32_u24_e32 v23, 33, v0
	v_lshlrev_b32_e32 v23, 3, v23
	v_lshl_add_u32 v24, v8, 3, v23
	s_waitcnt lgkmcnt(2)
	v_pk_mul_f32 v[34:35], v[26:27], v[20:21] op_sel:[1,1] op_sel_hi:[0,1]
	v_pk_fma_f32 v[40:41], v[26:27], v[20:21], v[34:35] neg_lo:[0,0,1] neg_hi:[0,0,1]
	v_pk_fma_f32 v[20:21], v[26:27], v[20:21], v[34:35] op_sel_hi:[1,0,1]
	v_pk_mul_f32 v[26:27], v[28:29], v[4:5] op_sel:[1,1] op_sel_hi:[0,1]
	v_mov_b32_e32 v41, v21
	v_pk_add_f32 v[20:21], v[40:41], 0 op_sel_hi:[1,0]
	v_pk_fma_f32 v[40:41], v[28:29], v[4:5], v[26:27] neg_lo:[0,0,1] neg_hi:[0,0,1]
	v_pk_fma_f32 v[4:5], v[28:29], v[4:5], v[26:27] op_sel_hi:[1,0,1]
	v_mov_b32_e32 v34, 0
	v_mov_b32_e32 v41, v5
	v_pk_add_f32 v[4:5], v[20:21], v[40:41]
	s_waitcnt lgkmcnt(0)
	v_pk_mul_f32 v[20:21], v[36:37], v[6:7] op_sel:[1,1] op_sel_hi:[0,1]
	v_pk_fma_f32 v[26:27], v[36:37], v[6:7], v[20:21] neg_lo:[0,0,1] neg_hi:[0,0,1]
	v_pk_fma_f32 v[6:7], v[36:37], v[6:7], v[20:21] op_sel_hi:[1,0,1]
	v_mov_b32_e32 v35, v34
	v_mov_b32_e32 v27, v7
	v_pk_mul_f32 v[6:7], v[38:39], v[30:31] op_sel:[1,1] op_sel_hi:[0,1]
	v_pk_fma_f32 v[20:21], v[38:39], v[30:31], v[6:7] neg_lo:[0,0,1] neg_hi:[0,0,1]
	v_pk_fma_f32 v[6:7], v[38:39], v[30:31], v[6:7] op_sel_hi:[1,0,1]
	v_pk_add_f32 v[4:5], v[4:5], v[26:27]
	v_mov_b32_e32 v21, v7
	v_pk_add_f32 v[4:5], v[4:5], v[20:21]
	v_cmp_gt_u32_e64 s[4:5], 32, v22
	s_barrier
	ds_write_b64 v24, v[4:5]
	s_waitcnt lgkmcnt(0)
	s_barrier
	s_and_saveexec_b64 s[14:15], s[4:5]
	s_cbranch_execz .LBB8_50
; %bb.49:
	ds_read2_b64 v[4:7], v23 offset1:7
	ds_read2_b64 v[26:29], v23 offset0:1 offset1:2
	ds_read2_b64 v[34:37], v23 offset0:3 offset1:4
	s_waitcnt lgkmcnt(1)
	v_add_f32_e32 v4, v26, v4
	v_add_f32_e32 v5, v27, v5
	;; [unrolled: 1-line block ×4, first 2 shown]
	ds_read2_b64 v[26:29], v23 offset0:5 offset1:6
	s_waitcnt lgkmcnt(1)
	v_add_f32_e32 v4, v4, v34
	v_add_f32_e32 v5, v5, v35
	;; [unrolled: 1-line block ×4, first 2 shown]
	s_waitcnt lgkmcnt(0)
	v_add_f32_e32 v4, v4, v26
	v_add_f32_e32 v5, v5, v27
	;; [unrolled: 1-line block ×4, first 2 shown]
	v_pk_add_f32 v[34:35], v[4:5], v[6:7]
.LBB8_50:
	s_or_b64 exec, exec, s[14:15]
	s_lshl_b64 s[20:21], s[24:25], 8
	v_lshl_add_u64 v[6:7], v[2:3], 0, s[20:21]
	v_cndmask_b32_e64 v2, 0, 1, s[18:19]
	s_mov_b64 s[38:39], 0x100
	v_cmp_ne_u32_e64 s[14:15], 1, v2
	s_andn2_b64 vcc, exec, s[18:19]
	s_mov_b64 s[18:19], -1
	s_barrier
	s_cbranch_vccnz .LBB8_52
; %bb.51:
	s_lshl_b64 s[18:19], s[24:25], 6
	v_lshl_add_u64 v[2:3], v[6:7], 0, s[18:19]
	v_lshl_add_u64 v[4:5], v[2:3], 0, s[18:19]
	;; [unrolled: 1-line block ×3, first 2 shown]
	global_load_dwordx2 v[26:27], v[6:7], off offset:256
	global_load_dwordx2 v[28:29], v[2:3], off offset:256
	;; [unrolled: 1-line block ×4, first 2 shown]
	s_movk_i32 s18, 0x108
	v_mad_u32_u24 v2, v8, s18, v10
	s_mov_b64 s[18:19], 0
	s_waitcnt vmcnt(3)
	ds_write_b64 v2, v[26:27]
	s_waitcnt vmcnt(2)
	ds_write_b64 v2, v[28:29] offset:2112
	s_waitcnt vmcnt(1)
	ds_write_b64 v2, v[30:31] offset:4224
	;; [unrolled: 2-line block ×3, first 2 shown]
.LBB8_52:
	s_andn2_b64 vcc, exec, s[18:19]
	v_lshl_add_u64 v[2:3], v[6:7], 0, s[38:39]
	s_cbranch_vccnz .LBB8_68
; %bb.53:
	v_lshlrev_b32_e32 v4, 3, v0
	v_sub_co_u32_e32 v6, vcc, v6, v4
	s_ashr_i32 s29, s28, 31
	s_nop 0
	v_subbrev_co_u32_e32 v7, vcc, 0, v7, vcc
	v_or_b32_e32 v5, 32, v0
	v_lshl_add_u64 v[6:7], s[28:29], 3, v[6:7]
	v_mov_b32_e32 v20, 0
	v_lshl_add_u64 v[6:7], v[6:7], 0, -8
	v_cmp_gt_i32_e32 vcc, s28, v5
	s_sub_i32 s40, s28, 32
	v_cmp_gt_i32_e64 s[18:19], s40, v8
	v_cndmask_b32_e32 v7, v7, v3, vcc
	v_cndmask_b32_e32 v6, v6, v2, vcc
	v_mov_b32_e32 v21, v20
	s_and_saveexec_b64 s[38:39], s[18:19]
	s_cbranch_execz .LBB8_55
; %bb.54:
	global_load_dwordx2 v[20:21], v[6:7], off
.LBB8_55:
	s_or_b64 exec, exec, s[38:39]
	s_movk_i32 s18, 0x108
	v_mad_u32_u24 v15, v8, s18, v10
	s_waitcnt vmcnt(0)
	ds_write_b64 v15, v[20:21]
	v_add_u32_e32 v15, 8, v8
	v_mul_u32_u24_e32 v5, 0x108, v8
	v_cmp_le_i32_e64 s[18:19], s40, v15
	s_and_saveexec_b64 s[38:39], s[18:19]
	s_xor_b64 s[18:19], exec, s[38:39]
; %bb.56:
	v_mov_b32_e32 v20, 0
	v_add_u32_e32 v15, v5, v10
	v_mov_b32_e32 v21, v20
	ds_write_b64 v15, v[20:21] offset:2112
; %bb.57:
	s_andn2_saveexec_b64 s[18:19], s[18:19]
	s_cbranch_execz .LBB8_59
; %bb.58:
	s_lshl_b64 s[38:39], s[24:25], 6
	v_lshl_add_u64 v[20:21], v[6:7], 0, s[38:39]
	global_load_dwordx2 v[20:21], v[20:21], off
	v_add_u32_e32 v15, v5, v10
	s_waitcnt vmcnt(0)
	ds_write_b64 v15, v[20:21] offset:2112
.LBB8_59:
	s_or_b64 exec, exec, s[18:19]
	v_add_u32_e32 v15, 16, v8
	v_cmp_le_i32_e64 s[18:19], s40, v15
	s_and_saveexec_b64 s[38:39], s[18:19]
	s_xor_b64 s[18:19], exec, s[38:39]
; %bb.60:
	v_mov_b32_e32 v20, 0
	v_add_u32_e32 v15, v5, v10
	v_mov_b32_e32 v21, v20
	ds_write_b64 v15, v[20:21] offset:4224
; %bb.61:
	s_andn2_saveexec_b64 s[18:19], s[18:19]
	s_cbranch_execz .LBB8_63
; %bb.62:
	s_lshl_b64 s[38:39], s[24:25], 7
	v_lshl_add_u64 v[20:21], v[6:7], 0, s[38:39]
	global_load_dwordx2 v[20:21], v[20:21], off
	v_add_u32_e32 v15, v5, v10
	s_waitcnt vmcnt(0)
	ds_write_b64 v15, v[20:21] offset:4224
.LBB8_63:
	s_or_b64 exec, exec, s[18:19]
	v_add_u32_e32 v15, 24, v8
	v_cmp_le_i32_e64 s[18:19], s40, v15
	s_and_saveexec_b64 s[38:39], s[18:19]
	s_xor_b64 s[18:19], exec, s[38:39]
; %bb.64:
	v_mov_b32_e32 v20, 0
	v_add_u32_e32 v5, v5, v10
	v_mov_b32_e32 v21, v20
	ds_write_b64 v5, v[20:21] offset:6336
                                        ; implicit-def: $vgpr5
; %bb.65:
	s_andn2_saveexec_b64 s[18:19], s[18:19]
	s_cbranch_execz .LBB8_67
; %bb.66:
	v_mov_b32_e32 v15, 0xc0
	v_mad_u64_u32 v[20:21], s[38:39], s24, v15, v[6:7]
	s_mul_i32 s38, s25, 0xc0
	s_nop 0
	v_add_u32_e32 v21, s38, v21
	global_load_dwordx2 v[20:21], v[20:21], off
	v_add_u32_e32 v5, v5, v10
	s_waitcnt vmcnt(0)
	ds_write_b64 v5, v[20:21] offset:6336
.LBB8_67:
	s_or_b64 exec, exec, s[18:19]
	v_mov_b32_e32 v5, 0
	v_lshl_add_u64 v[4:5], v[6:7], 0, v[4:5]
	s_lshl_b64 s[18:19], s[28:29], 3
	v_mov_b32_e32 v6, s19
	v_subrev_co_u32_e64 v4, s[18:19], s18, v4
	s_nop 1
	v_subb_co_u32_e64 v5, s[18:19], v5, v6, s[18:19]
	s_mov_b64 s[18:19], 0x108
	s_nop 0
	v_lshl_add_u64 v[4:5], v[4:5], 0, s[18:19]
	v_cndmask_b32_e32 v3, v5, v3, vcc
	v_cndmask_b32_e32 v2, v4, v2, vcc
.LBB8_68:
	v_mul_u32_u24_e32 v5, 0x420, v8
	v_add_u32_e32 v4, 0x2380, v14
	v_mul_u32_u24_e32 v6, 0x108, v11
	s_lshl_b64 s[18:19], s[24:25], 5
	s_mov_b64 s[38:39], 0
	s_waitcnt lgkmcnt(0)
	s_barrier
                                        ; implicit-def: $vgpr7
	s_and_saveexec_b64 s[40:41], s[6:7]
	s_xor_b64 s[6:7], exec, s[40:41]
	s_cbranch_execz .LBB8_72
; %bb.69:
	v_cmp_eq_u32_e32 vcc, v9, v0
                                        ; implicit-def: $vgpr7
	s_and_saveexec_b64 s[40:41], vcc
	s_xor_b64 s[40:41], exec, s[40:41]
; %bb.70:
	s_mov_b64 s[38:39], exec
	v_add_u32_e32 v7, v10, v1
; %bb.71:
	s_or_b64 exec, exec, s[40:41]
	s_and_b64 s[38:39], s[38:39], exec
.LBB8_72:
	s_or_saveexec_b64 s[6:7], s[6:7]
	v_mov_b32_e32 v14, 0
	v_add_u32_e32 v5, v10, v5
	s_xor_b64 exec, exec, s[6:7]
	s_cbranch_execz .LBB8_74
; %bb.73:
	ds_read_b64 v[20:21], v5
	v_lshl_add_u32 v7, v9, 3, v23
	s_or_b64 s[38:39], s[38:39], exec
	s_waitcnt lgkmcnt(0)
	v_xor_b32_e32 v14, 0x80000000, v21
	ds_write_b32 v7, v20
.LBB8_74:
	s_or_b64 exec, exec, s[6:7]
	s_and_saveexec_b64 s[6:7], s[38:39]
; %bb.75:
	ds_write_b32 v7, v14 offset:4
; %bb.76:
	s_or_b64 exec, exec, s[6:7]
	s_mov_b64 s[6:7], 0
                                        ; implicit-def: $vgpr7
	s_and_saveexec_b64 s[38:39], s[8:9]
	s_xor_b64 s[8:9], exec, s[38:39]
	s_cbranch_execz .LBB8_80
; %bb.77:
	v_cmp_eq_u32_e32 vcc, v11, v0
                                        ; implicit-def: $vgpr7
	s_and_saveexec_b64 s[38:39], vcc
; %bb.78:
	s_mov_b64 s[6:7], exec
	v_add_u32_e32 v7, v10, v1
; %bb.79:
	s_or_b64 exec, exec, s[38:39]
	s_and_b64 s[6:7], s[6:7], exec
.LBB8_80:
	s_or_saveexec_b64 s[8:9], s[8:9]
	v_mov_b32_e32 v11, 0
	v_add_u32_e32 v6, v10, v6
	s_xor_b64 exec, exec, s[8:9]
	s_cbranch_execz .LBB8_82
; %bb.81:
	ds_read_b64 v[14:15], v6
	v_lshl_add_u32 v20, v9, 3, v23
	v_add_u32_e32 v7, 8, v20
	s_or_b64 s[6:7], s[6:7], exec
	s_waitcnt lgkmcnt(0)
	v_xor_b32_e32 v11, 0x80000000, v15
	ds_write_b32 v20, v14 offset:8
.LBB8_82:
	s_or_b64 exec, exec, s[8:9]
	s_and_saveexec_b64 s[8:9], s[6:7]
; %bb.83:
	ds_write_b32 v7, v11 offset:4
; %bb.84:
	s_or_b64 exec, exec, s[8:9]
	s_mov_b64 s[6:7], 0
                                        ; implicit-def: $vgpr7
	s_and_saveexec_b64 s[8:9], s[10:11]
	s_xor_b64 s[8:9], exec, s[8:9]
	s_cbranch_execnz .LBB8_108
; %bb.85:
	s_or_saveexec_b64 s[8:9], s[8:9]
	v_mov_b32_e32 v11, 0
	s_xor_b64 exec, exec, s[8:9]
	s_cbranch_execnz .LBB8_111
.LBB8_86:
	s_or_b64 exec, exec, s[8:9]
	s_and_saveexec_b64 s[8:9], s[6:7]
.LBB8_87:
	ds_write_b32 v7, v11 offset:4
.LBB8_88:
	s_or_b64 exec, exec, s[8:9]
	s_mov_b64 s[6:7], 0
                                        ; implicit-def: $vgpr7
	s_and_saveexec_b64 s[8:9], s[12:13]
	s_xor_b64 s[8:9], exec, s[8:9]
	s_cbranch_execnz .LBB8_112
; %bb.89:
	s_or_saveexec_b64 s[8:9], s[8:9]
	v_mov_b32_e32 v1, 0
	s_xor_b64 exec, exec, s[8:9]
	s_cbranch_execnz .LBB8_115
.LBB8_90:
	s_or_b64 exec, exec, s[8:9]
	s_and_saveexec_b64 s[8:9], s[6:7]
.LBB8_91:
	ds_write_b32 v7, v1 offset:4
.LBB8_92:
	s_or_b64 exec, exec, s[8:9]
	s_waitcnt lgkmcnt(0)
	s_barrier
	ds_read_b64 v[20:21], v5
	ds_read_b128 v[12:15], v4 offset:256
	ds_read2_b64 v[26:29], v6 offset1:33
	ds_read_b64 v[6:7], v6 offset:528
	ds_read_b128 v[36:39], v4 offset:272
	v_cmp_eq_u32_e64 s[6:7], 1, v8
	s_waitcnt lgkmcnt(3)
	v_pk_mul_f32 v[30:31], v[12:13], v[20:21] op_sel:[1,1] op_sel_hi:[0,1]
	v_pk_fma_f32 v[40:41], v[12:13], v[20:21], v[30:31] neg_lo:[0,0,1] neg_hi:[0,0,1]
	v_pk_fma_f32 v[12:13], v[12:13], v[20:21], v[30:31] op_sel_hi:[1,0,1]
	s_waitcnt lgkmcnt(2)
	v_pk_mul_f32 v[20:21], v[14:15], v[26:27] op_sel:[1,1] op_sel_hi:[0,1]
	v_pk_fma_f32 v[30:31], v[14:15], v[26:27], v[20:21] neg_lo:[0,0,1] neg_hi:[0,0,1]
	v_pk_fma_f32 v[14:15], v[14:15], v[26:27], v[20:21] op_sel_hi:[1,0,1]
	v_mov_b32_e32 v41, v13
	v_mov_b32_e32 v31, v15
	s_waitcnt lgkmcnt(0)
	v_pk_mul_f32 v[14:15], v[36:37], v[28:29] op_sel:[1,1] op_sel_hi:[0,1]
	v_pk_add_f32 v[12:13], v[40:41], 0 op_sel_hi:[1,0]
	v_pk_fma_f32 v[20:21], v[36:37], v[28:29], v[14:15] neg_lo:[0,0,1] neg_hi:[0,0,1]
	v_pk_fma_f32 v[14:15], v[36:37], v[28:29], v[14:15] op_sel_hi:[1,0,1]
	v_pk_add_f32 v[12:13], v[12:13], v[30:31]
	v_mov_b32_e32 v21, v15
	v_pk_mul_f32 v[14:15], v[38:39], v[6:7] op_sel:[1,1] op_sel_hi:[0,1]
	v_pk_add_f32 v[12:13], v[12:13], v[20:21]
	v_pk_fma_f32 v[20:21], v[38:39], v[6:7], v[14:15] neg_lo:[0,0,1] neg_hi:[0,0,1]
	v_pk_fma_f32 v[6:7], v[38:39], v[6:7], v[14:15] op_sel_hi:[1,0,1]
	s_nop 0
	v_mov_b32_e32 v21, v7
	v_pk_add_f32 v[6:7], v[12:13], v[20:21]
	s_barrier
	ds_write_b64 v24, v[6:7]
	s_waitcnt lgkmcnt(0)
	s_barrier
	s_and_saveexec_b64 s[8:9], s[6:7]
	s_cbranch_execz .LBB8_94
; %bb.93:
	ds_read2_b64 v[12:15], v23 offset1:7
	ds_read2_b64 v[26:29], v23 offset0:1 offset1:2
	ds_read2_b64 v[34:37], v23 offset0:3 offset1:4
	s_waitcnt lgkmcnt(1)
	v_add_f32_e32 v1, v26, v12
	v_add_f32_e32 v5, v27, v13
	;; [unrolled: 1-line block ×4, first 2 shown]
	ds_read2_b64 v[26:29], v23 offset0:5 offset1:6
	s_waitcnt lgkmcnt(1)
	v_add_f32_e32 v1, v1, v34
	v_add_f32_e32 v5, v5, v35
	;; [unrolled: 1-line block ×4, first 2 shown]
	s_waitcnt lgkmcnt(0)
	v_add_f32_e32 v6, v1, v26
	v_add_f32_e32 v7, v5, v27
	v_pk_add_f32 v[6:7], v[6:7], v[28:29]
	s_nop 0
	v_pk_add_f32 v[34:35], v[6:7], v[14:15]
.LBB8_94:
	s_or_b64 exec, exec, s[8:9]
	s_lshl_b64 s[8:9], s[18:19], 3
	v_mov_b32_e32 v1, s9
	v_subrev_co_u32_e64 v20, s[8:9], s8, v2
	s_and_b64 vcc, exec, s[14:15]
	s_nop 0
	v_subb_co_u32_e64 v21, s[8:9], v3, v1, s[8:9]
	s_barrier
	s_cbranch_vccnz .LBB8_116
; %bb.95:
	s_lshl_b64 s[8:9], s[24:25], 6
	v_lshl_add_u64 v[2:3], v[20:21], 0, s[8:9]
	v_lshl_add_u64 v[6:7], v[2:3], 0, s[8:9]
	;; [unrolled: 1-line block ×3, first 2 shown]
	global_load_dwordx2 v[14:15], v[20:21], off
	global_load_dwordx2 v[26:27], v[2:3], off
	;; [unrolled: 1-line block ×4, first 2 shown]
	s_movk_i32 s8, 0x108
	v_mov_b32_e32 v1, 0x840
	v_mov_b32_e32 v2, 0x1080
	;; [unrolled: 1-line block ×3, first 2 shown]
	v_mul_u32_u24_e32 v5, 0x108, v8
	v_add_u32_e32 v6, 8, v8
	v_add_u32_e32 v7, 16, v8
	v_add_u32_e32 v11, 24, v8
	v_mad_u32_u24 v13, v8, s8, v10
	v_mad_u32_u24 v1, v8, s8, v1
	;; [unrolled: 1-line block ×4, first 2 shown]
	v_add_u32_e32 v3, v10, v1
	v_add_u32_e32 v25, v10, v2
	;; [unrolled: 1-line block ×3, first 2 shown]
	s_waitcnt vmcnt(3)
	ds_write_b64 v13, v[14:15]
	s_waitcnt vmcnt(2)
	ds_write_b64 v3, v[26:27]
	;; [unrolled: 2-line block ×4, first 2 shown]
	s_cbranch_execz .LBB8_117
	s_branch .LBB8_132
.LBB8_96:
	v_cmp_eq_u32_e32 vcc, v11, v0
                                        ; implicit-def: $vgpr5
	s_and_saveexec_b64 s[12:13], vcc
; %bb.97:
	s_mov_b64 s[4:5], exec
	v_add_u32_e32 v5, v10, v1
; %bb.98:
	s_or_b64 exec, exec, s[12:13]
	s_and_b64 s[4:5], s[4:5], exec
	s_or_saveexec_b64 s[10:11], s[10:11]
	v_mov_b32_e32 v6, 0
	s_xor_b64 exec, exec, s[10:11]
	s_cbranch_execz .LBB8_38
.LBB8_99:
	s_movk_i32 s12, 0x108
	v_mad_u32_u24 v5, v11, s12, v10
	ds_read_b64 v[12:13], v5
	v_lshl_add_u32 v7, v9, 3, v4
	v_add_u32_e32 v5, 8, v7
	s_or_b64 s[4:5], s[4:5], exec
	s_waitcnt lgkmcnt(0)
	v_xor_b32_e32 v6, 0x80000000, v13
	ds_write_b32 v7, v12 offset:8
	s_or_b64 exec, exec, s[10:11]
	s_and_saveexec_b64 s[10:11], s[4:5]
	s_cbranch_execnz .LBB8_39
	s_branch .LBB8_40
.LBB8_100:
	v_cmp_eq_u32_e32 vcc, v12, v0
                                        ; implicit-def: $vgpr5
	s_and_saveexec_b64 s[14:15], vcc
; %bb.101:
	s_mov_b64 s[4:5], exec
	v_add_u32_e32 v5, v10, v1
; %bb.102:
	s_or_b64 exec, exec, s[14:15]
	s_and_b64 s[4:5], s[4:5], exec
	s_or_saveexec_b64 s[12:13], s[12:13]
	v_mov_b32_e32 v6, 0
	s_xor_b64 exec, exec, s[12:13]
	s_cbranch_execz .LBB8_42
.LBB8_103:
	s_movk_i32 s14, 0x108
	v_mad_u32_u24 v5, v12, s14, v10
	ds_read_b64 v[14:15], v5
	v_lshl_add_u32 v7, v9, 3, v4
	v_add_u32_e32 v5, 16, v7
	s_or_b64 s[4:5], s[4:5], exec
	s_waitcnt lgkmcnt(0)
	v_xor_b32_e32 v6, 0x80000000, v15
	ds_write_b32 v7, v14 offset:16
	s_or_b64 exec, exec, s[12:13]
	s_and_saveexec_b64 s[12:13], s[4:5]
	s_cbranch_execnz .LBB8_43
	s_branch .LBB8_44
.LBB8_104:
	v_cmp_eq_u32_e32 vcc, v13, v0
                                        ; implicit-def: $vgpr5
	s_and_saveexec_b64 s[20:21], vcc
; %bb.105:
	s_mov_b64 s[4:5], exec
	v_add_u32_e32 v5, v10, v1
; %bb.106:
	s_or_b64 exec, exec, s[20:21]
	s_and_b64 s[4:5], s[4:5], exec
                                        ; implicit-def: $vgpr4
	s_or_saveexec_b64 s[14:15], s[14:15]
	v_mov_b32_e32 v6, 0
	s_xor_b64 exec, exec, s[14:15]
	s_cbranch_execz .LBB8_46
.LBB8_107:
	s_movk_i32 s20, 0x108
	v_mad_u32_u24 v5, v13, s20, v10
	ds_read_b64 v[14:15], v5
	v_lshl_add_u32 v4, v9, 3, v4
	v_add_u32_e32 v5, 24, v4
	s_or_b64 s[4:5], s[4:5], exec
	s_waitcnt lgkmcnt(0)
	v_xor_b32_e32 v6, 0x80000000, v15
	ds_write_b32 v4, v14 offset:24
	s_or_b64 exec, exec, s[14:15]
	s_and_saveexec_b64 s[14:15], s[4:5]
	s_cbranch_execnz .LBB8_47
	s_branch .LBB8_48
.LBB8_108:
	v_cmp_eq_u32_e32 vcc, v12, v0
                                        ; implicit-def: $vgpr7
	s_and_saveexec_b64 s[10:11], vcc
; %bb.109:
	s_mov_b64 s[6:7], exec
	v_add_u32_e32 v7, v10, v1
; %bb.110:
	s_or_b64 exec, exec, s[10:11]
	s_and_b64 s[6:7], s[6:7], exec
	s_or_saveexec_b64 s[8:9], s[8:9]
	v_mov_b32_e32 v11, 0
	s_xor_b64 exec, exec, s[8:9]
	s_cbranch_execz .LBB8_86
.LBB8_111:
	ds_read_b64 v[14:15], v6 offset:264
	v_lshl_add_u32 v12, v9, 3, v23
	v_add_u32_e32 v7, 16, v12
	s_or_b64 s[6:7], s[6:7], exec
	s_waitcnt lgkmcnt(0)
	v_xor_b32_e32 v11, 0x80000000, v15
	ds_write_b32 v12, v14 offset:16
	s_or_b64 exec, exec, s[8:9]
	s_and_saveexec_b64 s[8:9], s[6:7]
	s_cbranch_execnz .LBB8_87
	s_branch .LBB8_88
.LBB8_112:
	v_cmp_eq_u32_e32 vcc, v13, v0
                                        ; implicit-def: $vgpr7
	s_and_saveexec_b64 s[10:11], vcc
; %bb.113:
	s_mov_b64 s[6:7], exec
	v_add_u32_e32 v7, v10, v1
; %bb.114:
	s_or_b64 exec, exec, s[10:11]
	s_and_b64 s[6:7], s[6:7], exec
	s_or_saveexec_b64 s[8:9], s[8:9]
	v_mov_b32_e32 v1, 0
	s_xor_b64 exec, exec, s[8:9]
	s_cbranch_execz .LBB8_90
.LBB8_115:
	ds_read_b64 v[12:13], v6 offset:528
	v_lshl_add_u32 v11, v9, 3, v23
	v_add_u32_e32 v7, 24, v11
	s_or_b64 s[6:7], s[6:7], exec
	s_waitcnt lgkmcnt(0)
	v_xor_b32_e32 v1, 0x80000000, v13
	ds_write_b32 v11, v12 offset:24
	s_or_b64 exec, exec, s[8:9]
	s_and_saveexec_b64 s[8:9], s[6:7]
	s_cbranch_execnz .LBB8_91
	s_branch .LBB8_92
.LBB8_116:
                                        ; implicit-def: $vgpr5
                                        ; implicit-def: $vgpr6
                                        ; implicit-def: $vgpr1
                                        ; implicit-def: $vgpr7
                                        ; implicit-def: $vgpr2
                                        ; implicit-def: $vgpr11
                                        ; implicit-def: $vgpr12
.LBB8_117:
	v_or_b32_e32 v1, 32, v0
	v_lshlrev_b32_e32 v0, 3, v0
	v_sub_co_u32_e32 v2, vcc, v20, v0
	s_ashr_i32 s29, s28, 31
	s_nop 0
	v_subbrev_co_u32_e32 v3, vcc, 0, v21, vcc
	s_movk_i32 s8, 0xfef8
	v_lshl_add_u64 v[2:3], s[28:29], 3, v[2:3]
	s_mov_b32 s9, -1
	v_mov_b32_e32 v6, 0
	v_lshl_add_u64 v[2:3], v[2:3], 0, s[8:9]
	v_cmp_gt_i32_e32 vcc, s28, v1
	v_cmp_gt_i32_e64 s[8:9], s28, v8
	v_mov_b32_e32 v7, v6
	v_cndmask_b32_e32 v3, v3, v21, vcc
	v_cndmask_b32_e32 v2, v2, v20, vcc
	s_and_saveexec_b64 s[10:11], s[8:9]
	s_cbranch_execz .LBB8_119
; %bb.118:
	global_load_dwordx2 v[6:7], v[2:3], off
.LBB8_119:
	s_or_b64 exec, exec, s[10:11]
	s_movk_i32 s8, 0x108
	v_mad_u32_u24 v1, v8, s8, v10
	s_waitcnt vmcnt(0)
	ds_write_b64 v1, v[6:7]
	v_add_u32_e32 v6, 8, v8
	v_mul_u32_u24_e32 v5, 0x108, v8
	v_cmp_le_i32_e64 s[8:9], s28, v6
	s_and_saveexec_b64 s[10:11], s[8:9]
	s_xor_b64 s[8:9], exec, s[10:11]
; %bb.120:
	v_mov_b32_e32 v12, 0
	v_add_u32_e32 v1, v5, v10
	v_mov_b32_e32 v13, v12
	ds_write_b64 v1, v[12:13] offset:2112
; %bb.121:
	s_andn2_saveexec_b64 s[8:9], s[8:9]
	s_cbranch_execz .LBB8_123
; %bb.122:
	s_lshl_b64 s[10:11], s[24:25], 6
	v_lshl_add_u64 v[12:13], v[2:3], 0, s[10:11]
	global_load_dwordx2 v[12:13], v[12:13], off
	v_add_u32_e32 v1, v5, v10
	s_waitcnt vmcnt(0)
	ds_write_b64 v1, v[12:13] offset:2112
.LBB8_123:
	s_or_b64 exec, exec, s[8:9]
	v_add_u32_e32 v7, 16, v8
	v_cmp_le_i32_e64 s[8:9], s28, v7
	s_and_saveexec_b64 s[10:11], s[8:9]
	s_xor_b64 s[8:9], exec, s[10:11]
; %bb.124:
	v_mov_b32_e32 v12, 0
	v_add_u32_e32 v1, v5, v10
	v_mov_b32_e32 v13, v12
	ds_write_b64 v1, v[12:13] offset:4224
; %bb.125:
	s_andn2_saveexec_b64 s[8:9], s[8:9]
	s_cbranch_execz .LBB8_127
; %bb.126:
	s_lshl_b64 s[10:11], s[24:25], 7
	v_lshl_add_u64 v[12:13], v[2:3], 0, s[10:11]
	global_load_dwordx2 v[12:13], v[12:13], off
	v_add_u32_e32 v1, v5, v10
	s_waitcnt vmcnt(0)
	ds_write_b64 v1, v[12:13] offset:4224
.LBB8_127:
	s_or_b64 exec, exec, s[8:9]
	v_add_u32_e32 v11, 24, v8
	v_cmp_le_i32_e64 s[8:9], s28, v11
                                        ; implicit-def: $vgpr12
	s_and_saveexec_b64 s[10:11], s[8:9]
	s_xor_b64 s[8:9], exec, s[10:11]
; %bb.128:
	v_add_u32_e32 v12, 0x18c0, v5
	v_mov_b32_e32 v14, 0
	v_add_u32_e32 v1, v10, v12
	v_mov_b32_e32 v15, v14
	ds_write_b64 v1, v[14:15]
; %bb.129:
	s_andn2_saveexec_b64 s[8:9], s[8:9]
	s_cbranch_execz .LBB8_131
; %bb.130:
	v_mov_b32_e32 v1, 0xc0
	v_mad_u64_u32 v[12:13], s[10:11], s24, v1, v[2:3]
	s_mul_i32 s10, s25, 0xc0
	s_nop 0
	v_add_u32_e32 v13, s10, v13
	global_load_dwordx2 v[14:15], v[12:13], off
	v_add_u32_e32 v12, 0x18c0, v5
	v_add_u32_e32 v1, v10, v12
	s_waitcnt vmcnt(0)
	ds_write_b64 v1, v[14:15]
.LBB8_131:
	s_or_b64 exec, exec, s[8:9]
	v_mov_b32_e32 v1, 0
	v_lshl_add_u64 v[0:1], v[2:3], 0, v[0:1]
	s_lshl_b64 s[8:9], s[28:29], 3
	v_mov_b32_e32 v2, s9
	v_subrev_co_u32_e64 v0, s[8:9], s8, v0
	s_nop 1
	v_subb_co_u32_e64 v1, s[8:9], v1, v2, s[8:9]
	s_mov_b64 s[8:9], 0x108
	s_nop 0
	v_lshl_add_u64 v[0:1], v[0:1], 0, s[8:9]
	v_cndmask_b32_e32 v21, v1, v21, vcc
	v_cndmask_b32_e32 v20, v0, v20, vcc
	v_add_u32_e32 v1, 0x840, v5
	v_add_u32_e32 v2, 0x1080, v5
.LBB8_132:
	v_lshlrev_b32_e32 v36, 3, v8
	v_add_u32_e32 v28, v10, v1
	v_lshlrev_b32_e32 v30, 3, v6
	v_add_u32_e32 v38, v10, v2
	;; [unrolled: 2-line block ×3, first 2 shown]
	v_lshlrev_b32_e32 v42, 3, v11
	v_lshl_add_u32 v0, v9, 3, v23
	s_waitcnt lgkmcnt(0)
	s_barrier
	v_add_u32_e32 v25, v10, v5
	ds_read2_b64 v[8:11], v0 offset1:1
	ds_read2_b64 v[0:3], v0 offset0:2 offset1:3
	ds_read_b128 v[12:15], v4 offset:256
	ds_read_b128 v[4:7], v4 offset:272
	ds_read_b64 v[26:27], v25
	ds_read_b64 v[28:29], v28
	ds_read_b64 v[30:31], v30 offset:9088
	ds_read_b64 v[36:37], v36 offset:9088
	ds_read_b64 v[38:39], v38
	ds_read2_b32 v[40:41], v40 offset1:1
	ds_read_b64 v[42:43], v42 offset:9088
	ds_read_b64 v[44:45], v44 offset:9088
	s_waitcnt lgkmcnt(4)
	v_pk_mul_f32 v[46:47], v[36:37], v[26:27] op_sel:[1,1] op_sel_hi:[0,1]
	v_pk_fma_f32 v[48:49], v[36:37], v[26:27], v[46:47] neg_lo:[0,0,1] neg_hi:[0,0,1]
	v_pk_fma_f32 v[26:27], v[36:37], v[26:27], v[46:47] op_sel_hi:[1,0,1]
	v_pk_mul_f32 v[36:37], v[30:31], v[28:29] op_sel:[1,1] op_sel_hi:[0,1]
	v_pk_fma_f32 v[46:47], v[30:31], v[28:29], v[36:37] neg_lo:[0,0,1] neg_hi:[0,0,1]
	v_pk_fma_f32 v[28:29], v[30:31], v[28:29], v[36:37] op_sel_hi:[1,0,1]
	v_mov_b32_e32 v49, v27
	v_mov_b32_e32 v47, v29
	s_waitcnt lgkmcnt(0)
	v_pk_mul_f32 v[28:29], v[44:45], v[38:39] op_sel:[1,1] op_sel_hi:[0,1]
	v_pk_add_f32 v[26:27], v[48:49], 0 op_sel_hi:[1,0]
	v_pk_fma_f32 v[30:31], v[44:45], v[38:39], v[28:29] neg_lo:[0,0,1] neg_hi:[0,0,1]
	v_pk_fma_f32 v[28:29], v[44:45], v[38:39], v[28:29] op_sel_hi:[1,0,1]
	v_pk_add_f32 v[26:27], v[26:27], v[46:47]
	v_mov_b32_e32 v31, v29
	v_pk_mul_f32 v[28:29], v[42:43], v[40:41] op_sel:[1,1] op_sel_hi:[0,1]
	v_pk_add_f32 v[26:27], v[26:27], v[30:31]
	v_pk_fma_f32 v[30:31], v[42:43], v[40:41], v[28:29] neg_lo:[0,0,1] neg_hi:[0,0,1]
	v_pk_fma_f32 v[28:29], v[42:43], v[40:41], v[28:29] op_sel_hi:[1,0,1]
	s_nop 0
	v_mov_b32_e32 v31, v29
	v_pk_add_f32 v[26:27], v[26:27], v[30:31]
	s_barrier
	ds_write_b64 v24, v[26:27]
	s_waitcnt lgkmcnt(0)
	s_barrier
	s_and_saveexec_b64 s[8:9], s[6:7]
	s_cbranch_execz .LBB8_134
; %bb.133:
	ds_read2_b64 v[26:29], v23 offset1:1
	ds_read2_b64 v[36:39], v23 offset0:2 offset1:3
	ds_read2_b64 v[40:43], v23 offset0:4 offset1:5
	s_waitcnt lgkmcnt(2)
	v_pk_add_f32 v[26:27], v[34:35], v[26:27]
	s_nop 0
	v_pk_add_f32 v[30:31], v[26:27], v[28:29]
	ds_read2_b64 v[26:29], v23 offset0:6 offset1:7
	s_waitcnt lgkmcnt(2)
	v_pk_add_f32 v[30:31], v[30:31], v[36:37]
	s_nop 0
	v_pk_add_f32 v[30:31], v[30:31], v[38:39]
	s_waitcnt lgkmcnt(1)
	v_pk_add_f32 v[30:31], v[30:31], v[40:41]
	s_nop 0
	v_pk_add_f32 v[30:31], v[30:31], v[42:43]
	;; [unrolled: 4-line block ×3, first 2 shown]
.LBB8_134:
	s_or_b64 exec, exec, s[8:9]
	v_pk_mul_f32 v[26:27], v[8:9], v[12:13] op_sel:[1,1] op_sel_hi:[1,0]
	s_nop 0
	v_pk_fma_f32 v[28:29], v[8:9], v[12:13], v[26:27]
	v_pk_fma_f32 v[8:9], v[8:9], v[12:13], v[26:27] op_sel_hi:[0,1,1] neg_lo:[0,0,1] neg_hi:[0,0,1]
	v_mov_b32_e32 v12, v11
	v_pk_mul_f32 v[12:13], v[12:13], v[14:15] op_sel:[0,1] op_sel_hi:[0,0]
	v_pk_fma_f32 v[26:27], v[10:11], v[14:15], v[12:13]
	v_pk_fma_f32 v[10:11], v[10:11], v[14:15], v[12:13] op_sel_hi:[0,1,1] neg_lo:[0,0,1] neg_hi:[0,0,1]
	v_mov_b32_e32 v29, v9
	v_mov_b32_e32 v27, v11
	v_pk_mul_f32 v[10:11], v[0:1], v[4:5] op_sel:[1,1] op_sel_hi:[1,0]
	v_pk_add_f32 v[8:9], v[28:29], 0 op_sel_hi:[1,0]
	v_pk_fma_f32 v[12:13], v[0:1], v[4:5], v[10:11]
	v_pk_fma_f32 v[0:1], v[0:1], v[4:5], v[10:11] op_sel_hi:[0,1,1] neg_lo:[0,0,1] neg_hi:[0,0,1]
	v_mov_b32_e32 v4, v3
	v_pk_add_f32 v[8:9], v[8:9], v[26:27]
	v_mov_b32_e32 v13, v1
	v_pk_mul_f32 v[4:5], v[4:5], v[6:7] op_sel:[0,1] op_sel_hi:[0,0]
	v_pk_add_f32 v[0:1], v[8:9], v[12:13]
	v_pk_fma_f32 v[8:9], v[2:3], v[6:7], v[4:5]
	v_pk_fma_f32 v[2:3], v[2:3], v[6:7], v[4:5] op_sel_hi:[0,1,1] neg_lo:[0,0,1] neg_hi:[0,0,1]
	v_mov_b32_e32 v9, v3
	v_pk_add_f32 v[0:1], v[0:1], v[8:9]
	s_barrier
	ds_write_b64 v24, v[0:1]
	s_waitcnt lgkmcnt(0)
	s_barrier
	s_and_saveexec_b64 s[6:7], s[4:5]
	s_cbranch_execz .LBB8_136
; %bb.135:
	ds_read2_b64 v[0:3], v23 offset1:1
	ds_read2_b64 v[4:7], v23 offset0:2 offset1:3
	ds_read2_b64 v[8:11], v23 offset0:4 offset1:5
	s_waitcnt lgkmcnt(2)
	v_pk_add_f32 v[0:1], v[34:35], v[0:1]
	s_nop 0
	v_pk_add_f32 v[12:13], v[0:1], v[2:3]
	ds_read2_b64 v[0:3], v23 offset0:6 offset1:7
	s_waitcnt lgkmcnt(2)
	v_pk_add_f32 v[4:5], v[12:13], v[4:5]
	s_nop 0
	v_pk_add_f32 v[4:5], v[4:5], v[6:7]
	s_waitcnt lgkmcnt(1)
	v_pk_add_f32 v[4:5], v[4:5], v[8:9]
	s_nop 0
	v_pk_add_f32 v[4:5], v[4:5], v[10:11]
	;; [unrolled: 4-line block ×3, first 2 shown]
.LBB8_136:
	s_or_b64 exec, exec, s[6:7]
	s_mul_hi_u32 s4, s33, s3
	s_mul_i32 s43, s43, s3
	s_add_i32 s4, s4, s43
	s_mul_i32 s3, s33, s3
	s_mul_i32 s4, s4, s42
	s_mul_hi_u32 s5, s3, s42
	s_add_i32 s5, s5, s4
	s_mul_i32 s4, s3, s42
	s_lshl_b64 s[4:5], s[4:5], 3
	s_add_u32 s3, s34, s4
	s_mul_i32 s4, s33, s2
	s_addc_u32 s7, s35, s5
	s_ashr_i32 s5, s4, 31
	s_lshl_b64 s[4:5], s[4:5], 3
	s_add_u32 s6, s3, s4
	v_cmp_le_i32_e32 vcc, s28, v77
	s_addc_u32 s7, s7, s5
	s_and_b64 vcc, s[26:27], vcc
	s_cmp_lt_i32 s2, 1
	v_lshlrev_b32_e32 v36, 3, v77
	s_barrier
	s_cbranch_scc1 .LBB8_143
; %bb.137:
	s_mul_i32 s3, s36, s31
	s_mul_hi_u32 s4, s36, s30
	s_add_i32 s3, s4, s3
	s_mul_i32 s4, s37, s30
	s_add_i32 s5, s3, s4
	s_mul_i32 s4, s36, s30
	s_lshl_b64 s[4:5], s[4:5], 3
	v_mov_b32_e32 v0, s5
	v_subrev_co_u32_e64 v38, s[4:5], s4, v16
	v_lshlrev_b32_e32 v5, 2, v76
	s_nop 0
	v_subb_co_u32_e64 v39, s[4:5], v17, v0, s[4:5]
	s_lshl_b64 s[4:5], s[22:23], 3
	s_nop 0
	v_mov_b32_e32 v0, s5
	v_subrev_co_u32_e64 v2, s[4:5], s4, v20
	s_ashr_i32 s29, s28, 31
	s_nop 0
	v_subb_co_u32_e64 v3, s[4:5], v21, v0, s[4:5]
	v_lshlrev_b64 v[0:1], 3, v[18:19]
	v_sub_co_u32_e64 v0, s[4:5], v2, v0
	v_mov_b32_e32 v41, 0
	s_nop 0
	v_subb_co_u32_e64 v1, s[4:5], v3, v1, s[4:5]
	v_mad_u64_u32 v[2:3], s[4:5], s24, v5, 0
	v_mov_b32_e32 v4, v3
	v_mad_u64_u32 v[4:5], s[4:5], s25, v5, v[4:5]
	v_mov_b32_e32 v3, v4
	v_lshl_add_u64 v[0:1], v[2:3], 3, v[0:1]
	s_movk_i32 s4, 0xfef8
	v_lshl_add_u64 v[2:3], s[28:29], 3, v[0:1]
	s_mov_b32 s5, -1
	v_lshl_add_u64 v[2:3], v[2:3], 0, s[4:5]
	v_mov_b32_e32 v37, v41
	s_movk_i32 s4, 0xff00
	v_lshl_add_u64 v[0:1], v[0:1], 0, v[36:37]
	s_mov_b32 s5, -1
	v_lshl_add_u64 v[0:1], v[0:1], 0, s[4:5]
	v_cndmask_b32_e32 v43, v1, v3, vcc
	s_movk_i32 s3, 0x860
	v_and_b32_e32 v1, 48, v77
	v_lshrrev_b32_e32 v6, 4, v22
	v_and_b32_e32 v7, 15, v77
	v_cndmask_b32_e32 v42, v0, v2, vcc
	v_mov_b32_e32 v0, 0x2180
	v_mad_u32_u24 v80, v76, s3, v36
	s_movk_i32 s3, 0x218
	v_lshlrev_b32_e32 v1, 3, v1
	v_lshl_add_u32 v78, v76, 5, v0
	v_lshlrev_b32_e32 v0, 5, v6
	v_mad_u32_u24 v82, v7, s3, v1
	v_or_b32_e32 v1, 0x78, v36
	v_mad_u32_u24 v81, v7, s3, v0
	v_mad_u32_u24 v83, v7, s3, v1
	s_mul_i32 s3, s25, 24
	s_mul_hi_u32 s14, s24, 24
	s_add_i32 s15, s14, s3
	s_mul_i32 s3, s25, 0x90
	s_mul_hi_u32 s18, s24, 0x90
	s_add_i32 s19, s18, s3
	;; [unrolled: 3-line block ×9, first 2 shown]
	s_mul_i32 s3, s25, 0x108
	s_mul_hi_u32 s33, s24, 0x108
	v_mul_i32_i24_e32 v0, 0xffffffe8, v6
	s_add_i32 s43, s33, s3
	s_mul_i32 s3, s25, 0x88
	s_mul_hi_u32 s33, s24, 0x88
	v_add_u32_e32 v37, 0x2180, v36
	v_add_u32_e32 v79, 0x2380, v36
	v_cmp_gt_u32_e64 s[4:5], 64, v22
	s_lshl_b64 s[8:9], s[24:25], 3
	s_lshl_b64 s[10:11], s[24:25], 9
	s_lshl_b64 s[12:13], s[24:25], 4
	s_mul_i32 s14, s24, 24
	s_mul_i32 s18, s24, 0x90
	;; [unrolled: 1-line block ×10, first 2 shown]
	s_add_i32 s45, s33, s3
	s_mul_i32 s44, s24, 0x88
	s_lshl_b64 s[24:25], s[24:25], 7
	s_mov_b32 s3, 0
	v_add_u32_e32 v84, v81, v0
	s_branch .LBB8_139
.LBB8_138:                              ;   in Loop: Header=BB8_139 Depth=1
	s_or_b64 exec, exec, s[46:47]
	v_pk_mul_f32 v[86:87], v[50:51], v[4:5] op_sel:[1,1] op_sel_hi:[0,1]
	v_mov_b32_e32 v40, v7
	v_pk_fma_f32 v[94:95], v[50:51], v[4:5], v[86:87] neg_lo:[0,0,1] neg_hi:[0,0,1]
	v_pk_fma_f32 v[4:5], v[50:51], v[4:5], v[86:87] op_sel_hi:[1,0,1]
	v_pk_mul_f32 v[88:89], v[48:49], v[40:41] op_sel:[1,0] op_sel_hi:[0,0]
	v_mov_b32_e32 v95, v5
	v_pk_mul_f32 v[90:91], v[46:47], v[0:1] op_sel:[1,1] op_sel_hi:[0,1]
	v_pk_add_f32 v[4:5], v[34:35], v[94:95]
	v_pk_fma_f32 v[34:35], v[48:49], v[6:7], v[88:89] neg_lo:[0,0,1] neg_hi:[0,0,1]
	v_pk_fma_f32 v[6:7], v[48:49], v[6:7], v[88:89] op_sel_hi:[1,0,1]
	v_mov_b32_e32 v40, v3
	v_mov_b32_e32 v35, v7
	v_pk_fma_f32 v[6:7], v[46:47], v[0:1], v[90:91] neg_lo:[0,0,1] neg_hi:[0,0,1]
	v_pk_fma_f32 v[0:1], v[46:47], v[0:1], v[90:91] op_sel_hi:[1,0,1]
	v_pk_mul_f32 v[92:93], v[44:45], v[40:41] op_sel:[1,0] op_sel_hi:[0,0]
	v_pk_add_f32 v[4:5], v[4:5], v[34:35]
	v_mov_b32_e32 v7, v1
	v_pk_add_f32 v[0:1], v[4:5], v[6:7]
	v_pk_fma_f32 v[4:5], v[44:45], v[2:3], v[92:93] neg_lo:[0,0,1] neg_hi:[0,0,1]
	v_pk_fma_f32 v[2:3], v[44:45], v[2:3], v[92:93] op_sel_hi:[1,0,1]
	s_add_i32 s3, s3, 64
	v_mov_b32_e32 v5, v3
	v_pk_add_f32 v[0:1], v[0:1], v[4:5]
	v_pk_mul_f32 v[2:3], v[54:55], v[12:13] op_sel:[1,1] op_sel_hi:[0,1]
	v_mov_b32_e32 v4, v15
	v_pk_mul_f32 v[4:5], v[52:53], v[4:5] op_sel:[1,0] op_sel_hi:[0,0]
	v_pk_fma_f32 v[6:7], v[54:55], v[12:13], v[2:3] neg_lo:[0,0,1] neg_hi:[0,0,1]
	v_pk_fma_f32 v[2:3], v[54:55], v[12:13], v[2:3] op_sel_hi:[1,0,1]
	s_add_i32 s2, s2, -1
	v_mov_b32_e32 v7, v3
	v_pk_fma_f32 v[2:3], v[52:53], v[14:15], v[4:5] neg_lo:[0,0,1] neg_hi:[0,0,1]
	v_pk_fma_f32 v[4:5], v[52:53], v[14:15], v[4:5] op_sel_hi:[1,0,1]
	v_pk_add_f32 v[0:1], v[0:1], v[6:7]
	v_mov_b32_e32 v3, v5
	v_pk_add_f32 v[0:1], v[0:1], v[2:3]
	v_pk_mul_f32 v[2:3], v[56:57], v[8:9] op_sel:[1,1] op_sel_hi:[0,1]
	v_pk_fma_f32 v[4:5], v[56:57], v[8:9], v[2:3] neg_lo:[0,0,1] neg_hi:[0,0,1]
	v_pk_fma_f32 v[2:3], v[56:57], v[8:9], v[2:3] op_sel_hi:[1,0,1]
	v_mov_b32_e32 v8, v23
	v_mov_b32_e32 v2, v11
	;; [unrolled: 1-line block ×3, first 2 shown]
	v_pk_mul_f32 v[2:3], v[58:59], v[2:3] op_sel:[1,0] op_sel_hi:[0,0]
	v_pk_fma_f32 v[6:7], v[58:59], v[10:11], v[2:3] neg_lo:[0,0,1] neg_hi:[0,0,1]
	v_pk_fma_f32 v[2:3], v[58:59], v[10:11], v[2:3] op_sel_hi:[1,0,1]
	v_pk_add_f32 v[0:1], v[0:1], v[4:5]
	v_mov_b32_e32 v7, v3
	v_pk_mul_f32 v[2:3], v[66:67], v[16:17] op_sel:[1,1] op_sel_hi:[0,1]
	v_mov_b32_e32 v4, v19
	v_pk_mul_f32 v[4:5], v[64:65], v[4:5] op_sel:[1,0] op_sel_hi:[0,0]
	v_pk_fma_f32 v[10:11], v[66:67], v[16:17], v[2:3] neg_lo:[0,0,1] neg_hi:[0,0,1]
	v_pk_fma_f32 v[2:3], v[66:67], v[16:17], v[2:3] op_sel_hi:[1,0,1]
	v_pk_add_f32 v[0:1], v[0:1], v[6:7]
	v_mov_b32_e32 v11, v3
	v_pk_fma_f32 v[2:3], v[64:65], v[18:19], v[4:5] neg_lo:[0,0,1] neg_hi:[0,0,1]
	v_pk_fma_f32 v[4:5], v[64:65], v[18:19], v[4:5] op_sel_hi:[1,0,1]
	v_pk_mul_f32 v[6:7], v[62:63], v[20:21] op_sel:[1,1] op_sel_hi:[0,1]
	v_pk_add_f32 v[0:1], v[0:1], v[10:11]
	v_mov_b32_e32 v3, v5
	v_pk_add_f32 v[0:1], v[0:1], v[2:3]
	v_pk_fma_f32 v[2:3], v[62:63], v[20:21], v[6:7] neg_lo:[0,0,1] neg_hi:[0,0,1]
	v_pk_fma_f32 v[4:5], v[62:63], v[20:21], v[6:7] op_sel_hi:[1,0,1]
	v_pk_mul_f32 v[8:9], v[60:61], v[8:9] op_sel:[1,0] op_sel_hi:[0,0]
	v_mov_b32_e32 v3, v5
	v_pk_add_f32 v[0:1], v[0:1], v[2:3]
	v_pk_fma_f32 v[2:3], v[60:61], v[22:23], v[8:9] neg_lo:[0,0,1] neg_hi:[0,0,1]
	v_pk_fma_f32 v[4:5], v[60:61], v[22:23], v[8:9] op_sel_hi:[1,0,1]
	v_pk_mul_f32 v[6:7], v[70:71], v[28:29] op_sel:[1,1] op_sel_hi:[0,1]
	v_mov_b32_e32 v3, v5
	v_pk_add_f32 v[0:1], v[0:1], v[2:3]
	v_pk_mul_f32 v[2:3], v[74:75], v[24:25] op_sel:[1,1] op_sel_hi:[0,1]
	v_mov_b32_e32 v4, v27
	v_pk_mul_f32 v[4:5], v[72:73], v[4:5] op_sel:[1,0] op_sel_hi:[0,0]
	v_pk_fma_f32 v[10:11], v[74:75], v[24:25], v[2:3] neg_lo:[0,0,1] neg_hi:[0,0,1]
	v_pk_fma_f32 v[2:3], v[74:75], v[24:25], v[2:3] op_sel_hi:[1,0,1]
	v_mov_b32_e32 v8, v31
	v_mov_b32_e32 v11, v3
	v_pk_fma_f32 v[2:3], v[72:73], v[26:27], v[4:5] neg_lo:[0,0,1] neg_hi:[0,0,1]
	v_pk_fma_f32 v[4:5], v[72:73], v[26:27], v[4:5] op_sel_hi:[1,0,1]
	v_pk_mul_f32 v[8:9], v[68:69], v[8:9] op_sel:[1,0] op_sel_hi:[0,0]
	v_mov_b32_e32 v3, v5
	v_pk_fma_f32 v[4:5], v[70:71], v[28:29], v[6:7] neg_lo:[0,0,1] neg_hi:[0,0,1]
	v_pk_fma_f32 v[6:7], v[70:71], v[28:29], v[6:7] op_sel_hi:[1,0,1]
	v_pk_add_f32 v[0:1], v[0:1], v[10:11]
	v_mov_b32_e32 v5, v7
	v_pk_fma_f32 v[6:7], v[68:69], v[30:31], v[8:9] neg_lo:[0,0,1] neg_hi:[0,0,1]
	v_pk_fma_f32 v[8:9], v[68:69], v[30:31], v[8:9] op_sel_hi:[1,0,1]
	v_pk_add_f32 v[0:1], v[0:1], v[2:3]
	v_mov_b32_e32 v7, v9
	v_pk_add_f32 v[0:1], v[0:1], v[4:5]
	s_cmp_eq_u32 s2, 0
	v_pk_add_f32 v[34:35], v[0:1], v[6:7]
	v_lshl_add_u64 v[42:43], v[42:43], 0, s[10:11]
	s_barrier
	s_cbranch_scc1 .LBB8_143
.LBB8_139:                              ; =>This Inner Loop Header: Depth=1
	s_and_saveexec_b64 s[46:47], s[16:17]
	s_cbranch_execz .LBB8_141
; %bb.140:                              ;   in Loop: Header=BB8_139 Depth=1
	s_mul_i32 s33, s37, s3
	s_mul_hi_u32 s48, s36, s3
	s_add_i32 s49, s48, s33
	s_mul_i32 s48, s36, s3
	v_lshl_add_u64 v[0:1], s[48:49], 3, v[38:39]
	global_load_dwordx2 v[0:1], v[0:1], off
	s_waitcnt vmcnt(0)
	ds_write_b64 v37, v[0:1]
.LBB8_141:                              ;   in Loop: Header=BB8_139 Depth=1
	s_or_b64 exec, exec, s[46:47]
	v_lshl_add_u64 v[0:1], v[42:43], 0, s[8:9]
	s_waitcnt lgkmcnt(0)
	s_barrier
	global_load_dwordx2 v[50:51], v[42:43], off
	global_load_dwordx2 v[48:49], v[0:1], off
	v_lshl_add_u64 v[0:1], v[42:43], 0, s[12:13]
	global_load_dwordx2 v[46:47], v[0:1], off
	v_lshl_add_u64 v[0:1], v[42:43], 0, s[14:15]
	global_load_dwordx2 v[44:45], v[0:1], off
	ds_read_b64 v[8:9], v79
	ds_read_b128 v[4:7], v78
	ds_read_b128 v[0:3], v78 offset:16
	v_lshl_add_u64 v[10:11], v[42:43], 0, s[24:25]
	v_lshl_add_u64 v[70:71], v[42:43], 0, s[40:41]
	s_waitcnt vmcnt(3) lgkmcnt(2)
	v_mul_f32_e32 v12, v51, v9
	v_mul_f32_e32 v13, v51, v8
	s_waitcnt vmcnt(2)
	v_mul_f32_e32 v14, v49, v9
	v_mul_f32_e32 v15, v49, v8
	s_waitcnt vmcnt(1)
	;; [unrolled: 3-line block ×3, first 2 shown]
	v_mul_f32_e32 v18, v45, v9
	v_mul_f32_e32 v19, v45, v8
	v_fmac_f32_e32 v12, v50, v8
	v_fma_f32 v13, v50, v9, -v13
	v_fmac_f32_e32 v14, v48, v8
	v_fma_f32 v15, v48, v9, -v15
	;; [unrolled: 2-line block ×4, first 2 shown]
	v_lshl_add_u64 v[8:9], v[42:43], 0, s[44:45]
	ds_write2_b64 v80, v[12:13], v[14:15] offset1:67
	ds_write2_b64 v80, v[16:17], v[18:19] offset0:134 offset1:201
	s_waitcnt lgkmcnt(0)
	s_barrier
	ds_read2_b64 v[24:27], v81 offset1:1
	ds_read2_b64 v[28:31], v81 offset0:2 offset1:3
	s_waitcnt lgkmcnt(0)
	s_barrier
	global_load_dwordx2 v[54:55], v[10:11], off
	global_load_dwordx2 v[52:53], v[8:9], off
	v_lshl_add_u64 v[8:9], v[42:43], 0, s[18:19]
	global_load_dwordx2 v[56:57], v[8:9], off
	v_lshl_add_u64 v[8:9], v[42:43], 0, s[22:23]
	global_load_dwordx2 v[58:59], v[8:9], off
	ds_read_b64 v[16:17], v79
	v_lshl_add_u64 v[18:19], v[42:43], 0, s[20:21]
	ds_read_b128 v[12:15], v78 offset:128
	ds_read_b128 v[8:11], v78 offset:144
	v_pk_add_f32 v[24:25], v[24:25], 0 op_sel_hi:[1,0]
	s_waitcnt vmcnt(3) lgkmcnt(2)
	v_mul_f32_e32 v20, v55, v17
	v_mul_f32_e32 v21, v55, v16
	s_waitcnt vmcnt(2)
	v_mul_f32_e32 v22, v53, v17
	v_mul_f32_e32 v23, v53, v16
	s_waitcnt vmcnt(1)
	;; [unrolled: 3-line block ×3, first 2 shown]
	v_mul_f32_e32 v62, v59, v17
	v_mul_f32_e32 v63, v59, v16
	v_fma_f32 v21, v54, v17, -v21
	v_fmac_f32_e32 v20, v54, v16
	v_fmac_f32_e32 v22, v52, v16
	v_fma_f32 v23, v52, v17, -v23
	v_fmac_f32_e32 v60, v56, v16
	v_fma_f32 v61, v56, v17, -v40
	;; [unrolled: 2-line block ×3, first 2 shown]
	v_lshl_add_u64 v[16:17], v[42:43], 0, s[42:43]
	ds_write2_b64 v80, v[20:21], v[22:23] offset1:67
	ds_write2_b64 v80, v[60:61], v[62:63] offset0:134 offset1:201
	s_waitcnt lgkmcnt(0)
	s_barrier
	ds_read2_b64 v[86:89], v81 offset1:1
	ds_read2_b64 v[90:93], v81 offset0:2 offset1:3
	s_waitcnt lgkmcnt(0)
	s_barrier
	global_load_dwordx2 v[66:67], v[18:19], off
	global_load_dwordx2 v[64:65], v[16:17], off
	v_lshl_add_u64 v[16:17], v[42:43], 0, s[26:27]
	global_load_dwordx2 v[62:63], v[16:17], off
	v_lshl_add_u64 v[16:17], v[42:43], 0, s[28:29]
	global_load_dwordx2 v[60:61], v[16:17], off
	ds_read_b64 v[68:69], v79
	ds_read_b128 v[16:19], v78 offset:256
	ds_read_b128 v[20:23], v78 offset:272
	v_pk_add_f32 v[24:25], v[24:25], v[26:27]
	s_waitcnt vmcnt(3) lgkmcnt(2)
	v_mul_f32_e32 v72, v67, v69
	v_mul_f32_e32 v40, v67, v68
	s_waitcnt vmcnt(2)
	v_mul_f32_e32 v74, v65, v69
	v_mul_f32_e32 v75, v65, v68
	s_waitcnt vmcnt(1)
	;; [unrolled: 3-line block ×3, first 2 shown]
	v_mul_f32_e32 v97, v61, v68
	v_mul_f32_e32 v96, v61, v69
	v_fma_f32 v73, v66, v69, -v40
	v_fma_f32 v75, v64, v69, -v75
	;; [unrolled: 1-line block ×4, first 2 shown]
	v_fmac_f32_e32 v72, v66, v68
	v_fmac_f32_e32 v74, v64, v68
	;; [unrolled: 1-line block ×4, first 2 shown]
	v_lshl_add_u64 v[68:69], v[42:43], 0, s[38:39]
	ds_write2_b64 v80, v[72:73], v[74:75] offset1:67
	ds_write2_b64 v80, v[94:95], v[96:97] offset0:134 offset1:201
	s_waitcnt lgkmcnt(0)
	s_barrier
	ds_read2_b64 v[94:97], v81 offset1:1
	ds_read2_b64 v[98:101], v81 offset0:2 offset1:3
	s_waitcnt lgkmcnt(0)
	s_barrier
	global_load_dwordx2 v[74:75], v[70:71], off
	global_load_dwordx2 v[72:73], v[68:69], off
	v_lshl_add_u64 v[68:69], v[42:43], 0, s[30:31]
	global_load_dwordx2 v[70:71], v[68:69], off
	v_lshl_add_u64 v[68:69], v[42:43], 0, s[34:35]
	global_load_dwordx2 v[68:69], v[68:69], off
	v_pk_add_f32 v[24:25], v[24:25], v[28:29]
	s_nop 0
	v_pk_add_f32 v[102:103], v[24:25], v[30:31]
	v_pk_add_f32 v[24:25], v[86:87], 0 op_sel_hi:[1,0]
	s_nop 0
	v_pk_add_f32 v[24:25], v[24:25], v[88:89]
	v_pk_add_f32 v[88:89], v[94:95], 0 op_sel_hi:[1,0]
	v_pk_add_f32 v[24:25], v[24:25], v[90:91]
	v_pk_add_f32 v[88:89], v[88:89], v[96:97]
	;; [unrolled: 1-line block ×3, first 2 shown]
	ds_read_b64 v[86:87], v79
	ds_read_b128 v[24:27], v78 offset:384
	ds_read_b128 v[28:31], v78 offset:400
	v_pk_add_f32 v[88:89], v[88:89], v[98:99]
	s_waitcnt vmcnt(3) lgkmcnt(2)
	v_mul_f32_e32 v40, v75, v86
	v_pk_add_f32 v[94:95], v[88:89], v[100:101]
	v_mul_f32_e32 v88, v75, v87
	s_waitcnt vmcnt(2)
	v_mul_f32_e32 v85, v73, v86
	v_mul_f32_e32 v90, v73, v87
	s_waitcnt vmcnt(1)
	v_mul_f32_e32 v93, v71, v86
	;; [unrolled: 3-line block ×3, first 2 shown]
	v_mul_f32_e32 v96, v69, v87
	v_fma_f32 v89, v74, v87, -v40
	v_fma_f32 v91, v72, v87, -v85
	v_fmac_f32_e32 v88, v74, v86
	v_fmac_f32_e32 v90, v72, v86
	v_fma_f32 v93, v70, v87, -v93
	v_fmac_f32_e32 v92, v70, v86
	v_fma_f32 v97, v68, v87, -v97
	v_fmac_f32_e32 v96, v68, v86
	ds_write2_b64 v80, v[88:89], v[90:91] offset1:67
	ds_write2_b64 v80, v[92:93], v[96:97] offset0:134 offset1:201
	s_waitcnt lgkmcnt(0)
	s_barrier
	ds_read2_b64 v[86:89], v81 offset1:1
	ds_read2_b64 v[90:93], v81 offset0:2 offset1:3
	s_waitcnt lgkmcnt(0)
	s_barrier
	v_pk_add_f32 v[86:87], v[86:87], 0 op_sel_hi:[1,0]
	ds_write2_b64 v84, v[102:103], v[104:105] offset1:16
	v_pk_add_f32 v[86:87], v[86:87], v[88:89]
	s_nop 0
	v_pk_add_f32 v[86:87], v[86:87], v[90:91]
	s_nop 0
	v_pk_add_f32 v[86:87], v[86:87], v[92:93]
	ds_write2_b64 v84, v[94:95], v[86:87] offset0:32 offset1:48
	s_waitcnt lgkmcnt(0)
	s_barrier
	s_and_saveexec_b64 s[46:47], s[4:5]
	s_cbranch_execz .LBB8_138
; %bb.142:                              ;   in Loop: Header=BB8_139 Depth=1
	ds_read_b64 v[94:95], v82
	ds_read2_b64 v[86:89], v82 offset0:1 offset1:2
	ds_read2_b64 v[90:93], v82 offset0:3 offset1:4
	s_waitcnt lgkmcnt(1)
	v_add_f32_e32 v40, v86, v94
	v_add_f32_e32 v85, v87, v95
	;; [unrolled: 1-line block ×4, first 2 shown]
	ds_read2_b64 v[86:89], v82 offset0:5 offset1:6
	s_waitcnt lgkmcnt(1)
	v_add_f32_e32 v40, v40, v90
	v_add_f32_e32 v85, v85, v91
	;; [unrolled: 1-line block ×4, first 2 shown]
	ds_read2_b64 v[90:93], v82 offset0:7 offset1:8
	s_waitcnt lgkmcnt(1)
	v_pk_add_f32 v[86:87], v[94:95], v[86:87]
	ds_read2_b64 v[94:97], v82 offset0:9 offset1:10
	v_pk_add_f32 v[86:87], v[86:87], v[88:89]
	v_add_u32_e32 v40, s3, v77
	s_waitcnt lgkmcnt(1)
	v_pk_add_f32 v[86:87], v[86:87], v[90:91]
	v_lshl_add_u64 v[98:99], v[40:41], 3, s[6:7]
	v_pk_add_f32 v[90:91], v[86:87], v[92:93]
	ds_read2_b64 v[86:89], v82 offset0:11 offset1:12
	s_waitcnt lgkmcnt(1)
	v_pk_add_f32 v[94:95], v[90:91], v[94:95]
	ds_read2_b64 v[90:93], v82 offset0:13 offset1:14
	v_pk_add_f32 v[94:95], v[94:95], v[96:97]
	ds_read_b64 v[96:97], v83
	s_waitcnt lgkmcnt(2)
	v_pk_add_f32 v[86:87], v[94:95], v[86:87]
	s_nop 0
	v_pk_add_f32 v[86:87], v[86:87], v[88:89]
	s_waitcnt lgkmcnt(1)
	v_pk_add_f32 v[86:87], v[86:87], v[90:91]
	s_nop 0
	v_pk_add_f32 v[86:87], v[86:87], v[92:93]
	s_waitcnt lgkmcnt(0)
	v_pk_add_f32 v[86:87], v[86:87], v[96:97]
	global_store_dwordx2 v[98:99], v[86:87], off
	s_branch .LBB8_138
.LBB8_143:
	s_movk_i32 s2, 0x218
	v_mad_u32_u24 v0, v76, s2, v36
	s_nor_b64 s[0:1], s[0:1], vcc
	ds_write_b64 v0, v[34:35]
	s_waitcnt lgkmcnt(0)
	s_barrier
	s_and_saveexec_b64 s[2:3], s[0:1]
	s_cbranch_execz .LBB8_145
; %bb.144:
	ds_read2_b64 v[0:3], v36 offset1:67
	ds_read2_b64 v[4:7], v36 offset0:134 offset1:201
	v_lshl_add_u64 v[8:9], v[32:33], 3, s[6:7]
	s_waitcnt lgkmcnt(1)
	v_pk_add_f32 v[0:1], v[2:3], v[0:1]
	s_waitcnt lgkmcnt(0)
	v_pk_add_f32 v[0:1], v[4:5], v[0:1]
	s_nop 0
	v_pk_add_f32 v[0:1], v[0:1], v[6:7]
	global_store_dwordx2 v[8:9], v[0:1], off
.LBB8_145:
	s_endpgm
	.section	.rodata,"a",@progbits
	.p2align	6, 0x0
	.amdhsa_kernel _ZL26rocblas_hemvn_kernel_lowerILb1ELi64ELi4ELi33ELi32ELi16ElPK19rocblas_complex_numIfES3_PS1_EviT6_lT7_lT5_lS6_lS7_lS5_lT8_i
		.amdhsa_group_segment_fixed_size 9600
		.amdhsa_private_segment_fixed_size 0
		.amdhsa_kernarg_size 376
		.amdhsa_user_sgpr_count 2
		.amdhsa_user_sgpr_dispatch_ptr 0
		.amdhsa_user_sgpr_queue_ptr 0
		.amdhsa_user_sgpr_kernarg_segment_ptr 1
		.amdhsa_user_sgpr_dispatch_id 0
		.amdhsa_user_sgpr_kernarg_preload_length 0
		.amdhsa_user_sgpr_kernarg_preload_offset 0
		.amdhsa_user_sgpr_private_segment_size 0
		.amdhsa_uses_dynamic_stack 0
		.amdhsa_enable_private_segment 0
		.amdhsa_system_sgpr_workgroup_id_x 1
		.amdhsa_system_sgpr_workgroup_id_y 0
		.amdhsa_system_sgpr_workgroup_id_z 1
		.amdhsa_system_sgpr_workgroup_info 0
		.amdhsa_system_vgpr_workitem_id 1
		.amdhsa_next_free_vgpr 106
		.amdhsa_next_free_sgpr 50
		.amdhsa_accum_offset 108
		.amdhsa_reserve_vcc 1
		.amdhsa_float_round_mode_32 0
		.amdhsa_float_round_mode_16_64 0
		.amdhsa_float_denorm_mode_32 3
		.amdhsa_float_denorm_mode_16_64 3
		.amdhsa_dx10_clamp 1
		.amdhsa_ieee_mode 1
		.amdhsa_fp16_overflow 0
		.amdhsa_tg_split 0
		.amdhsa_exception_fp_ieee_invalid_op 0
		.amdhsa_exception_fp_denorm_src 0
		.amdhsa_exception_fp_ieee_div_zero 0
		.amdhsa_exception_fp_ieee_overflow 0
		.amdhsa_exception_fp_ieee_underflow 0
		.amdhsa_exception_fp_ieee_inexact 0
		.amdhsa_exception_int_div_zero 0
	.end_amdhsa_kernel
	.section	.text._ZL26rocblas_hemvn_kernel_lowerILb1ELi64ELi4ELi33ELi32ELi16ElPK19rocblas_complex_numIfES3_PS1_EviT6_lT7_lT5_lS6_lS7_lS5_lT8_i,"axG",@progbits,_ZL26rocblas_hemvn_kernel_lowerILb1ELi64ELi4ELi33ELi32ELi16ElPK19rocblas_complex_numIfES3_PS1_EviT6_lT7_lT5_lS6_lS7_lS5_lT8_i,comdat
.Lfunc_end8:
	.size	_ZL26rocblas_hemvn_kernel_lowerILb1ELi64ELi4ELi33ELi32ELi16ElPK19rocblas_complex_numIfES3_PS1_EviT6_lT7_lT5_lS6_lS7_lS5_lT8_i, .Lfunc_end8-_ZL26rocblas_hemvn_kernel_lowerILb1ELi64ELi4ELi33ELi32ELi16ElPK19rocblas_complex_numIfES3_PS1_EviT6_lT7_lT5_lS6_lS7_lS5_lT8_i
                                        ; -- End function
	.set _ZL26rocblas_hemvn_kernel_lowerILb1ELi64ELi4ELi33ELi32ELi16ElPK19rocblas_complex_numIfES3_PS1_EviT6_lT7_lT5_lS6_lS7_lS5_lT8_i.num_vgpr, 106
	.set _ZL26rocblas_hemvn_kernel_lowerILb1ELi64ELi4ELi33ELi32ELi16ElPK19rocblas_complex_numIfES3_PS1_EviT6_lT7_lT5_lS6_lS7_lS5_lT8_i.num_agpr, 0
	.set _ZL26rocblas_hemvn_kernel_lowerILb1ELi64ELi4ELi33ELi32ELi16ElPK19rocblas_complex_numIfES3_PS1_EviT6_lT7_lT5_lS6_lS7_lS5_lT8_i.numbered_sgpr, 50
	.set _ZL26rocblas_hemvn_kernel_lowerILb1ELi64ELi4ELi33ELi32ELi16ElPK19rocblas_complex_numIfES3_PS1_EviT6_lT7_lT5_lS6_lS7_lS5_lT8_i.num_named_barrier, 0
	.set _ZL26rocblas_hemvn_kernel_lowerILb1ELi64ELi4ELi33ELi32ELi16ElPK19rocblas_complex_numIfES3_PS1_EviT6_lT7_lT5_lS6_lS7_lS5_lT8_i.private_seg_size, 0
	.set _ZL26rocblas_hemvn_kernel_lowerILb1ELi64ELi4ELi33ELi32ELi16ElPK19rocblas_complex_numIfES3_PS1_EviT6_lT7_lT5_lS6_lS7_lS5_lT8_i.uses_vcc, 1
	.set _ZL26rocblas_hemvn_kernel_lowerILb1ELi64ELi4ELi33ELi32ELi16ElPK19rocblas_complex_numIfES3_PS1_EviT6_lT7_lT5_lS6_lS7_lS5_lT8_i.uses_flat_scratch, 0
	.set _ZL26rocblas_hemvn_kernel_lowerILb1ELi64ELi4ELi33ELi32ELi16ElPK19rocblas_complex_numIfES3_PS1_EviT6_lT7_lT5_lS6_lS7_lS5_lT8_i.has_dyn_sized_stack, 0
	.set _ZL26rocblas_hemvn_kernel_lowerILb1ELi64ELi4ELi33ELi32ELi16ElPK19rocblas_complex_numIfES3_PS1_EviT6_lT7_lT5_lS6_lS7_lS5_lT8_i.has_recursion, 0
	.set _ZL26rocblas_hemvn_kernel_lowerILb1ELi64ELi4ELi33ELi32ELi16ElPK19rocblas_complex_numIfES3_PS1_EviT6_lT7_lT5_lS6_lS7_lS5_lT8_i.has_indirect_call, 0
	.section	.AMDGPU.csdata,"",@progbits
; Kernel info:
; codeLenInByte = 8416
; TotalNumSgprs: 56
; NumVgprs: 106
; NumAgprs: 0
; TotalNumVgprs: 106
; ScratchSize: 0
; MemoryBound: 1
; FloatMode: 240
; IeeeMode: 1
; LDSByteSize: 9600 bytes/workgroup (compile time only)
; SGPRBlocks: 6
; VGPRBlocks: 13
; NumSGPRsForWavesPerEU: 56
; NumVGPRsForWavesPerEU: 106
; AccumOffset: 108
; Occupancy: 4
; WaveLimiterHint : 0
; COMPUTE_PGM_RSRC2:SCRATCH_EN: 0
; COMPUTE_PGM_RSRC2:USER_SGPR: 2
; COMPUTE_PGM_RSRC2:TRAP_HANDLER: 0
; COMPUTE_PGM_RSRC2:TGID_X_EN: 1
; COMPUTE_PGM_RSRC2:TGID_Y_EN: 0
; COMPUTE_PGM_RSRC2:TGID_Z_EN: 1
; COMPUTE_PGM_RSRC2:TIDIG_COMP_CNT: 1
; COMPUTE_PGM_RSRC3_GFX90A:ACCUM_OFFSET: 26
; COMPUTE_PGM_RSRC3_GFX90A:TG_SPLIT: 0
	.section	.text._ZL36rocblas_hemvn_kernel_lower_block_sumILi64ElPK19rocblas_complex_numIfEPS1_S1_EviT1_lS5_lT2_lT0_lPT3_i,"axG",@progbits,_ZL36rocblas_hemvn_kernel_lower_block_sumILi64ElPK19rocblas_complex_numIfEPS1_S1_EviT1_lS5_lT2_lT0_lPT3_i,comdat
	.globl	_ZL36rocblas_hemvn_kernel_lower_block_sumILi64ElPK19rocblas_complex_numIfEPS1_S1_EviT1_lS5_lT2_lT0_lPT3_i ; -- Begin function _ZL36rocblas_hemvn_kernel_lower_block_sumILi64ElPK19rocblas_complex_numIfEPS1_S1_EviT1_lS5_lT2_lT0_lPT3_i
	.p2align	8
	.type	_ZL36rocblas_hemvn_kernel_lower_block_sumILi64ElPK19rocblas_complex_numIfEPS1_S1_EviT1_lS5_lT2_lT0_lPT3_i,@function
_ZL36rocblas_hemvn_kernel_lower_block_sumILi64ElPK19rocblas_complex_numIfEPS1_S1_EviT1_lS5_lT2_lT0_lPT3_i: ; @_ZL36rocblas_hemvn_kernel_lower_block_sumILi64ElPK19rocblas_complex_numIfEPS1_S1_EviT1_lS5_lT2_lT0_lPT3_i
; %bb.0:
	s_load_dwordx8 s[8:15], s[0:1], 0x8
	s_waitcnt lgkmcnt(0)
	s_mul_i32 s4, s11, s3
	s_mul_hi_u32 s5, s10, s3
	s_add_i32 s5, s5, s4
	s_mul_i32 s4, s10, s3
	s_lshl_b64 s[4:5], s[4:5], 3
	s_add_u32 s4, s8, s4
	s_mul_i32 s6, s15, s3
	s_mul_hi_u32 s7, s14, s3
	s_addc_u32 s5, s9, s5
	s_add_i32 s7, s7, s6
	s_mul_i32 s6, s14, s3
	s_load_dwordx2 s[8:9], s[4:5], 0x0
	s_lshl_b64 s[4:5], s[6:7], 3
	s_add_u32 s4, s12, s4
	s_addc_u32 s5, s13, s5
	s_load_dwordx2 s[10:11], s[4:5], 0x0
	s_waitcnt lgkmcnt(0)
	s_or_b32 s4, s8, s9
	s_bitset0_b32 s4, 31
	s_cmp_eq_u32 s4, 0
	s_cselect_b64 s[16:17], -1, 0
	v_cmp_eq_f32_e64 s[4:5], s10, 1.0
	v_cmp_eq_f32_e64 s[6:7], s11, 0
	s_and_b64 s[4:5], s[4:5], s[6:7]
	s_and_b64 s[4:5], s[16:17], s[4:5]
	s_and_b64 vcc, exec, s[4:5]
	s_cbranch_vccnz .LBB9_17
; %bb.1:
	s_load_dwordx2 s[12:13], s[0:1], 0x40
	s_load_dwordx4 s[4:7], s[0:1], 0x30
	s_load_dwordx2 s[18:19], s[0:1], 0x28
	s_load_dword s14, s[0:1], 0x0
	v_lshl_or_b32 v8, s2, 6, v0
	s_waitcnt lgkmcnt(0)
	s_mul_i32 s13, s13, s3
	s_mul_hi_u32 s15, s12, s3
	s_add_i32 s13, s15, s13
	s_mul_i32 s12, s12, s3
	s_lshl_b64 s[12:13], s[12:13], 3
	s_add_u32 s12, s18, s12
	s_addc_u32 s13, s19, s13
	s_lshl_b64 s[4:5], s[4:5], 3
	s_add_u32 s12, s12, s4
	s_addc_u32 s13, s13, s5
	s_mov_b64 s[18:19], -1
	s_andn2_b64 vcc, exec, s[16:17]
	v_cmp_gt_i32_e64 s[4:5], s14, v8
	s_cbranch_vccnz .LBB9_7
; %bb.2:
	s_and_saveexec_b64 s[16:17], s[4:5]
	s_cbranch_execz .LBB9_6
; %bb.3:
	v_ashrrev_i32_e32 v0, 31, v8
	v_cmp_neq_f32_e64 s[4:5], s10, 0
	v_cmp_neq_f32_e64 s[18:19], s11, 0
	v_mul_lo_u32 v1, s7, v8
	v_mul_lo_u32 v0, s6, v0
	v_mad_u64_u32 v[2:3], s[20:21], s6, v8, 0
	v_add3_u32 v3, v3, v0, v1
	s_or_b64 s[4:5], s[4:5], s[18:19]
	v_mov_b32_e32 v0, 0
	s_andn2_b64 vcc, exec, s[4:5]
	v_lshl_add_u64 v[2:3], v[2:3], 3, s[12:13]
	v_mov_b32_e32 v1, 0
	s_cbranch_vccnz .LBB9_5
; %bb.4:
	global_load_dwordx2 v[4:5], v[2:3], off
	s_waitcnt vmcnt(0)
	v_pk_mul_f32 v[6:7], v[4:5], s[10:11] op_sel:[1,1] op_sel_hi:[1,0]
	s_nop 0
	v_pk_fma_f32 v[0:1], v[4:5], s[10:11], v[6:7] neg_lo:[0,0,1] neg_hi:[0,0,1]
	v_pk_fma_f32 v[4:5], v[4:5], s[10:11], v[6:7] op_sel_hi:[0,1,1]
	v_mov_b32_e32 v1, v5
.LBB9_5:
	global_store_dwordx2 v[2:3], v[0:1], off
.LBB9_6:
	s_or_b64 exec, exec, s[16:17]
	s_mov_b64 s[18:19], 0
.LBB9_7:
	s_andn2_b64 vcc, exec, s[18:19]
	s_cbranch_vccnz .LBB9_17
; %bb.8:
	v_cmp_gt_i32_e32 vcc, s14, v8
	s_and_saveexec_b64 s[4:5], vcc
	s_cbranch_execz .LBB9_17
; %bb.9:
	s_load_dword s4, s[0:1], 0x58
	v_mov_b32_e32 v1, 0
	v_mov_b32_e32 v0, v1
	s_waitcnt lgkmcnt(0)
	s_cmp_ge_i32 s2, s4
	s_cbranch_scc1 .LBB9_12
; %bb.10:
	s_ashr_i32 s15, s14, 31
	s_mul_i32 s5, s14, s2
	s_load_dwordx2 s[0:1], s[0:1], 0x48
	v_add_u32_e32 v0, s5, v8
	s_mul_hi_u32 s5, s14, s3
	s_mul_i32 s16, s15, s3
	s_add_i32 s5, s5, s16
	s_mul_i32 s3, s14, s3
	s_mul_i32 s5, s5, s4
	s_mul_hi_u32 s16, s3, s4
	s_add_i32 s17, s16, s5
	s_mul_i32 s16, s3, s4
	s_lshl_b64 s[16:17], s[16:17], 3
	s_waitcnt lgkmcnt(0)
	s_add_u32 s0, s0, s16
	v_ashrrev_i32_e32 v1, 31, v0
	s_addc_u32 s1, s1, s17
	v_lshl_add_u64 v[2:3], v[0:1], 3, s[0:1]
	v_mov_b32_e32 v0, 0
	s_lshl_b64 s[0:1], s[14:15], 3
	v_mov_b32_e32 v1, v0
.LBB9_11:                               ; =>This Inner Loop Header: Depth=1
	global_load_dwordx2 v[4:5], v[2:3], off
	s_add_i32 s2, s2, 1
	v_lshl_add_u64 v[2:3], v[2:3], 0, s[0:1]
	s_cmp_ge_i32 s2, s4
	s_waitcnt vmcnt(0)
	v_pk_add_f32 v[0:1], v[0:1], v[4:5]
	s_cbranch_scc0 .LBB9_11
.LBB9_12:
	v_cmp_neq_f32_e64 s[0:1], s10, 0
	v_cmp_neq_f32_e64 s[2:3], s11, 0
	s_or_b64 s[0:1], s[0:1], s[2:3]
	v_pk_mul_f32 v[6:7], v[0:1], s[8:9] op_sel:[1,1] op_sel_hi:[1,0]
	v_ashrrev_i32_e32 v4, 31, v8
	s_andn2_b64 vcc, exec, s[0:1]
	v_pk_fma_f32 v[2:3], v[0:1], s[8:9], v[6:7] op_sel_hi:[0,1,1]
	v_mul_lo_u32 v9, s7, v8
	v_mul_lo_u32 v10, s6, v4
	s_cbranch_vccz .LBB9_14
; %bb.13:
	v_pk_mul_f32 v[12:13], v[0:1], s[8:9]
	v_mad_u64_u32 v[4:5], s[0:1], s6, v8, 0
	v_add3_u32 v5, v5, v10, v9
	v_sub_f32_e32 v2, v12, v6
	s_cbranch_execz .LBB9_15
	s_branch .LBB9_16
.LBB9_14:
                                        ; implicit-def: $vgpr4_vgpr5
.LBB9_15:
	v_mad_u64_u32 v[4:5], s[0:1], s6, v8, 0
	v_add3_u32 v5, v5, v10, v9
	v_lshl_add_u64 v[8:9], v[4:5], 3, s[12:13]
	global_load_dwordx2 v[8:9], v[8:9], off
	v_pk_fma_f32 v[0:1], v[0:1], s[8:9], v[6:7] neg_lo:[0,0,1] neg_hi:[0,0,1]
	s_waitcnt vmcnt(0)
	v_pk_mul_f32 v[6:7], v[8:9], s[10:11] op_sel:[1,1] op_sel_hi:[1,0]
	s_nop 0
	v_pk_fma_f32 v[10:11], v[8:9], s[10:11], v[6:7] neg_lo:[0,0,1] neg_hi:[0,0,1]
	v_pk_fma_f32 v[6:7], v[8:9], s[10:11], v[6:7] op_sel_hi:[0,1,1]
	v_mov_b32_e32 v11, v7
	v_mov_b32_e32 v1, v3
	v_pk_add_f32 v[2:3], v[0:1], v[10:11]
.LBB9_16:
	v_lshl_add_u64 v[0:1], v[4:5], 3, s[12:13]
	global_store_dwordx2 v[0:1], v[2:3], off
.LBB9_17:
	s_endpgm
	.section	.rodata,"a",@progbits
	.p2align	6, 0x0
	.amdhsa_kernel _ZL36rocblas_hemvn_kernel_lower_block_sumILi64ElPK19rocblas_complex_numIfEPS1_S1_EviT1_lS5_lT2_lT0_lPT3_i
		.amdhsa_group_segment_fixed_size 0
		.amdhsa_private_segment_fixed_size 0
		.amdhsa_kernarg_size 344
		.amdhsa_user_sgpr_count 2
		.amdhsa_user_sgpr_dispatch_ptr 0
		.amdhsa_user_sgpr_queue_ptr 0
		.amdhsa_user_sgpr_kernarg_segment_ptr 1
		.amdhsa_user_sgpr_dispatch_id 0
		.amdhsa_user_sgpr_kernarg_preload_length 0
		.amdhsa_user_sgpr_kernarg_preload_offset 0
		.amdhsa_user_sgpr_private_segment_size 0
		.amdhsa_uses_dynamic_stack 0
		.amdhsa_enable_private_segment 0
		.amdhsa_system_sgpr_workgroup_id_x 1
		.amdhsa_system_sgpr_workgroup_id_y 0
		.amdhsa_system_sgpr_workgroup_id_z 1
		.amdhsa_system_sgpr_workgroup_info 0
		.amdhsa_system_vgpr_workitem_id 0
		.amdhsa_next_free_vgpr 14
		.amdhsa_next_free_sgpr 22
		.amdhsa_accum_offset 16
		.amdhsa_reserve_vcc 1
		.amdhsa_float_round_mode_32 0
		.amdhsa_float_round_mode_16_64 0
		.amdhsa_float_denorm_mode_32 3
		.amdhsa_float_denorm_mode_16_64 3
		.amdhsa_dx10_clamp 1
		.amdhsa_ieee_mode 1
		.amdhsa_fp16_overflow 0
		.amdhsa_tg_split 0
		.amdhsa_exception_fp_ieee_invalid_op 0
		.amdhsa_exception_fp_denorm_src 0
		.amdhsa_exception_fp_ieee_div_zero 0
		.amdhsa_exception_fp_ieee_overflow 0
		.amdhsa_exception_fp_ieee_underflow 0
		.amdhsa_exception_fp_ieee_inexact 0
		.amdhsa_exception_int_div_zero 0
	.end_amdhsa_kernel
	.section	.text._ZL36rocblas_hemvn_kernel_lower_block_sumILi64ElPK19rocblas_complex_numIfEPS1_S1_EviT1_lS5_lT2_lT0_lPT3_i,"axG",@progbits,_ZL36rocblas_hemvn_kernel_lower_block_sumILi64ElPK19rocblas_complex_numIfEPS1_S1_EviT1_lS5_lT2_lT0_lPT3_i,comdat
.Lfunc_end9:
	.size	_ZL36rocblas_hemvn_kernel_lower_block_sumILi64ElPK19rocblas_complex_numIfEPS1_S1_EviT1_lS5_lT2_lT0_lPT3_i, .Lfunc_end9-_ZL36rocblas_hemvn_kernel_lower_block_sumILi64ElPK19rocblas_complex_numIfEPS1_S1_EviT1_lS5_lT2_lT0_lPT3_i
                                        ; -- End function
	.set _ZL36rocblas_hemvn_kernel_lower_block_sumILi64ElPK19rocblas_complex_numIfEPS1_S1_EviT1_lS5_lT2_lT0_lPT3_i.num_vgpr, 14
	.set _ZL36rocblas_hemvn_kernel_lower_block_sumILi64ElPK19rocblas_complex_numIfEPS1_S1_EviT1_lS5_lT2_lT0_lPT3_i.num_agpr, 0
	.set _ZL36rocblas_hemvn_kernel_lower_block_sumILi64ElPK19rocblas_complex_numIfEPS1_S1_EviT1_lS5_lT2_lT0_lPT3_i.numbered_sgpr, 22
	.set _ZL36rocblas_hemvn_kernel_lower_block_sumILi64ElPK19rocblas_complex_numIfEPS1_S1_EviT1_lS5_lT2_lT0_lPT3_i.num_named_barrier, 0
	.set _ZL36rocblas_hemvn_kernel_lower_block_sumILi64ElPK19rocblas_complex_numIfEPS1_S1_EviT1_lS5_lT2_lT0_lPT3_i.private_seg_size, 0
	.set _ZL36rocblas_hemvn_kernel_lower_block_sumILi64ElPK19rocblas_complex_numIfEPS1_S1_EviT1_lS5_lT2_lT0_lPT3_i.uses_vcc, 1
	.set _ZL36rocblas_hemvn_kernel_lower_block_sumILi64ElPK19rocblas_complex_numIfEPS1_S1_EviT1_lS5_lT2_lT0_lPT3_i.uses_flat_scratch, 0
	.set _ZL36rocblas_hemvn_kernel_lower_block_sumILi64ElPK19rocblas_complex_numIfEPS1_S1_EviT1_lS5_lT2_lT0_lPT3_i.has_dyn_sized_stack, 0
	.set _ZL36rocblas_hemvn_kernel_lower_block_sumILi64ElPK19rocblas_complex_numIfEPS1_S1_EviT1_lS5_lT2_lT0_lPT3_i.has_recursion, 0
	.set _ZL36rocblas_hemvn_kernel_lower_block_sumILi64ElPK19rocblas_complex_numIfEPS1_S1_EviT1_lS5_lT2_lT0_lPT3_i.has_indirect_call, 0
	.section	.AMDGPU.csdata,"",@progbits
; Kernel info:
; codeLenInByte = 776
; TotalNumSgprs: 28
; NumVgprs: 14
; NumAgprs: 0
; TotalNumVgprs: 14
; ScratchSize: 0
; MemoryBound: 0
; FloatMode: 240
; IeeeMode: 1
; LDSByteSize: 0 bytes/workgroup (compile time only)
; SGPRBlocks: 3
; VGPRBlocks: 1
; NumSGPRsForWavesPerEU: 28
; NumVGPRsForWavesPerEU: 14
; AccumOffset: 16
; Occupancy: 8
; WaveLimiterHint : 0
; COMPUTE_PGM_RSRC2:SCRATCH_EN: 0
; COMPUTE_PGM_RSRC2:USER_SGPR: 2
; COMPUTE_PGM_RSRC2:TRAP_HANDLER: 0
; COMPUTE_PGM_RSRC2:TGID_X_EN: 1
; COMPUTE_PGM_RSRC2:TGID_Y_EN: 0
; COMPUTE_PGM_RSRC2:TGID_Z_EN: 1
; COMPUTE_PGM_RSRC2:TIDIG_COMP_CNT: 0
; COMPUTE_PGM_RSRC3_GFX90A:ACCUM_OFFSET: 3
; COMPUTE_PGM_RSRC3_GFX90A:TG_SPLIT: 0
	.section	.text._ZL26rocblas_hemvn_kernel_lowerILb1ELi64ELi4ELi33ELi32ELi16EiPK19rocblas_complex_numIfES3_PS1_EviT6_lT7_lT5_lS6_lS7_lS5_lT8_i,"axG",@progbits,_ZL26rocblas_hemvn_kernel_lowerILb1ELi64ELi4ELi33ELi32ELi16EiPK19rocblas_complex_numIfES3_PS1_EviT6_lT7_lT5_lS6_lS7_lS5_lT8_i,comdat
	.globl	_ZL26rocblas_hemvn_kernel_lowerILb1ELi64ELi4ELi33ELi32ELi16EiPK19rocblas_complex_numIfES3_PS1_EviT6_lT7_lT5_lS6_lS7_lS5_lT8_i ; -- Begin function _ZL26rocblas_hemvn_kernel_lowerILb1ELi64ELi4ELi33ELi32ELi16EiPK19rocblas_complex_numIfES3_PS1_EviT6_lT7_lT5_lS6_lS7_lS5_lT8_i
	.p2align	8
	.type	_ZL26rocblas_hemvn_kernel_lowerILb1ELi64ELi4ELi33ELi32ELi16EiPK19rocblas_complex_numIfES3_PS1_EviT6_lT7_lT5_lS6_lS7_lS5_lT8_i,@function
_ZL26rocblas_hemvn_kernel_lowerILb1ELi64ELi4ELi33ELi32ELi16EiPK19rocblas_complex_numIfES3_PS1_EviT6_lT7_lT5_lS6_lS7_lS5_lT8_i: ; @_ZL26rocblas_hemvn_kernel_lowerILb1ELi64ELi4ELi33ELi32ELi16EiPK19rocblas_complex_numIfES3_PS1_EviT6_lT7_lT5_lS6_lS7_lS5_lT8_i
; %bb.0:
	s_load_dwordx2 s[4:5], s[0:1], 0x84
	s_add_u32 s12, s0, 0x78
	s_addc_u32 s13, s1, 0
	s_waitcnt lgkmcnt(0)
	s_lshr_b32 s6, s4, 16
	s_and_b32 s4, s4, 0xffff
	s_and_b32 s5, s5, 0xffff
	s_mul_i32 s4, s6, s4
	s_mul_i32 s4, s4, s5
	s_cmpk_lg_i32 s4, 0x100
	s_cbranch_scc1 .LBB10_145
; %bb.1:
	s_load_dwordx8 s[4:11], s[0:1], 0x8
	s_waitcnt lgkmcnt(0)
	s_mul_i32 s7, s7, s3
	s_mul_hi_u32 s14, s6, s3
	s_mul_i32 s6, s6, s3
	s_add_i32 s7, s14, s7
	s_lshl_b64 s[6:7], s[6:7], 3
	s_add_u32 s4, s4, s6
	s_addc_u32 s5, s5, s7
	s_load_dwordx2 s[6:7], s[4:5], 0x0
	s_load_dwordx8 s[16:23], s[0:1], 0x50
	s_waitcnt lgkmcnt(0)
	s_or_b32 s4, s6, s7
	s_bitset0_b32 s4, 31
	s_cmp_lg_u32 s4, 0
	s_cselect_b64 s[4:5], -1, 0
	s_mov_b64 s[6:7], -1
	s_and_b64 vcc, exec, s[4:5]
	s_cbranch_vccnz .LBB10_3
; %bb.2:
	s_mul_i32 s6, s21, s3
	s_mul_hi_u32 s7, s20, s3
	s_add_i32 s7, s7, s6
	s_mul_i32 s6, s20, s3
	s_lshl_b64 s[6:7], s[6:7], 3
	s_add_u32 s6, s18, s6
	s_addc_u32 s7, s19, s7
	s_load_dwordx2 s[14:15], s[6:7], 0x0
	s_waitcnt lgkmcnt(0)
	v_cmp_neq_f32_e64 s[6:7], s14, 1.0
	v_cmp_neq_f32_e64 s[14:15], s15, 0
	s_or_b64 s[6:7], s[6:7], s[14:15]
.LBB10_3:
	s_andn2_b64 vcc, exec, s[6:7]
	s_cbranch_vccnz .LBB10_145
; %bb.4:
	s_andn2_b64 vcc, exec, s[4:5]
	s_cbranch_vccnz .LBB10_145
; %bb.5:
	s_load_dword s39, s[12:13], 0x0
	s_load_dword s38, s[0:1], 0x0
	s_load_dwordx4 s[4:7], s[0:1], 0x30
	s_load_dwordx2 s[14:15], s[0:1], 0x40
	s_load_dword s33, s[0:1], 0x48
	s_mul_i32 s12, s17, s3
	s_mul_hi_u32 s13, s16, s3
	s_add_i32 s13, s13, s12
	s_mul_i32 s12, s16, s3
	s_lshl_b64 s[12:13], s[12:13], 3
	s_waitcnt lgkmcnt(0)
	s_add_u32 s12, s6, s12
	s_addc_u32 s13, s7, s13
	s_lshl_b64 s[6:7], s[14:15], 3
	s_add_u32 s6, s12, s6
	s_addc_u32 s7, s13, s7
	s_ashr_i32 s40, s38, 31
	s_lshr_b32 s13, s40, 26
	v_and_b32_e32 v34, 0x3ff, v0
	s_lshl_b32 s26, s2, 6
	s_add_i32 s13, s38, s13
	s_andn2_b32 s13, s13, 63
	v_add_u32_e32 v32, s26, v34
	v_bfe_u32 v33, v0, 10, 10
	s_add_i32 s12, s39, -1
	s_sub_i32 s13, s38, s13
	v_mul_lo_u32 v0, s33, v32
	s_cmp_eq_u32 s2, s12
	v_ashrrev_i32_e32 v1, 31, v0
	s_cselect_b32 s24, s13, 0
	v_lshl_add_u64 v[16:17], v[0:1], 3, s[6:7]
	v_cmp_ne_u32_e64 s[16:17], 0, v33
	v_cmp_eq_u32_e64 s[18:19], 0, v33
	s_and_saveexec_b64 s[6:7], s[18:19]
	s_cbranch_execz .LBB10_10
; %bb.6:
	s_cmp_lg_u32 s24, 0
	s_cselect_b64 s[12:13], -1, 0
	v_cmp_le_i32_e32 vcc, s24, v34
	v_mov_b32_e32 v0, 0x2380
	s_and_b64 s[12:13], s[12:13], vcc
	v_lshl_add_u32 v0, v34, 3, v0
	s_and_saveexec_b64 s[14:15], s[12:13]
	s_xor_b64 s[12:13], exec, s[14:15]
; %bb.7:
	v_mov_b32_e32 v2, 0
	v_mov_b32_e32 v3, v2
	ds_write_b64 v0, v[2:3]
                                        ; implicit-def: $vgpr0
; %bb.8:
	s_andn2_saveexec_b64 s[12:13], s[12:13]
	s_cbranch_execz .LBB10_10
; %bb.9:
	global_load_dwordx2 v[2:3], v[16:17], off
	s_waitcnt vmcnt(0)
	ds_write_b64 v0, v[2:3]
.LBB10_10:
	s_or_b64 exec, exec, s[6:7]
	s_mul_i32 s5, s5, s3
	s_mul_hi_u32 s6, s4, s3
	s_add_i32 s5, s6, s5
	s_mul_i32 s4, s4, s3
	s_lshl_b64 s[4:5], s[4:5], 3
	s_add_u32 s6, s8, s4
	s_load_dword s20, s[0:1], 0x28
	s_addc_u32 s7, s9, s5
	s_lshl_b64 s[4:5], s[10:11], 3
	s_add_u32 s4, s6, s4
	s_addc_u32 s5, s7, s5
	s_ashr_i32 s27, s26, 31
	v_lshl_add_u32 v22, v33, 6, v34
	s_lshl_b64 s[0:1], s[26:27], 3
	v_and_b32_e32 v2, 31, v34
	v_lshrrev_b32_e32 v8, 5, v22
	s_add_u32 s0, s4, s0
	s_waitcnt lgkmcnt(0)
	s_mul_i32 s28, s20, s26
	s_addc_u32 s1, s5, s1
	v_mad_u64_u32 v[18:19], s[4:5], s20, v8, v[2:3]
	s_ashr_i32 s29, s28, 31
	v_ashrrev_i32_e32 v19, 31, v18
	s_cmp_lg_u32 s24, 0
	v_lshl_add_u64 v[0:1], v[18:19], 3, s[0:1]
	s_cselect_b64 s[30:31], -1, 0
	s_cmp_eq_u32 s24, 0
	v_lshl_add_u64 v[4:5], s[28:29], 3, v[0:1]
	s_cselect_b64 s[34:35], -1, 0
	s_mov_b64 s[0:1], -1
	s_and_b64 vcc, exec, s[30:31]
	s_cbranch_vccnz .LBB10_12
; %bb.11:
	s_lshl_b32 s0, s20, 3
	s_ashr_i32 s1, s0, 31
	s_ashr_i32 s21, s20, 31
	v_lshl_add_u64 v[0:1], s[0:1], 3, v[4:5]
	s_lshl_b64 s[0:1], s[20:21], 6
	v_lshl_add_u64 v[6:7], v[0:1], 0, s[0:1]
	v_lshl_add_u64 v[10:11], v[6:7], 0, s[0:1]
	global_load_dwordx2 v[12:13], v[4:5], off
	global_load_dwordx2 v[14:15], v[0:1], off
	;; [unrolled: 1-line block ×4, first 2 shown]
	v_mul_u32_u24_e32 v0, 0x108, v8
	v_lshl_add_u32 v0, v2, 3, v0
	s_mov_b64 s[0:1], 0
	s_waitcnt vmcnt(3)
	ds_write_b64 v0, v[12:13]
	s_waitcnt vmcnt(2)
	ds_write_b64 v0, v[14:15] offset:2112
	s_waitcnt vmcnt(1)
	ds_write_b64 v0, v[20:21] offset:4224
	s_waitcnt vmcnt(0)
	ds_write_b64 v0, v[24:25] offset:6336
.LBB10_12:
	s_andn2_b64 vcc, exec, s[0:1]
	v_lshlrev_b32_e32 v0, 3, v2
	s_cbranch_vccnz .LBB10_28
; %bb.13:
	v_sub_co_u32_e32 v6, vcc, v4, v0
	s_ashr_i32 s25, s24, 31
	s_nop 0
	v_subbrev_co_u32_e32 v7, vcc, 0, v5, vcc
	v_lshl_add_u64 v[6:7], s[24:25], 3, v[6:7]
	v_mov_b32_e32 v10, 0
	v_lshl_add_u64 v[6:7], v[6:7], 0, -8
	v_cmp_gt_i32_e32 vcc, s24, v2
	v_cmp_gt_i32_e64 s[0:1], s24, v8
	v_mov_b32_e32 v11, v10
	v_cndmask_b32_e32 v7, v7, v5, vcc
	v_cndmask_b32_e32 v6, v6, v4, vcc
	s_and_saveexec_b64 s[4:5], s[0:1]
	s_cbranch_execz .LBB10_15
; %bb.14:
	global_load_dwordx2 v[10:11], v[6:7], off
.LBB10_15:
	s_or_b64 exec, exec, s[4:5]
	s_movk_i32 s0, 0x108
	v_mad_u32_u24 v3, v8, s0, v0
	s_waitcnt vmcnt(0)
	ds_write_b64 v3, v[10:11]
	v_add_u32_e32 v3, 8, v8
	v_mul_u32_u24_e32 v1, 0x108, v8
	v_cmp_le_i32_e64 s[0:1], s24, v3
	s_and_saveexec_b64 s[4:5], s[0:1]
	s_xor_b64 s[0:1], exec, s[4:5]
; %bb.16:
	v_mov_b32_e32 v10, 0
	v_add_u32_e32 v3, v1, v0
	v_mov_b32_e32 v11, v10
	ds_write_b64 v3, v[10:11] offset:2112
; %bb.17:
	s_andn2_saveexec_b64 s[0:1], s[0:1]
	s_cbranch_execz .LBB10_19
; %bb.18:
	s_lshl_b32 s4, s20, 3
	s_ashr_i32 s5, s4, 31
	v_lshl_add_u64 v[10:11], s[4:5], 3, v[6:7]
	global_load_dwordx2 v[10:11], v[10:11], off
	v_add_u32_e32 v3, v1, v0
	s_waitcnt vmcnt(0)
	ds_write_b64 v3, v[10:11] offset:2112
.LBB10_19:
	s_or_b64 exec, exec, s[0:1]
	v_add_u32_e32 v3, 16, v8
	v_cmp_le_i32_e64 s[0:1], s24, v3
	s_and_saveexec_b64 s[4:5], s[0:1]
	s_xor_b64 s[0:1], exec, s[4:5]
; %bb.20:
	v_mov_b32_e32 v10, 0
	v_add_u32_e32 v3, v1, v0
	v_mov_b32_e32 v11, v10
	ds_write_b64 v3, v[10:11] offset:4224
; %bb.21:
	s_andn2_saveexec_b64 s[0:1], s[0:1]
	s_cbranch_execz .LBB10_23
; %bb.22:
	s_lshl_b32 s4, s20, 4
	s_ashr_i32 s5, s4, 31
	v_lshl_add_u64 v[10:11], s[4:5], 3, v[6:7]
	global_load_dwordx2 v[10:11], v[10:11], off
	v_add_u32_e32 v3, v1, v0
	s_waitcnt vmcnt(0)
	ds_write_b64 v3, v[10:11] offset:4224
.LBB10_23:
	s_or_b64 exec, exec, s[0:1]
	v_add_u32_e32 v3, 24, v8
	v_cmp_le_i32_e64 s[0:1], s24, v3
	s_and_saveexec_b64 s[4:5], s[0:1]
	s_xor_b64 s[0:1], exec, s[4:5]
; %bb.24:
	v_mov_b32_e32 v10, 0
	v_add_u32_e32 v1, v1, v0
	v_mov_b32_e32 v11, v10
	ds_write_b64 v1, v[10:11] offset:6336
                                        ; implicit-def: $vgpr1
; %bb.25:
	s_andn2_saveexec_b64 s[0:1], s[0:1]
	s_cbranch_execz .LBB10_27
; %bb.26:
	s_mul_i32 s4, s20, 24
	s_ashr_i32 s5, s4, 31
	v_lshl_add_u64 v[10:11], s[4:5], 3, v[6:7]
	global_load_dwordx2 v[10:11], v[10:11], off
	v_add_u32_e32 v1, v1, v0
	s_waitcnt vmcnt(0)
	ds_write_b64 v1, v[10:11] offset:6336
.LBB10_27:
	s_or_b64 exec, exec, s[0:1]
	v_mov_b32_e32 v1, 0
	v_lshl_add_u64 v[6:7], v[6:7], 0, v[0:1]
	s_lshl_b64 s[0:1], s[24:25], 3
	v_mov_b32_e32 v1, s1
	v_subrev_co_u32_e64 v6, s[0:1], s0, v6
	s_nop 1
	v_subb_co_u32_e64 v7, s[0:1], v7, v1, s[0:1]
	v_lshl_add_u64 v[6:7], v[6:7], 0, 8
	v_cndmask_b32_e32 v5, v7, v5, vcc
	v_cndmask_b32_e32 v4, v6, v4, vcc
.LBB10_28:
	v_lshlrev_b32_e32 v9, 2, v8
	v_mul_u32_u24_e32 v3, 0x108, v2
	v_cmp_ge_u32_e64 s[6:7], v9, v2
	s_mov_b64 s[0:1], 0
	s_waitcnt lgkmcnt(0)
	s_barrier
                                        ; implicit-def: $vgpr6
	s_and_saveexec_b64 s[4:5], s[6:7]
	s_xor_b64 s[4:5], exec, s[4:5]
	s_cbranch_execz .LBB10_32
; %bb.29:
	v_cmp_eq_u32_e32 vcc, v9, v2
                                        ; implicit-def: $vgpr6
	s_and_saveexec_b64 s[8:9], vcc
	s_xor_b64 s[8:9], exec, s[8:9]
; %bb.30:
	s_mov_b64 s[0:1], exec
	v_add_u32_e32 v6, v0, v3
; %bb.31:
	s_or_b64 exec, exec, s[8:9]
	s_and_b64 s[0:1], s[0:1], exec
.LBB10_32:
	s_or_saveexec_b64 s[4:5], s[4:5]
	v_lshl_or_b32 v1, v2, 8, v0
	v_mov_b32_e32 v7, 0
	s_xor_b64 exec, exec, s[4:5]
	s_cbranch_execz .LBB10_34
; %bb.33:
	s_movk_i32 s8, 0x420
	v_mad_u32_u24 v6, v8, s8, v0
	ds_read_b64 v[10:11], v6
	v_lshl_add_u32 v6, v9, 3, v1
	s_or_b64 s[0:1], s[0:1], exec
	s_waitcnt lgkmcnt(0)
	v_xor_b32_e32 v7, 0x80000000, v11
	ds_write_b32 v6, v10
.LBB10_34:
	s_or_b64 exec, exec, s[4:5]
	s_and_saveexec_b64 s[4:5], s[0:1]
; %bb.35:
	ds_write_b32 v6, v7 offset:4
; %bb.36:
	s_or_b64 exec, exec, s[4:5]
	v_or_b32_e32 v10, 1, v9
	v_cmp_ge_u32_e64 s[8:9], v10, v2
	s_mov_b64 s[0:1], 0
                                        ; implicit-def: $vgpr6
	s_and_saveexec_b64 s[4:5], s[8:9]
	s_xor_b64 s[4:5], exec, s[4:5]
	s_cbranch_execnz .LBB10_96
; %bb.37:
	s_or_saveexec_b64 s[4:5], s[4:5]
	v_mov_b32_e32 v7, 0
	s_xor_b64 exec, exec, s[4:5]
	s_cbranch_execnz .LBB10_99
.LBB10_38:
	s_or_b64 exec, exec, s[4:5]
	s_and_saveexec_b64 s[4:5], s[0:1]
.LBB10_39:
	ds_write_b32 v6, v7 offset:4
.LBB10_40:
	s_or_b64 exec, exec, s[4:5]
	v_or_b32_e32 v11, 2, v9
	v_cmp_ge_u32_e64 s[10:11], v11, v2
	s_mov_b64 s[0:1], 0
                                        ; implicit-def: $vgpr6
	s_and_saveexec_b64 s[4:5], s[10:11]
	s_xor_b64 s[4:5], exec, s[4:5]
	s_cbranch_execnz .LBB10_100
; %bb.41:
	s_or_saveexec_b64 s[4:5], s[4:5]
	v_mov_b32_e32 v7, 0
	s_xor_b64 exec, exec, s[4:5]
	s_cbranch_execnz .LBB10_103
.LBB10_42:
	s_or_b64 exec, exec, s[4:5]
	s_and_saveexec_b64 s[4:5], s[0:1]
.LBB10_43:
	ds_write_b32 v6, v7 offset:4
.LBB10_44:
	s_or_b64 exec, exec, s[4:5]
	v_or_b32_e32 v12, 3, v9
	v_cmp_ge_u32_e64 s[12:13], v12, v2
	s_mov_b64 s[0:1], 0
                                        ; implicit-def: $vgpr6
	s_and_saveexec_b64 s[4:5], s[12:13]
	s_xor_b64 s[4:5], exec, s[4:5]
	s_cbranch_execnz .LBB10_104
; %bb.45:
	s_or_saveexec_b64 s[4:5], s[4:5]
	v_mov_b32_e32 v7, 0
	s_xor_b64 exec, exec, s[4:5]
	s_cbranch_execnz .LBB10_107
.LBB10_46:
	s_or_b64 exec, exec, s[4:5]
	s_and_saveexec_b64 s[4:5], s[0:1]
.LBB10_47:
	ds_write_b32 v6, v7 offset:4
.LBB10_48:
	s_or_b64 exec, exec, s[4:5]
	s_movk_i32 s0, 0x420
	v_mad_u32_u24 v1, v8, s0, v0
	s_movk_i32 s0, 0x108
	v_mad_u32_u24 v14, v10, s0, v0
	s_waitcnt lgkmcnt(0)
	s_barrier
	v_lshlrev_b32_e32 v13, 3, v9
	ds_read2_b64 v[26:29], v14 offset1:33
	ds_read_b64 v[6:7], v1
	ds_read_b128 v[36:39], v13 offset:9088
	v_mul_u32_u24_e32 v15, 33, v2
	v_lshlrev_b32_e32 v23, 3, v15
	ds_read_b64 v[14:15], v14 offset:528
	ds_read_b128 v[40:43], v13 offset:9104
	v_lshl_add_u32 v24, v8, 3, v23
	s_waitcnt lgkmcnt(2)
	v_pk_mul_f32 v[20:21], v[36:37], v[6:7] op_sel:[1,1] op_sel_hi:[0,1]
	v_pk_fma_f32 v[30:31], v[36:37], v[6:7], v[20:21] neg_lo:[0,0,1] neg_hi:[0,0,1]
	v_pk_fma_f32 v[6:7], v[36:37], v[6:7], v[20:21] op_sel_hi:[1,0,1]
	v_pk_mul_f32 v[20:21], v[38:39], v[26:27] op_sel:[1,1] op_sel_hi:[0,1]
	v_mov_b32_e32 v31, v7
	v_pk_add_f32 v[6:7], v[30:31], 0 op_sel_hi:[1,0]
	v_pk_fma_f32 v[30:31], v[38:39], v[26:27], v[20:21] neg_lo:[0,0,1] neg_hi:[0,0,1]
	v_pk_fma_f32 v[20:21], v[38:39], v[26:27], v[20:21] op_sel_hi:[1,0,1]
	v_mov_b32_e32 v36, 0
	v_mov_b32_e32 v31, v21
	s_waitcnt lgkmcnt(0)
	v_pk_mul_f32 v[20:21], v[40:41], v[28:29] op_sel:[1,1] op_sel_hi:[0,1]
	v_pk_fma_f32 v[26:27], v[40:41], v[28:29], v[20:21] neg_lo:[0,0,1] neg_hi:[0,0,1]
	v_pk_fma_f32 v[20:21], v[40:41], v[28:29], v[20:21] op_sel_hi:[1,0,1]
	v_pk_add_f32 v[6:7], v[6:7], v[30:31]
	v_mov_b32_e32 v27, v21
	v_pk_mul_f32 v[20:21], v[42:43], v[14:15] op_sel:[1,1] op_sel_hi:[0,1]
	v_pk_add_f32 v[6:7], v[6:7], v[26:27]
	v_pk_fma_f32 v[26:27], v[42:43], v[14:15], v[20:21] neg_lo:[0,0,1] neg_hi:[0,0,1]
	v_pk_fma_f32 v[14:15], v[42:43], v[14:15], v[20:21] op_sel_hi:[1,0,1]
	v_mov_b32_e32 v37, v36
	v_mov_b32_e32 v27, v15
	v_pk_add_f32 v[6:7], v[6:7], v[26:27]
	v_cmp_gt_u32_e64 s[4:5], 32, v22
	s_barrier
	ds_write_b64 v24, v[6:7]
	s_waitcnt lgkmcnt(0)
	s_barrier
	s_and_saveexec_b64 s[0:1], s[4:5]
	s_cbranch_execz .LBB10_50
; %bb.49:
	ds_read2_b64 v[26:29], v23 offset1:7
	ds_read2_b64 v[36:39], v23 offset0:1 offset1:2
	ds_read2_b64 v[40:43], v23 offset0:3 offset1:4
	s_waitcnt lgkmcnt(1)
	v_add_f32_e32 v1, v36, v26
	v_add_f32_e32 v6, v37, v27
	;; [unrolled: 1-line block ×4, first 2 shown]
	ds_read2_b64 v[36:39], v23 offset0:5 offset1:6
	s_waitcnt lgkmcnt(1)
	v_add_f32_e32 v1, v1, v40
	v_add_f32_e32 v6, v6, v41
	;; [unrolled: 1-line block ×4, first 2 shown]
	s_waitcnt lgkmcnt(0)
	v_add_f32_e32 v1, v1, v36
	v_add_f32_e32 v7, v6, v37
	;; [unrolled: 1-line block ×4, first 2 shown]
	v_pk_add_f32 v[36:37], v[6:7], v[28:29]
.LBB10_50:
	s_or_b64 exec, exec, s[0:1]
	s_lshl_b32 s36, s20, 5
	s_ashr_i32 s37, s36, 31
	v_cndmask_b32_e64 v1, 0, 1, s[34:35]
	v_lshl_add_u64 v[6:7], s[36:37], 3, v[4:5]
	s_mov_b64 s[0:1], 0x100
	v_cmp_ne_u32_e64 s[14:15], 1, v1
	s_andn2_b64 vcc, exec, s[34:35]
	s_mov_b64 s[34:35], -1
	s_barrier
	s_cbranch_vccnz .LBB10_52
; %bb.51:
	s_lshl_b32 s34, s20, 3
	s_ashr_i32 s35, s34, 31
	s_ashr_i32 s21, s20, 31
	v_lshl_add_u64 v[4:5], s[34:35], 3, v[6:7]
	s_lshl_b64 s[34:35], s[20:21], 6
	v_lshl_add_u64 v[14:15], v[4:5], 0, s[34:35]
	v_lshl_add_u64 v[20:21], v[14:15], 0, s[34:35]
	global_load_dwordx2 v[26:27], v[6:7], off offset:256
	global_load_dwordx2 v[28:29], v[4:5], off offset:256
	;; [unrolled: 1-line block ×4, first 2 shown]
	s_movk_i32 s21, 0x108
	v_mad_u32_u24 v1, v8, s21, v0
	s_mov_b64 s[34:35], 0
	s_waitcnt vmcnt(3)
	ds_write_b64 v1, v[26:27]
	s_waitcnt vmcnt(2)
	ds_write_b64 v1, v[28:29] offset:2112
	s_waitcnt vmcnt(1)
	ds_write_b64 v1, v[30:31] offset:4224
	;; [unrolled: 2-line block ×3, first 2 shown]
.LBB10_52:
	s_andn2_b64 vcc, exec, s[34:35]
	v_lshl_add_u64 v[4:5], v[6:7], 0, s[0:1]
	s_cbranch_vccnz .LBB10_68
; %bb.53:
	v_sub_co_u32_e32 v6, vcc, v6, v0
	s_ashr_i32 s25, s24, 31
	s_nop 0
	v_subbrev_co_u32_e32 v7, vcc, 0, v7, vcc
	v_or_b32_e32 v1, 32, v2
	v_lshl_add_u64 v[6:7], s[24:25], 3, v[6:7]
	v_mov_b32_e32 v14, 0
	v_lshl_add_u64 v[6:7], v[6:7], 0, -8
	v_cmp_gt_i32_e32 vcc, s24, v1
	s_sub_i32 s21, s24, 32
	v_cmp_gt_i32_e64 s[0:1], s21, v8
	v_cndmask_b32_e32 v7, v7, v5, vcc
	v_cndmask_b32_e32 v6, v6, v4, vcc
	v_mov_b32_e32 v15, v14
	s_and_saveexec_b64 s[34:35], s[0:1]
	s_cbranch_execz .LBB10_55
; %bb.54:
	global_load_dwordx2 v[14:15], v[6:7], off
.LBB10_55:
	s_or_b64 exec, exec, s[34:35]
	s_movk_i32 s0, 0x108
	v_mad_u32_u24 v20, v8, s0, v0
	s_waitcnt vmcnt(0)
	ds_write_b64 v20, v[14:15]
	v_add_u32_e32 v14, 8, v8
	v_mul_u32_u24_e32 v1, 0x108, v8
	v_cmp_le_i32_e64 s[0:1], s21, v14
	s_and_saveexec_b64 s[34:35], s[0:1]
	s_xor_b64 s[0:1], exec, s[34:35]
; %bb.56:
	v_mov_b32_e32 v20, 0
	v_add_u32_e32 v14, v1, v0
	v_mov_b32_e32 v21, v20
	ds_write_b64 v14, v[20:21] offset:2112
; %bb.57:
	s_andn2_saveexec_b64 s[0:1], s[0:1]
	s_cbranch_execz .LBB10_59
; %bb.58:
	s_lshl_b32 s34, s20, 3
	s_ashr_i32 s35, s34, 31
	v_lshl_add_u64 v[14:15], s[34:35], 3, v[6:7]
	global_load_dwordx2 v[14:15], v[14:15], off
	v_add_u32_e32 v20, v1, v0
	s_waitcnt vmcnt(0)
	ds_write_b64 v20, v[14:15] offset:2112
.LBB10_59:
	s_or_b64 exec, exec, s[0:1]
	v_add_u32_e32 v14, 16, v8
	v_cmp_le_i32_e64 s[0:1], s21, v14
	s_and_saveexec_b64 s[34:35], s[0:1]
	s_xor_b64 s[0:1], exec, s[34:35]
; %bb.60:
	v_mov_b32_e32 v20, 0
	v_add_u32_e32 v14, v1, v0
	v_mov_b32_e32 v21, v20
	ds_write_b64 v14, v[20:21] offset:4224
; %bb.61:
	s_andn2_saveexec_b64 s[0:1], s[0:1]
	s_cbranch_execz .LBB10_63
; %bb.62:
	s_lshl_b32 s34, s20, 4
	s_ashr_i32 s35, s34, 31
	v_lshl_add_u64 v[14:15], s[34:35], 3, v[6:7]
	global_load_dwordx2 v[14:15], v[14:15], off
	v_add_u32_e32 v20, v1, v0
	s_waitcnt vmcnt(0)
	ds_write_b64 v20, v[14:15] offset:4224
.LBB10_63:
	s_or_b64 exec, exec, s[0:1]
	v_add_u32_e32 v14, 24, v8
	v_cmp_le_i32_e64 s[0:1], s21, v14
	s_and_saveexec_b64 s[34:35], s[0:1]
	s_xor_b64 s[0:1], exec, s[34:35]
; %bb.64:
	v_mov_b32_e32 v14, 0
	v_add_u32_e32 v1, v1, v0
	v_mov_b32_e32 v15, v14
	ds_write_b64 v1, v[14:15] offset:6336
                                        ; implicit-def: $vgpr1
; %bb.65:
	s_andn2_saveexec_b64 s[0:1], s[0:1]
	s_cbranch_execz .LBB10_67
; %bb.66:
	s_mul_i32 s34, s20, 24
	s_ashr_i32 s35, s34, 31
	v_lshl_add_u64 v[14:15], s[34:35], 3, v[6:7]
	global_load_dwordx2 v[14:15], v[14:15], off
	v_add_u32_e32 v1, v1, v0
	s_waitcnt vmcnt(0)
	ds_write_b64 v1, v[14:15] offset:6336
.LBB10_67:
	s_or_b64 exec, exec, s[0:1]
	v_mov_b32_e32 v1, 0
	v_lshl_add_u64 v[6:7], v[6:7], 0, v[0:1]
	s_lshl_b64 s[0:1], s[24:25], 3
	v_mov_b32_e32 v1, s1
	v_subrev_co_u32_e64 v6, s[0:1], s0, v6
	s_nop 1
	v_subb_co_u32_e64 v7, s[0:1], v7, v1, s[0:1]
	s_mov_b64 s[0:1], 0x108
	s_nop 0
	v_lshl_add_u64 v[6:7], v[6:7], 0, s[0:1]
	v_cndmask_b32_e32 v5, v7, v5, vcc
	v_cndmask_b32_e32 v4, v6, v4, vcc
.LBB10_68:
	v_mul_u32_u24_e32 v1, 0x420, v8
	v_add_u32_e32 v6, 0x2380, v13
	v_mul_u32_u24_e32 v7, 0x108, v10
	s_mov_b64 s[0:1], 0
	s_waitcnt lgkmcnt(0)
	s_barrier
                                        ; implicit-def: $vgpr13
	s_and_saveexec_b64 s[34:35], s[6:7]
	s_xor_b64 s[6:7], exec, s[34:35]
	s_cbranch_execz .LBB10_72
; %bb.69:
	v_cmp_eq_u32_e32 vcc, v9, v2
                                        ; implicit-def: $vgpr13
	s_and_saveexec_b64 s[34:35], vcc
	s_xor_b64 s[34:35], exec, s[34:35]
; %bb.70:
	s_mov_b64 s[0:1], exec
	v_add_u32_e32 v13, v0, v3
; %bb.71:
	s_or_b64 exec, exec, s[34:35]
	s_and_b64 s[0:1], s[0:1], exec
.LBB10_72:
	s_or_saveexec_b64 s[6:7], s[6:7]
	v_mov_b32_e32 v14, 0
	v_add_u32_e32 v1, v0, v1
	s_xor_b64 exec, exec, s[6:7]
	s_cbranch_execz .LBB10_74
; %bb.73:
	ds_read_b64 v[20:21], v1
	v_lshl_add_u32 v13, v9, 3, v23
	s_or_b64 s[0:1], s[0:1], exec
	s_waitcnt lgkmcnt(0)
	v_xor_b32_e32 v14, 0x80000000, v21
	ds_write_b32 v13, v20
.LBB10_74:
	s_or_b64 exec, exec, s[6:7]
	s_and_saveexec_b64 s[6:7], s[0:1]
; %bb.75:
	ds_write_b32 v13, v14 offset:4
; %bb.76:
	s_or_b64 exec, exec, s[6:7]
	s_mov_b64 s[0:1], 0
                                        ; implicit-def: $vgpr13
	s_and_saveexec_b64 s[6:7], s[8:9]
	s_xor_b64 s[6:7], exec, s[6:7]
	s_cbranch_execz .LBB10_80
; %bb.77:
	v_cmp_eq_u32_e32 vcc, v10, v2
                                        ; implicit-def: $vgpr13
	s_and_saveexec_b64 s[8:9], vcc
; %bb.78:
	s_mov_b64 s[0:1], exec
	v_add_u32_e32 v13, v0, v3
; %bb.79:
	s_or_b64 exec, exec, s[8:9]
	s_and_b64 s[0:1], s[0:1], exec
.LBB10_80:
	s_or_saveexec_b64 s[6:7], s[6:7]
	v_mov_b32_e32 v10, 0
	v_add_u32_e32 v7, v0, v7
	s_xor_b64 exec, exec, s[6:7]
	s_cbranch_execz .LBB10_82
; %bb.81:
	ds_read_b64 v[14:15], v7
	v_lshl_add_u32 v20, v9, 3, v23
	v_add_u32_e32 v13, 8, v20
	s_or_b64 s[0:1], s[0:1], exec
	s_waitcnt lgkmcnt(0)
	v_xor_b32_e32 v10, 0x80000000, v15
	ds_write_b32 v20, v14 offset:8
.LBB10_82:
	s_or_b64 exec, exec, s[6:7]
	s_and_saveexec_b64 s[6:7], s[0:1]
; %bb.83:
	ds_write_b32 v13, v10 offset:4
; %bb.84:
	s_or_b64 exec, exec, s[6:7]
	s_mov_b64 s[0:1], 0
                                        ; implicit-def: $vgpr10
	s_and_saveexec_b64 s[6:7], s[10:11]
	s_xor_b64 s[6:7], exec, s[6:7]
	s_cbranch_execnz .LBB10_108
; %bb.85:
	s_or_saveexec_b64 s[6:7], s[6:7]
	v_mov_b32_e32 v11, 0
	s_xor_b64 exec, exec, s[6:7]
	s_cbranch_execnz .LBB10_111
.LBB10_86:
	s_or_b64 exec, exec, s[6:7]
	s_and_saveexec_b64 s[6:7], s[0:1]
.LBB10_87:
	ds_write_b32 v10, v11 offset:4
.LBB10_88:
	s_or_b64 exec, exec, s[6:7]
	s_mov_b64 s[0:1], 0
                                        ; implicit-def: $vgpr10
	s_and_saveexec_b64 s[6:7], s[12:13]
	s_xor_b64 s[6:7], exec, s[6:7]
	s_cbranch_execnz .LBB10_112
; %bb.89:
	s_or_saveexec_b64 s[6:7], s[6:7]
	v_mov_b32_e32 v3, 0
	s_xor_b64 exec, exec, s[6:7]
	s_cbranch_execnz .LBB10_115
.LBB10_90:
	s_or_b64 exec, exec, s[6:7]
	s_and_saveexec_b64 s[6:7], s[0:1]
.LBB10_91:
	ds_write_b32 v10, v3 offset:4
.LBB10_92:
	s_or_b64 exec, exec, s[6:7]
	s_waitcnt lgkmcnt(0)
	s_barrier
	ds_read_b64 v[14:15], v1
	ds_read_b128 v[10:13], v6 offset:256
	ds_read2_b64 v[26:29], v7 offset1:33
	ds_read_b64 v[20:21], v7 offset:528
	ds_read_b128 v[38:41], v6 offset:272
	v_cmp_eq_u32_e64 s[6:7], 1, v8
	s_waitcnt lgkmcnt(3)
	v_pk_mul_f32 v[30:31], v[10:11], v[14:15] op_sel:[1,1] op_sel_hi:[0,1]
	v_pk_fma_f32 v[42:43], v[10:11], v[14:15], v[30:31] neg_lo:[0,0,1] neg_hi:[0,0,1]
	v_pk_fma_f32 v[10:11], v[10:11], v[14:15], v[30:31] op_sel_hi:[1,0,1]
	s_waitcnt lgkmcnt(2)
	v_pk_mul_f32 v[14:15], v[12:13], v[26:27] op_sel:[1,1] op_sel_hi:[0,1]
	v_pk_fma_f32 v[30:31], v[12:13], v[26:27], v[14:15] neg_lo:[0,0,1] neg_hi:[0,0,1]
	v_pk_fma_f32 v[12:13], v[12:13], v[26:27], v[14:15] op_sel_hi:[1,0,1]
	v_mov_b32_e32 v43, v11
	v_mov_b32_e32 v31, v13
	s_waitcnt lgkmcnt(0)
	v_pk_mul_f32 v[12:13], v[38:39], v[28:29] op_sel:[1,1] op_sel_hi:[0,1]
	v_pk_add_f32 v[10:11], v[42:43], 0 op_sel_hi:[1,0]
	v_pk_fma_f32 v[14:15], v[38:39], v[28:29], v[12:13] neg_lo:[0,0,1] neg_hi:[0,0,1]
	v_pk_fma_f32 v[12:13], v[38:39], v[28:29], v[12:13] op_sel_hi:[1,0,1]
	v_pk_add_f32 v[10:11], v[10:11], v[30:31]
	v_mov_b32_e32 v15, v13
	v_pk_mul_f32 v[12:13], v[40:41], v[20:21] op_sel:[1,1] op_sel_hi:[0,1]
	v_pk_add_f32 v[10:11], v[10:11], v[14:15]
	v_pk_fma_f32 v[14:15], v[40:41], v[20:21], v[12:13] neg_lo:[0,0,1] neg_hi:[0,0,1]
	v_pk_fma_f32 v[12:13], v[40:41], v[20:21], v[12:13] op_sel_hi:[1,0,1]
	s_nop 0
	v_mov_b32_e32 v15, v13
	v_pk_add_f32 v[10:11], v[10:11], v[14:15]
	s_barrier
	ds_write_b64 v24, v[10:11]
	s_waitcnt lgkmcnt(0)
	s_barrier
	s_and_saveexec_b64 s[0:1], s[6:7]
	s_cbranch_execz .LBB10_94
; %bb.93:
	ds_read2_b64 v[10:13], v23 offset1:7
	ds_read2_b64 v[26:29], v23 offset0:1 offset1:2
	ds_read2_b64 v[36:39], v23 offset0:3 offset1:4
	s_waitcnt lgkmcnt(1)
	v_add_f32_e32 v1, v26, v10
	v_add_f32_e32 v3, v27, v11
	;; [unrolled: 1-line block ×4, first 2 shown]
	ds_read2_b64 v[26:29], v23 offset0:5 offset1:6
	s_waitcnt lgkmcnt(1)
	v_add_f32_e32 v1, v1, v36
	v_add_f32_e32 v3, v3, v37
	;; [unrolled: 1-line block ×4, first 2 shown]
	s_waitcnt lgkmcnt(0)
	v_add_f32_e32 v10, v1, v26
	v_add_f32_e32 v11, v3, v27
	v_pk_add_f32 v[10:11], v[10:11], v[28:29]
	s_nop 0
	v_pk_add_f32 v[36:37], v[10:11], v[12:13]
.LBB10_94:
	s_or_b64 exec, exec, s[0:1]
	s_lshl_b64 s[0:1], s[36:37], 3
	v_mov_b32_e32 v1, s1
	v_subrev_co_u32_e64 v20, s[0:1], s0, v4
	s_and_b64 vcc, exec, s[14:15]
	s_nop 0
	v_subb_co_u32_e64 v21, s[0:1], v5, v1, s[0:1]
	s_barrier
	s_cbranch_vccnz .LBB10_116
; %bb.95:
	s_lshl_b32 s0, s20, 3
	s_ashr_i32 s1, s0, 31
	s_ashr_i32 s21, s20, 31
	v_lshl_add_u64 v[4:5], s[0:1], 3, v[20:21]
	s_lshl_b64 s[0:1], s[20:21], 6
	v_lshl_add_u64 v[10:11], v[4:5], 0, s[0:1]
	v_lshl_add_u64 v[12:13], v[10:11], 0, s[0:1]
	global_load_dwordx2 v[14:15], v[20:21], off
	global_load_dwordx2 v[26:27], v[4:5], off
	;; [unrolled: 1-line block ×4, first 2 shown]
	s_movk_i32 s0, 0x108
	v_mov_b32_e32 v1, 0x840
	v_mov_b32_e32 v3, 0x1080
	;; [unrolled: 1-line block ×3, first 2 shown]
	v_mul_u32_u24_e32 v4, 0x108, v8
	v_add_u32_e32 v5, 8, v8
	v_add_u32_e32 v7, 16, v8
	;; [unrolled: 1-line block ×3, first 2 shown]
	v_mad_u32_u24 v12, v8, s0, v0
	v_mad_u32_u24 v1, v8, s0, v1
	;; [unrolled: 1-line block ×4, first 2 shown]
	v_add_u32_e32 v13, v0, v1
	v_add_u32_e32 v25, v0, v3
	;; [unrolled: 1-line block ×3, first 2 shown]
	s_waitcnt vmcnt(3)
	ds_write_b64 v12, v[14:15]
	s_waitcnt vmcnt(2)
	ds_write_b64 v13, v[26:27]
	;; [unrolled: 2-line block ×4, first 2 shown]
	s_cbranch_execz .LBB10_117
	s_branch .LBB10_132
.LBB10_96:
	v_cmp_eq_u32_e32 vcc, v10, v2
                                        ; implicit-def: $vgpr6
	s_and_saveexec_b64 s[10:11], vcc
; %bb.97:
	s_mov_b64 s[0:1], exec
	v_add_u32_e32 v6, v0, v3
; %bb.98:
	s_or_b64 exec, exec, s[10:11]
	s_and_b64 s[0:1], s[0:1], exec
	s_or_saveexec_b64 s[4:5], s[4:5]
	v_mov_b32_e32 v7, 0
	s_xor_b64 exec, exec, s[4:5]
	s_cbranch_execz .LBB10_38
.LBB10_99:
	s_movk_i32 s10, 0x108
	v_mad_u32_u24 v6, v10, s10, v0
	ds_read_b64 v[12:13], v6
	v_lshl_add_u32 v11, v9, 3, v1
	v_add_u32_e32 v6, 8, v11
	s_or_b64 s[0:1], s[0:1], exec
	s_waitcnt lgkmcnt(0)
	v_xor_b32_e32 v7, 0x80000000, v13
	ds_write_b32 v11, v12 offset:8
	s_or_b64 exec, exec, s[4:5]
	s_and_saveexec_b64 s[4:5], s[0:1]
	s_cbranch_execnz .LBB10_39
	s_branch .LBB10_40
.LBB10_100:
	v_cmp_eq_u32_e32 vcc, v11, v2
                                        ; implicit-def: $vgpr6
	s_and_saveexec_b64 s[12:13], vcc
; %bb.101:
	s_mov_b64 s[0:1], exec
	v_add_u32_e32 v6, v0, v3
; %bb.102:
	s_or_b64 exec, exec, s[12:13]
	s_and_b64 s[0:1], s[0:1], exec
	s_or_saveexec_b64 s[4:5], s[4:5]
	v_mov_b32_e32 v7, 0
	s_xor_b64 exec, exec, s[4:5]
	s_cbranch_execz .LBB10_42
.LBB10_103:
	s_movk_i32 s12, 0x108
	v_mad_u32_u24 v6, v11, s12, v0
	ds_read_b64 v[12:13], v6
	v_lshl_add_u32 v14, v9, 3, v1
	v_add_u32_e32 v6, 16, v14
	s_or_b64 s[0:1], s[0:1], exec
	s_waitcnt lgkmcnt(0)
	v_xor_b32_e32 v7, 0x80000000, v13
	ds_write_b32 v14, v12 offset:16
	s_or_b64 exec, exec, s[4:5]
	s_and_saveexec_b64 s[4:5], s[0:1]
	s_cbranch_execnz .LBB10_43
	s_branch .LBB10_44
.LBB10_104:
	v_cmp_eq_u32_e32 vcc, v12, v2
                                        ; implicit-def: $vgpr6
	s_and_saveexec_b64 s[14:15], vcc
; %bb.105:
	s_mov_b64 s[0:1], exec
	v_add_u32_e32 v6, v0, v3
; %bb.106:
	s_or_b64 exec, exec, s[14:15]
	s_and_b64 s[0:1], s[0:1], exec
                                        ; implicit-def: $vgpr1
	s_or_saveexec_b64 s[4:5], s[4:5]
	v_mov_b32_e32 v7, 0
	s_xor_b64 exec, exec, s[4:5]
	s_cbranch_execz .LBB10_46
.LBB10_107:
	s_movk_i32 s14, 0x108
	v_mad_u32_u24 v6, v12, s14, v0
	ds_read_b64 v[14:15], v6
	v_lshl_add_u32 v1, v9, 3, v1
	v_add_u32_e32 v6, 24, v1
	s_or_b64 s[0:1], s[0:1], exec
	s_waitcnt lgkmcnt(0)
	v_xor_b32_e32 v7, 0x80000000, v15
	ds_write_b32 v1, v14 offset:24
	s_or_b64 exec, exec, s[4:5]
	s_and_saveexec_b64 s[4:5], s[0:1]
	s_cbranch_execnz .LBB10_47
	s_branch .LBB10_48
.LBB10_108:
	v_cmp_eq_u32_e32 vcc, v11, v2
                                        ; implicit-def: $vgpr10
	s_and_saveexec_b64 s[8:9], vcc
; %bb.109:
	s_mov_b64 s[0:1], exec
	v_add_u32_e32 v10, v0, v3
; %bb.110:
	s_or_b64 exec, exec, s[8:9]
	s_and_b64 s[0:1], s[0:1], exec
	s_or_saveexec_b64 s[6:7], s[6:7]
	v_mov_b32_e32 v11, 0
	s_xor_b64 exec, exec, s[6:7]
	s_cbranch_execz .LBB10_86
.LBB10_111:
	ds_read_b64 v[14:15], v7 offset:264
	v_lshl_add_u32 v13, v9, 3, v23
	v_add_u32_e32 v10, 16, v13
	s_or_b64 s[0:1], s[0:1], exec
	s_waitcnt lgkmcnt(0)
	v_xor_b32_e32 v11, 0x80000000, v15
	ds_write_b32 v13, v14 offset:16
	s_or_b64 exec, exec, s[6:7]
	s_and_saveexec_b64 s[6:7], s[0:1]
	s_cbranch_execnz .LBB10_87
	s_branch .LBB10_88
.LBB10_112:
	v_cmp_eq_u32_e32 vcc, v12, v2
                                        ; implicit-def: $vgpr10
	s_and_saveexec_b64 s[8:9], vcc
; %bb.113:
	s_mov_b64 s[0:1], exec
	v_add_u32_e32 v10, v0, v3
; %bb.114:
	s_or_b64 exec, exec, s[8:9]
	s_and_b64 s[0:1], s[0:1], exec
	s_or_saveexec_b64 s[6:7], s[6:7]
	v_mov_b32_e32 v3, 0
	s_xor_b64 exec, exec, s[6:7]
	s_cbranch_execz .LBB10_90
.LBB10_115:
	ds_read_b64 v[12:13], v7 offset:528
	v_lshl_add_u32 v11, v9, 3, v23
	v_add_u32_e32 v10, 24, v11
	s_or_b64 s[0:1], s[0:1], exec
	s_waitcnt lgkmcnt(0)
	v_xor_b32_e32 v3, 0x80000000, v13
	ds_write_b32 v11, v12 offset:24
	s_or_b64 exec, exec, s[6:7]
	s_and_saveexec_b64 s[6:7], s[0:1]
	s_cbranch_execnz .LBB10_91
	s_branch .LBB10_92
.LBB10_116:
                                        ; implicit-def: $vgpr4
                                        ; implicit-def: $vgpr5
                                        ; implicit-def: $vgpr1
                                        ; implicit-def: $vgpr7
                                        ; implicit-def: $vgpr3
                                        ; implicit-def: $vgpr10
                                        ; implicit-def: $vgpr11
.LBB10_117:
	v_or_b32_e32 v1, 32, v2
	v_sub_co_u32_e32 v2, vcc, v20, v0
	s_ashr_i32 s25, s24, 31
	s_nop 0
	v_subbrev_co_u32_e32 v3, vcc, 0, v21, vcc
	s_movk_i32 s0, 0xfef8
	v_lshl_add_u64 v[2:3], s[24:25], 3, v[2:3]
	s_mov_b32 s1, -1
	v_mov_b32_e32 v10, 0
	v_lshl_add_u64 v[2:3], v[2:3], 0, s[0:1]
	v_cmp_gt_i32_e32 vcc, s24, v1
	v_cmp_gt_i32_e64 s[0:1], s24, v8
	v_mov_b32_e32 v11, v10
	v_cndmask_b32_e32 v3, v3, v21, vcc
	v_cndmask_b32_e32 v2, v2, v20, vcc
	s_and_saveexec_b64 s[8:9], s[0:1]
	s_cbranch_execz .LBB10_119
; %bb.118:
	global_load_dwordx2 v[10:11], v[2:3], off
.LBB10_119:
	s_or_b64 exec, exec, s[8:9]
	s_movk_i32 s0, 0x108
	v_add_u32_e32 v5, 8, v8
	v_mul_u32_u24_e32 v4, 0x108, v8
	v_mad_u32_u24 v1, v8, s0, v0
	v_cmp_le_i32_e64 s[0:1], s24, v5
	s_waitcnt vmcnt(0)
	ds_write_b64 v1, v[10:11]
	s_and_saveexec_b64 s[8:9], s[0:1]
	s_xor_b64 s[0:1], exec, s[8:9]
; %bb.120:
	v_mov_b32_e32 v10, 0
	v_add_u32_e32 v1, v4, v0
	v_mov_b32_e32 v11, v10
	ds_write_b64 v1, v[10:11] offset:2112
; %bb.121:
	s_andn2_saveexec_b64 s[0:1], s[0:1]
	s_cbranch_execz .LBB10_123
; %bb.122:
	s_lshl_b32 s8, s20, 3
	s_ashr_i32 s9, s8, 31
	v_lshl_add_u64 v[10:11], s[8:9], 3, v[2:3]
	global_load_dwordx2 v[10:11], v[10:11], off
	v_add_u32_e32 v1, v4, v0
	s_waitcnt vmcnt(0)
	ds_write_b64 v1, v[10:11] offset:2112
.LBB10_123:
	s_or_b64 exec, exec, s[0:1]
	v_add_u32_e32 v7, 16, v8
	v_cmp_le_i32_e64 s[0:1], s24, v7
	s_and_saveexec_b64 s[8:9], s[0:1]
	s_xor_b64 s[0:1], exec, s[8:9]
; %bb.124:
	v_mov_b32_e32 v10, 0
	v_add_u32_e32 v1, v4, v0
	v_mov_b32_e32 v11, v10
	ds_write_b64 v1, v[10:11] offset:4224
; %bb.125:
	s_andn2_saveexec_b64 s[0:1], s[0:1]
	s_cbranch_execz .LBB10_127
; %bb.126:
	s_lshl_b32 s8, s20, 4
	s_ashr_i32 s9, s8, 31
	v_lshl_add_u64 v[10:11], s[8:9], 3, v[2:3]
	global_load_dwordx2 v[10:11], v[10:11], off
	v_add_u32_e32 v1, v4, v0
	s_waitcnt vmcnt(0)
	ds_write_b64 v1, v[10:11] offset:4224
.LBB10_127:
	s_or_b64 exec, exec, s[0:1]
	v_add_u32_e32 v10, 24, v8
	v_cmp_le_i32_e64 s[0:1], s24, v10
                                        ; implicit-def: $vgpr11
	s_and_saveexec_b64 s[8:9], s[0:1]
	s_xor_b64 s[0:1], exec, s[8:9]
; %bb.128:
	v_add_u32_e32 v11, 0x18c0, v4
	v_mov_b32_e32 v12, 0
	v_add_u32_e32 v1, v0, v11
	v_mov_b32_e32 v13, v12
	ds_write_b64 v1, v[12:13]
; %bb.129:
	s_andn2_saveexec_b64 s[0:1], s[0:1]
	s_cbranch_execz .LBB10_131
; %bb.130:
	s_mul_i32 s8, s20, 24
	s_ashr_i32 s9, s8, 31
	v_lshl_add_u64 v[12:13], s[8:9], 3, v[2:3]
	global_load_dwordx2 v[12:13], v[12:13], off
	v_add_u32_e32 v11, 0x18c0, v4
	v_add_u32_e32 v1, v0, v11
	s_waitcnt vmcnt(0)
	ds_write_b64 v1, v[12:13]
.LBB10_131:
	s_or_b64 exec, exec, s[0:1]
	v_mov_b32_e32 v1, 0
	v_lshl_add_u64 v[2:3], v[2:3], 0, v[0:1]
	s_lshl_b64 s[0:1], s[24:25], 3
	v_mov_b32_e32 v1, s1
	v_subrev_co_u32_e64 v2, s[0:1], s0, v2
	s_nop 1
	v_subb_co_u32_e64 v3, s[0:1], v3, v1, s[0:1]
	s_mov_b64 s[0:1], 0x108
	s_nop 0
	v_lshl_add_u64 v[2:3], v[2:3], 0, s[0:1]
	v_cndmask_b32_e32 v21, v3, v21, vcc
	v_cndmask_b32_e32 v20, v2, v20, vcc
	v_add_u32_e32 v1, 0x840, v4
	v_add_u32_e32 v3, 0x1080, v4
.LBB10_132:
	v_add_u32_e32 v25, v0, v4
	v_add_u32_e32 v28, v0, v1
	v_lshlrev_b32_e32 v30, 3, v5
	v_add_u32_e32 v40, v0, v3
	v_lshlrev_b32_e32 v46, 3, v7
	v_add_u32_e32 v42, v0, v11
	v_lshlrev_b32_e32 v44, 3, v10
	v_lshl_add_u32 v0, v9, 3, v23
	s_waitcnt lgkmcnt(0)
	s_barrier
	v_lshlrev_b32_e32 v35, 3, v8
	ds_read2_b64 v[8:11], v0 offset1:1
	ds_read2_b64 v[0:3], v0 offset0:2 offset1:3
	ds_read_b128 v[12:15], v6 offset:256
	ds_read_b128 v[4:7], v6 offset:272
	ds_read_b64 v[26:27], v25
	ds_read_b64 v[28:29], v28
	ds_read_b64 v[30:31], v30 offset:9088
	ds_read_b64 v[38:39], v35 offset:9088
	ds_read_b64 v[40:41], v40
	ds_read2_b32 v[42:43], v42 offset1:1
	ds_read_b64 v[44:45], v44 offset:9088
	ds_read_b64 v[46:47], v46 offset:9088
	s_waitcnt lgkmcnt(4)
	v_pk_mul_f32 v[48:49], v[38:39], v[26:27] op_sel:[1,1] op_sel_hi:[0,1]
	v_pk_fma_f32 v[50:51], v[38:39], v[26:27], v[48:49] neg_lo:[0,0,1] neg_hi:[0,0,1]
	v_pk_fma_f32 v[26:27], v[38:39], v[26:27], v[48:49] op_sel_hi:[1,0,1]
	v_pk_mul_f32 v[38:39], v[30:31], v[28:29] op_sel:[1,1] op_sel_hi:[0,1]
	v_pk_fma_f32 v[48:49], v[30:31], v[28:29], v[38:39] neg_lo:[0,0,1] neg_hi:[0,0,1]
	v_pk_fma_f32 v[28:29], v[30:31], v[28:29], v[38:39] op_sel_hi:[1,0,1]
	v_mov_b32_e32 v51, v27
	v_mov_b32_e32 v49, v29
	s_waitcnt lgkmcnt(0)
	v_pk_mul_f32 v[28:29], v[46:47], v[40:41] op_sel:[1,1] op_sel_hi:[0,1]
	v_pk_add_f32 v[26:27], v[50:51], 0 op_sel_hi:[1,0]
	v_pk_fma_f32 v[30:31], v[46:47], v[40:41], v[28:29] neg_lo:[0,0,1] neg_hi:[0,0,1]
	v_pk_fma_f32 v[28:29], v[46:47], v[40:41], v[28:29] op_sel_hi:[1,0,1]
	v_pk_add_f32 v[26:27], v[26:27], v[48:49]
	v_mov_b32_e32 v31, v29
	v_pk_mul_f32 v[28:29], v[44:45], v[42:43] op_sel:[1,1] op_sel_hi:[0,1]
	v_pk_add_f32 v[26:27], v[26:27], v[30:31]
	v_pk_fma_f32 v[30:31], v[44:45], v[42:43], v[28:29] neg_lo:[0,0,1] neg_hi:[0,0,1]
	v_pk_fma_f32 v[28:29], v[44:45], v[42:43], v[28:29] op_sel_hi:[1,0,1]
	s_nop 0
	v_mov_b32_e32 v31, v29
	v_pk_add_f32 v[26:27], v[26:27], v[30:31]
	s_barrier
	ds_write_b64 v24, v[26:27]
	s_waitcnt lgkmcnt(0)
	s_barrier
	s_and_saveexec_b64 s[0:1], s[6:7]
	s_cbranch_execz .LBB10_134
; %bb.133:
	ds_read2_b64 v[26:29], v23 offset1:1
	ds_read2_b64 v[38:41], v23 offset0:2 offset1:3
	ds_read2_b64 v[42:45], v23 offset0:4 offset1:5
	s_waitcnt lgkmcnt(2)
	v_pk_add_f32 v[26:27], v[36:37], v[26:27]
	s_nop 0
	v_pk_add_f32 v[30:31], v[26:27], v[28:29]
	ds_read2_b64 v[26:29], v23 offset0:6 offset1:7
	s_waitcnt lgkmcnt(2)
	v_pk_add_f32 v[30:31], v[30:31], v[38:39]
	s_nop 0
	v_pk_add_f32 v[30:31], v[30:31], v[40:41]
	s_waitcnt lgkmcnt(1)
	v_pk_add_f32 v[30:31], v[30:31], v[42:43]
	s_nop 0
	v_pk_add_f32 v[30:31], v[30:31], v[44:45]
	;; [unrolled: 4-line block ×3, first 2 shown]
.LBB10_134:
	s_or_b64 exec, exec, s[0:1]
	v_pk_mul_f32 v[26:27], v[8:9], v[12:13] op_sel:[1,1] op_sel_hi:[1,0]
	s_nop 0
	v_pk_fma_f32 v[28:29], v[8:9], v[12:13], v[26:27]
	v_pk_fma_f32 v[8:9], v[8:9], v[12:13], v[26:27] op_sel_hi:[0,1,1] neg_lo:[0,0,1] neg_hi:[0,0,1]
	v_mov_b32_e32 v12, v11
	v_pk_mul_f32 v[12:13], v[12:13], v[14:15] op_sel:[0,1] op_sel_hi:[0,0]
	v_pk_fma_f32 v[26:27], v[10:11], v[14:15], v[12:13]
	v_pk_fma_f32 v[10:11], v[10:11], v[14:15], v[12:13] op_sel_hi:[0,1,1] neg_lo:[0,0,1] neg_hi:[0,0,1]
	v_mov_b32_e32 v29, v9
	v_mov_b32_e32 v27, v11
	v_pk_mul_f32 v[10:11], v[0:1], v[4:5] op_sel:[1,1] op_sel_hi:[1,0]
	v_pk_add_f32 v[8:9], v[28:29], 0 op_sel_hi:[1,0]
	v_pk_fma_f32 v[12:13], v[0:1], v[4:5], v[10:11]
	v_pk_fma_f32 v[0:1], v[0:1], v[4:5], v[10:11] op_sel_hi:[0,1,1] neg_lo:[0,0,1] neg_hi:[0,0,1]
	v_mov_b32_e32 v4, v3
	v_pk_add_f32 v[8:9], v[8:9], v[26:27]
	v_mov_b32_e32 v13, v1
	v_pk_mul_f32 v[4:5], v[4:5], v[6:7] op_sel:[0,1] op_sel_hi:[0,0]
	v_pk_add_f32 v[0:1], v[8:9], v[12:13]
	v_pk_fma_f32 v[8:9], v[2:3], v[6:7], v[4:5]
	v_pk_fma_f32 v[2:3], v[2:3], v[6:7], v[4:5] op_sel_hi:[0,1,1] neg_lo:[0,0,1] neg_hi:[0,0,1]
	v_mov_b32_e32 v9, v3
	v_pk_add_f32 v[0:1], v[0:1], v[8:9]
	s_barrier
	ds_write_b64 v24, v[0:1]
	s_waitcnt lgkmcnt(0)
	s_barrier
	s_and_saveexec_b64 s[0:1], s[4:5]
	s_cbranch_execz .LBB10_136
; %bb.135:
	ds_read2_b64 v[0:3], v23 offset1:1
	ds_read2_b64 v[4:7], v23 offset0:2 offset1:3
	ds_read2_b64 v[8:11], v23 offset0:4 offset1:5
	s_waitcnt lgkmcnt(2)
	v_pk_add_f32 v[0:1], v[36:37], v[0:1]
	s_nop 0
	v_pk_add_f32 v[12:13], v[0:1], v[2:3]
	ds_read2_b64 v[0:3], v23 offset0:6 offset1:7
	s_waitcnt lgkmcnt(2)
	v_pk_add_f32 v[4:5], v[12:13], v[4:5]
	s_nop 0
	v_pk_add_f32 v[4:5], v[4:5], v[6:7]
	s_waitcnt lgkmcnt(1)
	v_pk_add_f32 v[4:5], v[4:5], v[8:9]
	s_nop 0
	v_pk_add_f32 v[4:5], v[4:5], v[10:11]
	s_waitcnt lgkmcnt(0)
	v_pk_add_f32 v[0:1], v[4:5], v[0:1]
	s_nop 0
	v_pk_add_f32 v[36:37], v[0:1], v[2:3]
.LBB10_136:
	s_or_b64 exec, exec, s[0:1]
	s_mul_hi_u32 s0, s38, s3
	s_mul_i32 s40, s40, s3
	s_add_i32 s0, s0, s40
	s_mul_i32 s3, s38, s3
	s_mul_i32 s0, s0, s39
	s_mul_hi_u32 s1, s3, s39
	s_add_i32 s1, s1, s0
	s_mul_i32 s0, s3, s39
	s_lshl_b64 s[0:1], s[0:1], 3
	s_add_u32 s3, s22, s0
	s_mul_i32 s0, s38, s2
	s_addc_u32 s4, s23, s1
	s_ashr_i32 s1, s0, 31
	s_lshl_b64 s[0:1], s[0:1], 3
	s_add_u32 s6, s3, s0
	v_cmp_le_i32_e32 vcc, s24, v34
	s_addc_u32 s7, s4, s1
	s_and_b64 vcc, s[30:31], vcc
	s_cmp_lt_i32 s2, 1
	v_lshlrev_b32_e32 v74, 3, v34
	s_barrier
	s_cbranch_scc1 .LBB10_143
; %bb.137:
	s_mul_i32 s0, s33, s26
	s_ashr_i32 s1, s0, 31
	s_lshl_b64 s[0:1], s[0:1], 3
	v_mov_b32_e32 v0, s1
	v_subrev_co_u32_e64 v38, s[0:1], s0, v16
	s_ashr_i32 s25, s24, 31
	s_nop 0
	v_subb_co_u32_e64 v39, s[0:1], v17, v0, s[0:1]
	s_lshl_b64 s[0:1], s[28:29], 3
	s_nop 0
	v_mov_b32_e32 v0, s1
	v_subrev_co_u32_e64 v2, s[0:1], s0, v20
	v_lshrrev_b32_e32 v4, 4, v22
	s_nop 0
	v_subb_co_u32_e64 v3, s[0:1], v21, v0, s[0:1]
	v_lshlrev_b64 v[0:1], 3, v[18:19]
	v_sub_co_u32_e64 v0, s[0:1], v2, v0
	v_mul_lo_u32 v2, v33, s20
	s_nop 0
	v_subb_co_u32_e64 v1, s[0:1], v3, v1, s[0:1]
	v_lshl_add_u32 v2, v2, 2, v34
	v_ashrrev_i32_e32 v3, 31, v2
	s_movk_i32 s0, 0xff00
	v_lshl_add_u64 v[0:1], v[2:3], 3, v[0:1]
	s_mov_b32 s1, -1
	v_lshl_add_u64 v[2:3], v[0:1], 0, s[0:1]
	v_sub_co_u32_e64 v0, s[0:1], v0, v74
	v_and_b32_e32 v5, 15, v34
	s_nop 0
	v_subbrev_co_u32_e64 v1, s[0:1], 0, v1, s[0:1]
	s_movk_i32 s0, 0xfef8
	v_lshl_add_u64 v[0:1], s[24:25], 3, v[0:1]
	s_mov_b32 s1, -1
	v_lshl_add_u64 v[0:1], v[0:1], 0, s[0:1]
	v_cndmask_b32_e32 v41, v3, v1, vcc
	v_cndmask_b32_e32 v40, v2, v0, vcc
	v_mov_b32_e32 v0, 0x2180
	s_movk_i32 s0, 0x860
	v_and_b32_e32 v1, 48, v34
	v_lshl_add_u32 v76, v33, 5, v0
	v_mad_u32_u24 v78, v33, s0, v74
	v_lshlrev_b32_e32 v0, 5, v4
	s_movk_i32 s0, 0x218
	v_lshlrev_b32_e32 v1, 3, v1
	v_mad_u32_u24 v79, v5, s0, v0
	v_mul_i32_i24_e32 v0, 0xffffffe8, v4
	v_mad_u32_u24 v80, v5, s0, v1
	v_or_b32_e32 v1, 0x78, v74
	s_ashr_i32 s21, s20, 31
	v_mov_b32_e32 v35, 0
	s_lshl_b32 s3, s33, 6
	v_add_u32_e32 v75, 0x2180, v74
	v_add_u32_e32 v77, 0x2380, v74
	v_cmp_gt_u32_e64 s[4:5], 64, v22
	v_mad_u32_u24 v81, v5, s0, v1
	s_lshl_b64 s[0:1], s[20:21], 3
	s_lshl_b64 s[8:9], s[20:21], 9
	;; [unrolled: 1-line block ×3, first 2 shown]
	s_mul_hi_i32 s13, s20, 24
	s_mul_i32 s12, s20, 24
	s_mul_hi_i32 s15, s20, 0x90
	s_mul_i32 s14, s20, 0x90
	;; [unrolled: 2-line block ×10, first 2 shown]
	s_lshl_b64 s[40:41], s[20:21], 8
	s_mul_hi_i32 s43, s20, 0x88
	s_mul_i32 s42, s20, 0x88
	s_lshl_b64 s[20:21], s[20:21], 7
	s_mov_b32 s44, 0
	v_add_u32_e32 v82, v79, v0
	s_branch .LBB10_139
.LBB10_138:                             ;   in Loop: Header=BB10_139 Depth=1
	s_or_b64 exec, exec, s[46:47]
	v_pk_mul_f32 v[84:85], v[48:49], v[4:5] op_sel:[1,1] op_sel_hi:[0,1]
	v_mov_b32_e32 v86, v7
	v_pk_fma_f32 v[92:93], v[48:49], v[4:5], v[84:85] neg_lo:[0,0,1] neg_hi:[0,0,1]
	v_pk_fma_f32 v[4:5], v[48:49], v[4:5], v[84:85] op_sel_hi:[1,0,1]
	v_pk_mul_f32 v[86:87], v[46:47], v[86:87] op_sel:[1,0] op_sel_hi:[0,0]
	v_mov_b32_e32 v93, v5
	v_pk_mul_f32 v[88:89], v[44:45], v[0:1] op_sel:[1,1] op_sel_hi:[0,1]
	v_pk_add_f32 v[4:5], v[36:37], v[92:93]
	v_pk_fma_f32 v[36:37], v[46:47], v[6:7], v[86:87] neg_lo:[0,0,1] neg_hi:[0,0,1]
	v_pk_fma_f32 v[6:7], v[46:47], v[6:7], v[86:87] op_sel_hi:[1,0,1]
	v_mov_b32_e32 v90, v3
	v_mov_b32_e32 v37, v7
	v_pk_fma_f32 v[6:7], v[44:45], v[0:1], v[88:89] neg_lo:[0,0,1] neg_hi:[0,0,1]
	v_pk_fma_f32 v[0:1], v[44:45], v[0:1], v[88:89] op_sel_hi:[1,0,1]
	v_pk_mul_f32 v[90:91], v[42:43], v[90:91] op_sel:[1,0] op_sel_hi:[0,0]
	v_pk_add_f32 v[4:5], v[4:5], v[36:37]
	v_mov_b32_e32 v7, v1
	v_pk_add_f32 v[0:1], v[4:5], v[6:7]
	v_pk_fma_f32 v[4:5], v[42:43], v[2:3], v[90:91] neg_lo:[0,0,1] neg_hi:[0,0,1]
	v_pk_fma_f32 v[2:3], v[42:43], v[2:3], v[90:91] op_sel_hi:[1,0,1]
	s_add_i32 s2, s2, -1
	v_mov_b32_e32 v5, v3
	v_pk_add_f32 v[0:1], v[0:1], v[4:5]
	v_pk_mul_f32 v[2:3], v[52:53], v[12:13] op_sel:[1,1] op_sel_hi:[0,1]
	v_mov_b32_e32 v4, v15
	v_pk_mul_f32 v[4:5], v[50:51], v[4:5] op_sel:[1,0] op_sel_hi:[0,0]
	v_pk_fma_f32 v[6:7], v[52:53], v[12:13], v[2:3] neg_lo:[0,0,1] neg_hi:[0,0,1]
	v_pk_fma_f32 v[2:3], v[52:53], v[12:13], v[2:3] op_sel_hi:[1,0,1]
	s_add_i32 s44, s44, s3
	v_mov_b32_e32 v7, v3
	v_pk_fma_f32 v[2:3], v[50:51], v[14:15], v[4:5] neg_lo:[0,0,1] neg_hi:[0,0,1]
	v_pk_fma_f32 v[4:5], v[50:51], v[14:15], v[4:5] op_sel_hi:[1,0,1]
	v_pk_add_f32 v[0:1], v[0:1], v[6:7]
	v_mov_b32_e32 v3, v5
	v_pk_add_f32 v[0:1], v[0:1], v[2:3]
	v_pk_mul_f32 v[2:3], v[54:55], v[8:9] op_sel:[1,1] op_sel_hi:[0,1]
	v_pk_fma_f32 v[4:5], v[54:55], v[8:9], v[2:3] neg_lo:[0,0,1] neg_hi:[0,0,1]
	v_pk_fma_f32 v[2:3], v[54:55], v[8:9], v[2:3] op_sel_hi:[1,0,1]
	v_mov_b32_e32 v8, v23
	v_mov_b32_e32 v2, v11
	;; [unrolled: 1-line block ×3, first 2 shown]
	v_pk_mul_f32 v[2:3], v[56:57], v[2:3] op_sel:[1,0] op_sel_hi:[0,0]
	v_pk_fma_f32 v[6:7], v[56:57], v[10:11], v[2:3] neg_lo:[0,0,1] neg_hi:[0,0,1]
	v_pk_fma_f32 v[2:3], v[56:57], v[10:11], v[2:3] op_sel_hi:[1,0,1]
	v_pk_add_f32 v[0:1], v[0:1], v[4:5]
	v_mov_b32_e32 v7, v3
	v_pk_mul_f32 v[2:3], v[64:65], v[16:17] op_sel:[1,1] op_sel_hi:[0,1]
	v_mov_b32_e32 v4, v19
	v_pk_mul_f32 v[4:5], v[62:63], v[4:5] op_sel:[1,0] op_sel_hi:[0,0]
	v_pk_fma_f32 v[10:11], v[64:65], v[16:17], v[2:3] neg_lo:[0,0,1] neg_hi:[0,0,1]
	v_pk_fma_f32 v[2:3], v[64:65], v[16:17], v[2:3] op_sel_hi:[1,0,1]
	v_pk_add_f32 v[0:1], v[0:1], v[6:7]
	v_mov_b32_e32 v11, v3
	v_pk_fma_f32 v[2:3], v[62:63], v[18:19], v[4:5] neg_lo:[0,0,1] neg_hi:[0,0,1]
	v_pk_fma_f32 v[4:5], v[62:63], v[18:19], v[4:5] op_sel_hi:[1,0,1]
	v_pk_mul_f32 v[6:7], v[60:61], v[20:21] op_sel:[1,1] op_sel_hi:[0,1]
	v_pk_add_f32 v[0:1], v[0:1], v[10:11]
	v_mov_b32_e32 v3, v5
	v_pk_add_f32 v[0:1], v[0:1], v[2:3]
	v_pk_fma_f32 v[2:3], v[60:61], v[20:21], v[6:7] neg_lo:[0,0,1] neg_hi:[0,0,1]
	v_pk_fma_f32 v[4:5], v[60:61], v[20:21], v[6:7] op_sel_hi:[1,0,1]
	v_pk_mul_f32 v[8:9], v[58:59], v[8:9] op_sel:[1,0] op_sel_hi:[0,0]
	v_mov_b32_e32 v3, v5
	v_pk_add_f32 v[0:1], v[0:1], v[2:3]
	v_pk_fma_f32 v[2:3], v[58:59], v[22:23], v[8:9] neg_lo:[0,0,1] neg_hi:[0,0,1]
	v_pk_fma_f32 v[4:5], v[58:59], v[22:23], v[8:9] op_sel_hi:[1,0,1]
	v_pk_mul_f32 v[6:7], v[68:69], v[28:29] op_sel:[1,1] op_sel_hi:[0,1]
	v_mov_b32_e32 v3, v5
	v_pk_add_f32 v[0:1], v[0:1], v[2:3]
	v_pk_mul_f32 v[2:3], v[72:73], v[24:25] op_sel:[1,1] op_sel_hi:[0,1]
	v_mov_b32_e32 v4, v27
	v_pk_mul_f32 v[4:5], v[70:71], v[4:5] op_sel:[1,0] op_sel_hi:[0,0]
	v_pk_fma_f32 v[10:11], v[72:73], v[24:25], v[2:3] neg_lo:[0,0,1] neg_hi:[0,0,1]
	v_pk_fma_f32 v[2:3], v[72:73], v[24:25], v[2:3] op_sel_hi:[1,0,1]
	v_mov_b32_e32 v8, v31
	v_mov_b32_e32 v11, v3
	v_pk_fma_f32 v[2:3], v[70:71], v[26:27], v[4:5] neg_lo:[0,0,1] neg_hi:[0,0,1]
	v_pk_fma_f32 v[4:5], v[70:71], v[26:27], v[4:5] op_sel_hi:[1,0,1]
	v_pk_mul_f32 v[8:9], v[66:67], v[8:9] op_sel:[1,0] op_sel_hi:[0,0]
	v_mov_b32_e32 v3, v5
	v_pk_fma_f32 v[4:5], v[68:69], v[28:29], v[6:7] neg_lo:[0,0,1] neg_hi:[0,0,1]
	v_pk_fma_f32 v[6:7], v[68:69], v[28:29], v[6:7] op_sel_hi:[1,0,1]
	v_pk_add_f32 v[0:1], v[0:1], v[10:11]
	v_mov_b32_e32 v5, v7
	v_pk_fma_f32 v[6:7], v[66:67], v[30:31], v[8:9] neg_lo:[0,0,1] neg_hi:[0,0,1]
	v_pk_fma_f32 v[8:9], v[66:67], v[30:31], v[8:9] op_sel_hi:[1,0,1]
	v_pk_add_f32 v[0:1], v[0:1], v[2:3]
	v_mov_b32_e32 v7, v9
	v_pk_add_f32 v[0:1], v[0:1], v[4:5]
	v_lshl_add_u64 v[40:41], v[40:41], 0, s[8:9]
	v_pk_add_f32 v[36:37], v[0:1], v[6:7]
	s_cmp_eq_u32 s2, 0
	v_add_u32_e32 v34, 64, v34
	s_barrier
	s_cbranch_scc1 .LBB10_143
.LBB10_139:                             ; =>This Inner Loop Header: Depth=1
	s_and_saveexec_b64 s[46:47], s[18:19]
	s_cbranch_execz .LBB10_141
; %bb.140:                              ;   in Loop: Header=BB10_139 Depth=1
	s_ashr_i32 s45, s44, 31
	v_lshl_add_u64 v[0:1], s[44:45], 3, v[38:39]
	global_load_dwordx2 v[0:1], v[0:1], off
	s_waitcnt vmcnt(0)
	ds_write_b64 v75, v[0:1]
.LBB10_141:                             ;   in Loop: Header=BB10_139 Depth=1
	s_or_b64 exec, exec, s[46:47]
	v_lshl_add_u64 v[0:1], v[40:41], 0, s[0:1]
	s_waitcnt lgkmcnt(0)
	s_barrier
	global_load_dwordx2 v[48:49], v[40:41], off
	global_load_dwordx2 v[46:47], v[0:1], off
	v_lshl_add_u64 v[0:1], v[40:41], 0, s[10:11]
	global_load_dwordx2 v[44:45], v[0:1], off
	v_lshl_add_u64 v[0:1], v[40:41], 0, s[12:13]
	global_load_dwordx2 v[42:43], v[0:1], off
	ds_read_b64 v[8:9], v77
	ds_read_b128 v[4:7], v76
	ds_read_b128 v[0:3], v76 offset:16
	v_lshl_add_u64 v[10:11], v[40:41], 0, s[20:21]
	v_lshl_add_u64 v[68:69], v[40:41], 0, s[36:37]
	s_waitcnt vmcnt(3) lgkmcnt(2)
	v_mul_f32_e32 v12, v49, v9
	v_mul_f32_e32 v13, v49, v8
	s_waitcnt vmcnt(2)
	v_mul_f32_e32 v14, v47, v9
	v_mul_f32_e32 v15, v47, v8
	s_waitcnt vmcnt(1)
	;; [unrolled: 3-line block ×3, first 2 shown]
	v_mul_f32_e32 v18, v43, v9
	v_mul_f32_e32 v19, v43, v8
	v_fmac_f32_e32 v12, v48, v8
	v_fma_f32 v13, v48, v9, -v13
	v_fmac_f32_e32 v14, v46, v8
	v_fma_f32 v15, v46, v9, -v15
	;; [unrolled: 2-line block ×4, first 2 shown]
	v_lshl_add_u64 v[8:9], v[40:41], 0, s[42:43]
	ds_write2_b64 v78, v[12:13], v[14:15] offset1:67
	ds_write2_b64 v78, v[16:17], v[18:19] offset0:134 offset1:201
	s_waitcnt lgkmcnt(0)
	s_barrier
	ds_read2_b64 v[24:27], v79 offset1:1
	ds_read2_b64 v[28:31], v79 offset0:2 offset1:3
	s_waitcnt lgkmcnt(0)
	s_barrier
	global_load_dwordx2 v[52:53], v[10:11], off
	global_load_dwordx2 v[50:51], v[8:9], off
	v_lshl_add_u64 v[8:9], v[40:41], 0, s[14:15]
	global_load_dwordx2 v[54:55], v[8:9], off
	v_lshl_add_u64 v[8:9], v[40:41], 0, s[22:23]
	global_load_dwordx2 v[56:57], v[8:9], off
	ds_read_b64 v[16:17], v77
	v_lshl_add_u64 v[18:19], v[40:41], 0, s[40:41]
	ds_read_b128 v[12:15], v76 offset:128
	ds_read_b128 v[8:11], v76 offset:144
	v_pk_add_f32 v[24:25], v[24:25], 0 op_sel_hi:[1,0]
	s_waitcnt vmcnt(3) lgkmcnt(2)
	v_mul_f32_e32 v20, v53, v17
	v_mul_f32_e32 v21, v53, v16
	s_waitcnt vmcnt(2)
	v_mul_f32_e32 v22, v51, v17
	v_mul_f32_e32 v23, v51, v16
	s_waitcnt vmcnt(1)
	;; [unrolled: 3-line block ×3, first 2 shown]
	v_mul_f32_e32 v60, v57, v17
	v_mul_f32_e32 v61, v57, v16
	v_fma_f32 v21, v52, v17, -v21
	v_fmac_f32_e32 v20, v52, v16
	v_fmac_f32_e32 v22, v50, v16
	v_fma_f32 v23, v50, v17, -v23
	v_fmac_f32_e32 v58, v54, v16
	v_fma_f32 v59, v54, v17, -v59
	;; [unrolled: 2-line block ×3, first 2 shown]
	v_lshl_add_u64 v[16:17], v[40:41], 0, s[38:39]
	ds_write2_b64 v78, v[20:21], v[22:23] offset1:67
	ds_write2_b64 v78, v[58:59], v[60:61] offset0:134 offset1:201
	s_waitcnt lgkmcnt(0)
	s_barrier
	ds_read2_b64 v[84:87], v79 offset1:1
	ds_read2_b64 v[88:91], v79 offset0:2 offset1:3
	s_waitcnt lgkmcnt(0)
	s_barrier
	global_load_dwordx2 v[64:65], v[18:19], off
	global_load_dwordx2 v[62:63], v[16:17], off
	v_lshl_add_u64 v[16:17], v[40:41], 0, s[24:25]
	global_load_dwordx2 v[60:61], v[16:17], off
	v_lshl_add_u64 v[16:17], v[40:41], 0, s[26:27]
	global_load_dwordx2 v[58:59], v[16:17], off
	ds_read_b64 v[66:67], v77
	ds_read_b128 v[16:19], v76 offset:256
	ds_read_b128 v[20:23], v76 offset:272
	v_pk_add_f32 v[24:25], v[24:25], v[26:27]
	s_waitcnt vmcnt(3) lgkmcnt(2)
	v_mul_f32_e32 v70, v65, v67
	v_mul_f32_e32 v71, v65, v66
	s_waitcnt vmcnt(2)
	v_mul_f32_e32 v72, v63, v67
	v_mul_f32_e32 v73, v63, v66
	s_waitcnt vmcnt(1)
	;; [unrolled: 3-line block ×3, first 2 shown]
	v_mul_f32_e32 v95, v59, v66
	v_mul_f32_e32 v94, v59, v67
	v_fma_f32 v71, v64, v67, -v71
	v_fma_f32 v73, v62, v67, -v73
	;; [unrolled: 1-line block ×4, first 2 shown]
	v_fmac_f32_e32 v70, v64, v66
	v_fmac_f32_e32 v72, v62, v66
	;; [unrolled: 1-line block ×4, first 2 shown]
	v_lshl_add_u64 v[66:67], v[40:41], 0, s[34:35]
	ds_write2_b64 v78, v[70:71], v[72:73] offset1:67
	ds_write2_b64 v78, v[92:93], v[94:95] offset0:134 offset1:201
	s_waitcnt lgkmcnt(0)
	s_barrier
	ds_read2_b64 v[92:95], v79 offset1:1
	ds_read2_b64 v[96:99], v79 offset0:2 offset1:3
	s_waitcnt lgkmcnt(0)
	s_barrier
	global_load_dwordx2 v[72:73], v[68:69], off
	global_load_dwordx2 v[70:71], v[66:67], off
	v_lshl_add_u64 v[66:67], v[40:41], 0, s[28:29]
	global_load_dwordx2 v[68:69], v[66:67], off
	v_lshl_add_u64 v[66:67], v[40:41], 0, s[30:31]
	global_load_dwordx2 v[66:67], v[66:67], off
	v_pk_add_f32 v[24:25], v[24:25], v[28:29]
	s_nop 0
	v_pk_add_f32 v[100:101], v[24:25], v[30:31]
	v_pk_add_f32 v[24:25], v[84:85], 0 op_sel_hi:[1,0]
	s_nop 0
	v_pk_add_f32 v[24:25], v[24:25], v[86:87]
	v_pk_add_f32 v[86:87], v[92:93], 0 op_sel_hi:[1,0]
	v_pk_add_f32 v[24:25], v[24:25], v[88:89]
	v_pk_add_f32 v[86:87], v[86:87], v[94:95]
	;; [unrolled: 1-line block ×3, first 2 shown]
	ds_read_b64 v[84:85], v77
	ds_read_b128 v[24:27], v76 offset:384
	ds_read_b128 v[28:31], v76 offset:400
	v_pk_add_f32 v[86:87], v[86:87], v[96:97]
	s_waitcnt vmcnt(3) lgkmcnt(2)
	v_mul_f32_e32 v83, v73, v84
	v_pk_add_f32 v[92:93], v[86:87], v[98:99]
	v_mul_f32_e32 v86, v73, v85
	s_waitcnt vmcnt(2)
	v_mul_f32_e32 v89, v71, v84
	v_mul_f32_e32 v88, v71, v85
	s_waitcnt vmcnt(1)
	v_mul_f32_e32 v91, v69, v84
	;; [unrolled: 3-line block ×3, first 2 shown]
	v_mul_f32_e32 v94, v67, v85
	v_fma_f32 v87, v72, v85, -v83
	v_fma_f32 v89, v70, v85, -v89
	v_fmac_f32_e32 v86, v72, v84
	v_fmac_f32_e32 v88, v70, v84
	v_fma_f32 v91, v68, v85, -v91
	v_fmac_f32_e32 v90, v68, v84
	v_fma_f32 v95, v66, v85, -v95
	v_fmac_f32_e32 v94, v66, v84
	ds_write2_b64 v78, v[86:87], v[88:89] offset1:67
	ds_write2_b64 v78, v[90:91], v[94:95] offset0:134 offset1:201
	s_waitcnt lgkmcnt(0)
	s_barrier
	ds_read2_b64 v[84:87], v79 offset1:1
	ds_read2_b64 v[88:91], v79 offset0:2 offset1:3
	s_waitcnt lgkmcnt(0)
	s_barrier
	v_pk_add_f32 v[84:85], v[84:85], 0 op_sel_hi:[1,0]
	ds_write2_b64 v82, v[100:101], v[102:103] offset1:16
	v_pk_add_f32 v[84:85], v[84:85], v[86:87]
	s_nop 0
	v_pk_add_f32 v[84:85], v[84:85], v[88:89]
	s_nop 0
	v_pk_add_f32 v[84:85], v[84:85], v[90:91]
	ds_write2_b64 v82, v[92:93], v[84:85] offset0:32 offset1:48
	s_waitcnt lgkmcnt(0)
	s_barrier
	s_and_saveexec_b64 s[46:47], s[4:5]
	s_cbranch_execz .LBB10_138
; %bb.142:                              ;   in Loop: Header=BB10_139 Depth=1
	ds_read_b64 v[92:93], v80
	ds_read2_b64 v[84:87], v80 offset0:1 offset1:2
	ds_read2_b64 v[88:91], v80 offset0:3 offset1:4
	v_lshl_add_u64 v[96:97], v[34:35], 3, s[6:7]
	s_waitcnt lgkmcnt(1)
	v_add_f32_e32 v83, v84, v92
	v_add_f32_e32 v84, v85, v93
	;; [unrolled: 1-line block ×4, first 2 shown]
	ds_read2_b64 v[84:87], v80 offset0:5 offset1:6
	s_waitcnt lgkmcnt(1)
	v_add_f32_e32 v83, v83, v88
	v_add_f32_e32 v88, v92, v89
	;; [unrolled: 1-line block ×4, first 2 shown]
	ds_read2_b64 v[88:91], v80 offset0:7 offset1:8
	s_waitcnt lgkmcnt(1)
	v_pk_add_f32 v[84:85], v[92:93], v[84:85]
	ds_read2_b64 v[92:95], v80 offset0:9 offset1:10
	v_pk_add_f32 v[84:85], v[84:85], v[86:87]
	s_waitcnt lgkmcnt(1)
	v_pk_add_f32 v[84:85], v[84:85], v[88:89]
	s_nop 0
	v_pk_add_f32 v[88:89], v[84:85], v[90:91]
	ds_read2_b64 v[84:87], v80 offset0:11 offset1:12
	s_waitcnt lgkmcnt(1)
	v_pk_add_f32 v[92:93], v[88:89], v[92:93]
	ds_read2_b64 v[88:91], v80 offset0:13 offset1:14
	v_pk_add_f32 v[92:93], v[92:93], v[94:95]
	ds_read_b64 v[94:95], v81
	s_waitcnt lgkmcnt(2)
	v_pk_add_f32 v[84:85], v[92:93], v[84:85]
	s_nop 0
	v_pk_add_f32 v[84:85], v[84:85], v[86:87]
	s_waitcnt lgkmcnt(1)
	v_pk_add_f32 v[84:85], v[84:85], v[88:89]
	s_nop 0
	v_pk_add_f32 v[84:85], v[84:85], v[90:91]
	s_waitcnt lgkmcnt(0)
	v_pk_add_f32 v[84:85], v[84:85], v[94:95]
	global_store_dwordx2 v[96:97], v[84:85], off
	s_branch .LBB10_138
.LBB10_143:
	s_movk_i32 s0, 0x218
	v_mad_u32_u24 v0, v33, s0, v74
	s_nor_b64 s[0:1], s[16:17], vcc
	ds_write_b64 v0, v[36:37]
	s_waitcnt lgkmcnt(0)
	s_barrier
	s_and_saveexec_b64 s[2:3], s[0:1]
	s_cbranch_execz .LBB10_145
; %bb.144:
	ds_read2_b64 v[0:3], v74 offset1:67
	ds_read2_b64 v[4:7], v74 offset0:134 offset1:201
	v_ashrrev_i32_e32 v33, 31, v32
	v_lshl_add_u64 v[8:9], v[32:33], 3, s[6:7]
	s_waitcnt lgkmcnt(1)
	v_pk_add_f32 v[0:1], v[2:3], v[0:1]
	s_waitcnt lgkmcnt(0)
	v_pk_add_f32 v[0:1], v[4:5], v[0:1]
	s_nop 0
	v_pk_add_f32 v[0:1], v[0:1], v[6:7]
	global_store_dwordx2 v[8:9], v[0:1], off
.LBB10_145:
	s_endpgm
	.section	.rodata,"a",@progbits
	.p2align	6, 0x0
	.amdhsa_kernel _ZL26rocblas_hemvn_kernel_lowerILb1ELi64ELi4ELi33ELi32ELi16EiPK19rocblas_complex_numIfES3_PS1_EviT6_lT7_lT5_lS6_lS7_lS5_lT8_i
		.amdhsa_group_segment_fixed_size 9600
		.amdhsa_private_segment_fixed_size 0
		.amdhsa_kernarg_size 376
		.amdhsa_user_sgpr_count 2
		.amdhsa_user_sgpr_dispatch_ptr 0
		.amdhsa_user_sgpr_queue_ptr 0
		.amdhsa_user_sgpr_kernarg_segment_ptr 1
		.amdhsa_user_sgpr_dispatch_id 0
		.amdhsa_user_sgpr_kernarg_preload_length 0
		.amdhsa_user_sgpr_kernarg_preload_offset 0
		.amdhsa_user_sgpr_private_segment_size 0
		.amdhsa_uses_dynamic_stack 0
		.amdhsa_enable_private_segment 0
		.amdhsa_system_sgpr_workgroup_id_x 1
		.amdhsa_system_sgpr_workgroup_id_y 0
		.amdhsa_system_sgpr_workgroup_id_z 1
		.amdhsa_system_sgpr_workgroup_info 0
		.amdhsa_system_vgpr_workitem_id 1
		.amdhsa_next_free_vgpr 104
		.amdhsa_next_free_sgpr 48
		.amdhsa_accum_offset 104
		.amdhsa_reserve_vcc 1
		.amdhsa_float_round_mode_32 0
		.amdhsa_float_round_mode_16_64 0
		.amdhsa_float_denorm_mode_32 3
		.amdhsa_float_denorm_mode_16_64 3
		.amdhsa_dx10_clamp 1
		.amdhsa_ieee_mode 1
		.amdhsa_fp16_overflow 0
		.amdhsa_tg_split 0
		.amdhsa_exception_fp_ieee_invalid_op 0
		.amdhsa_exception_fp_denorm_src 0
		.amdhsa_exception_fp_ieee_div_zero 0
		.amdhsa_exception_fp_ieee_overflow 0
		.amdhsa_exception_fp_ieee_underflow 0
		.amdhsa_exception_fp_ieee_inexact 0
		.amdhsa_exception_int_div_zero 0
	.end_amdhsa_kernel
	.section	.text._ZL26rocblas_hemvn_kernel_lowerILb1ELi64ELi4ELi33ELi32ELi16EiPK19rocblas_complex_numIfES3_PS1_EviT6_lT7_lT5_lS6_lS7_lS5_lT8_i,"axG",@progbits,_ZL26rocblas_hemvn_kernel_lowerILb1ELi64ELi4ELi33ELi32ELi16EiPK19rocblas_complex_numIfES3_PS1_EviT6_lT7_lT5_lS6_lS7_lS5_lT8_i,comdat
.Lfunc_end10:
	.size	_ZL26rocblas_hemvn_kernel_lowerILb1ELi64ELi4ELi33ELi32ELi16EiPK19rocblas_complex_numIfES3_PS1_EviT6_lT7_lT5_lS6_lS7_lS5_lT8_i, .Lfunc_end10-_ZL26rocblas_hemvn_kernel_lowerILb1ELi64ELi4ELi33ELi32ELi16EiPK19rocblas_complex_numIfES3_PS1_EviT6_lT7_lT5_lS6_lS7_lS5_lT8_i
                                        ; -- End function
	.set _ZL26rocblas_hemvn_kernel_lowerILb1ELi64ELi4ELi33ELi32ELi16EiPK19rocblas_complex_numIfES3_PS1_EviT6_lT7_lT5_lS6_lS7_lS5_lT8_i.num_vgpr, 104
	.set _ZL26rocblas_hemvn_kernel_lowerILb1ELi64ELi4ELi33ELi32ELi16EiPK19rocblas_complex_numIfES3_PS1_EviT6_lT7_lT5_lS6_lS7_lS5_lT8_i.num_agpr, 0
	.set _ZL26rocblas_hemvn_kernel_lowerILb1ELi64ELi4ELi33ELi32ELi16EiPK19rocblas_complex_numIfES3_PS1_EviT6_lT7_lT5_lS6_lS7_lS5_lT8_i.numbered_sgpr, 48
	.set _ZL26rocblas_hemvn_kernel_lowerILb1ELi64ELi4ELi33ELi32ELi16EiPK19rocblas_complex_numIfES3_PS1_EviT6_lT7_lT5_lS6_lS7_lS5_lT8_i.num_named_barrier, 0
	.set _ZL26rocblas_hemvn_kernel_lowerILb1ELi64ELi4ELi33ELi32ELi16EiPK19rocblas_complex_numIfES3_PS1_EviT6_lT7_lT5_lS6_lS7_lS5_lT8_i.private_seg_size, 0
	.set _ZL26rocblas_hemvn_kernel_lowerILb1ELi64ELi4ELi33ELi32ELi16EiPK19rocblas_complex_numIfES3_PS1_EviT6_lT7_lT5_lS6_lS7_lS5_lT8_i.uses_vcc, 1
	.set _ZL26rocblas_hemvn_kernel_lowerILb1ELi64ELi4ELi33ELi32ELi16EiPK19rocblas_complex_numIfES3_PS1_EviT6_lT7_lT5_lS6_lS7_lS5_lT8_i.uses_flat_scratch, 0
	.set _ZL26rocblas_hemvn_kernel_lowerILb1ELi64ELi4ELi33ELi32ELi16EiPK19rocblas_complex_numIfES3_PS1_EviT6_lT7_lT5_lS6_lS7_lS5_lT8_i.has_dyn_sized_stack, 0
	.set _ZL26rocblas_hemvn_kernel_lowerILb1ELi64ELi4ELi33ELi32ELi16EiPK19rocblas_complex_numIfES3_PS1_EviT6_lT7_lT5_lS6_lS7_lS5_lT8_i.has_recursion, 0
	.set _ZL26rocblas_hemvn_kernel_lowerILb1ELi64ELi4ELi33ELi32ELi16EiPK19rocblas_complex_numIfES3_PS1_EviT6_lT7_lT5_lS6_lS7_lS5_lT8_i.has_indirect_call, 0
	.section	.AMDGPU.csdata,"",@progbits
; Kernel info:
; codeLenInByte = 8248
; TotalNumSgprs: 54
; NumVgprs: 104
; NumAgprs: 0
; TotalNumVgprs: 104
; ScratchSize: 0
; MemoryBound: 1
; FloatMode: 240
; IeeeMode: 1
; LDSByteSize: 9600 bytes/workgroup (compile time only)
; SGPRBlocks: 6
; VGPRBlocks: 12
; NumSGPRsForWavesPerEU: 54
; NumVGPRsForWavesPerEU: 104
; AccumOffset: 104
; Occupancy: 4
; WaveLimiterHint : 1
; COMPUTE_PGM_RSRC2:SCRATCH_EN: 0
; COMPUTE_PGM_RSRC2:USER_SGPR: 2
; COMPUTE_PGM_RSRC2:TRAP_HANDLER: 0
; COMPUTE_PGM_RSRC2:TGID_X_EN: 1
; COMPUTE_PGM_RSRC2:TGID_Y_EN: 0
; COMPUTE_PGM_RSRC2:TGID_Z_EN: 1
; COMPUTE_PGM_RSRC2:TIDIG_COMP_CNT: 1
; COMPUTE_PGM_RSRC3_GFX90A:ACCUM_OFFSET: 25
; COMPUTE_PGM_RSRC3_GFX90A:TG_SPLIT: 0
	.section	.text._ZL36rocblas_hemvn_kernel_lower_block_sumILi64EiPK19rocblas_complex_numIfEPS1_S1_EviT1_lS5_lT2_lT0_lPT3_i,"axG",@progbits,_ZL36rocblas_hemvn_kernel_lower_block_sumILi64EiPK19rocblas_complex_numIfEPS1_S1_EviT1_lS5_lT2_lT0_lPT3_i,comdat
	.globl	_ZL36rocblas_hemvn_kernel_lower_block_sumILi64EiPK19rocblas_complex_numIfEPS1_S1_EviT1_lS5_lT2_lT0_lPT3_i ; -- Begin function _ZL36rocblas_hemvn_kernel_lower_block_sumILi64EiPK19rocblas_complex_numIfEPS1_S1_EviT1_lS5_lT2_lT0_lPT3_i
	.p2align	8
	.type	_ZL36rocblas_hemvn_kernel_lower_block_sumILi64EiPK19rocblas_complex_numIfEPS1_S1_EviT1_lS5_lT2_lT0_lPT3_i,@function
_ZL36rocblas_hemvn_kernel_lower_block_sumILi64EiPK19rocblas_complex_numIfEPS1_S1_EviT1_lS5_lT2_lT0_lPT3_i: ; @_ZL36rocblas_hemvn_kernel_lower_block_sumILi64EiPK19rocblas_complex_numIfEPS1_S1_EviT1_lS5_lT2_lT0_lPT3_i
; %bb.0:
	s_load_dwordx8 s[4:11], s[0:1], 0x8
	s_waitcnt lgkmcnt(0)
	s_mul_i32 s7, s7, s3
	s_mul_hi_u32 s12, s6, s3
	s_add_i32 s7, s12, s7
	s_mul_i32 s6, s6, s3
	s_lshl_b64 s[6:7], s[6:7], 3
	s_add_u32 s4, s4, s6
	s_addc_u32 s5, s5, s7
	s_mul_i32 s6, s11, s3
	s_mul_hi_u32 s7, s10, s3
	s_add_i32 s11, s7, s6
	s_mul_i32 s10, s10, s3
	s_load_dwordx2 s[6:7], s[4:5], 0x0
	s_lshl_b64 s[4:5], s[10:11], 3
	s_add_u32 s4, s8, s4
	s_addc_u32 s5, s9, s5
	s_load_dwordx2 s[8:9], s[4:5], 0x0
	s_waitcnt lgkmcnt(0)
	s_or_b32 s4, s6, s7
	s_bitset0_b32 s4, 31
	s_cmp_eq_u32 s4, 0
	s_cselect_b64 s[4:5], -1, 0
	v_cmp_eq_f32_e64 s[10:11], s8, 1.0
	v_cmp_eq_f32_e64 s[12:13], s9, 0
	s_and_b64 s[10:11], s[10:11], s[12:13]
	s_and_b64 s[10:11], s[4:5], s[10:11]
	s_and_b64 vcc, exec, s[10:11]
	s_cbranch_vccnz .LBB11_17
; %bb.1:
	s_load_dwordx2 s[10:11], s[0:1], 0x40
	s_load_dwordx4 s[20:23], s[0:1], 0x28
	s_load_dword s16, s[0:1], 0x38
	s_load_dword s12, s[0:1], 0x0
	v_lshl_or_b32 v4, s2, 6, v0
	s_waitcnt lgkmcnt(0)
	s_mul_i32 s11, s11, s3
	s_mul_hi_u32 s13, s10, s3
	s_add_i32 s11, s13, s11
	s_mul_i32 s10, s10, s3
	s_lshl_b64 s[10:11], s[10:11], 3
	s_add_u32 s13, s20, s10
	s_addc_u32 s14, s21, s11
	s_lshl_b64 s[10:11], s[22:23], 3
	s_add_u32 s10, s13, s10
	s_addc_u32 s11, s14, s11
	s_mov_b64 s[14:15], -1
	s_andn2_b64 vcc, exec, s[4:5]
	v_cmp_gt_i32_e64 s[4:5], s12, v4
	s_cbranch_vccnz .LBB11_7
; %bb.2:
	s_and_saveexec_b64 s[14:15], s[4:5]
	s_cbranch_execz .LBB11_6
; %bb.3:
	v_cmp_neq_f32_e64 s[4:5], s8, 0
	v_cmp_neq_f32_e64 s[18:19], s9, 0
	v_mul_lo_u32 v2, s16, v4
	v_ashrrev_i32_e32 v3, 31, v2
	s_or_b64 s[4:5], s[4:5], s[18:19]
	v_mov_b32_e32 v0, 0
	s_andn2_b64 vcc, exec, s[4:5]
	v_lshl_add_u64 v[2:3], v[2:3], 3, s[10:11]
	v_mov_b32_e32 v1, 0
	s_cbranch_vccnz .LBB11_5
; %bb.4:
	global_load_dwordx2 v[6:7], v[2:3], off
	s_waitcnt vmcnt(0)
	v_pk_mul_f32 v[8:9], v[6:7], s[8:9] op_sel:[1,1] op_sel_hi:[1,0]
	s_nop 0
	v_pk_fma_f32 v[0:1], v[6:7], s[8:9], v[8:9] neg_lo:[0,0,1] neg_hi:[0,0,1]
	v_pk_fma_f32 v[6:7], v[6:7], s[8:9], v[8:9] op_sel_hi:[0,1,1]
	v_mov_b32_e32 v1, v7
.LBB11_5:
	global_store_dwordx2 v[2:3], v[0:1], off
.LBB11_6:
	s_or_b64 exec, exec, s[14:15]
	s_mov_b64 s[14:15], 0
.LBB11_7:
	s_andn2_b64 vcc, exec, s[14:15]
	s_cbranch_vccnz .LBB11_17
; %bb.8:
	v_cmp_gt_i32_e32 vcc, s12, v4
	s_and_saveexec_b64 s[4:5], vcc
	s_cbranch_execz .LBB11_17
; %bb.9:
	s_load_dword s4, s[0:1], 0x58
	v_mov_b32_e32 v1, 0
	v_mov_b32_e32 v0, v1
	s_waitcnt lgkmcnt(0)
	s_cmp_ge_i32 s2, s4
	s_cbranch_scc1 .LBB11_12
; %bb.10:
	s_ashr_i32 s13, s12, 31
	s_mul_i32 s5, s12, s2
	s_load_dwordx2 s[0:1], s[0:1], 0x48
	v_add_u32_e32 v0, s5, v4
	s_mul_hi_u32 s5, s12, s3
	s_mul_i32 s14, s13, s3
	s_add_i32 s5, s5, s14
	s_mul_i32 s3, s12, s3
	s_mul_i32 s5, s5, s4
	s_mul_hi_u32 s14, s3, s4
	s_add_i32 s15, s14, s5
	s_mul_i32 s14, s3, s4
	s_lshl_b64 s[14:15], s[14:15], 3
	s_waitcnt lgkmcnt(0)
	s_add_u32 s0, s0, s14
	v_ashrrev_i32_e32 v1, 31, v0
	s_addc_u32 s1, s1, s15
	v_lshl_add_u64 v[2:3], v[0:1], 3, s[0:1]
	v_mov_b32_e32 v0, 0
	s_lshl_b64 s[0:1], s[12:13], 3
	v_mov_b32_e32 v1, v0
.LBB11_11:                              ; =>This Inner Loop Header: Depth=1
	global_load_dwordx2 v[6:7], v[2:3], off
	s_add_i32 s2, s2, 1
	v_lshl_add_u64 v[2:3], v[2:3], 0, s[0:1]
	s_cmp_ge_i32 s2, s4
	s_waitcnt vmcnt(0)
	v_pk_add_f32 v[0:1], v[0:1], v[6:7]
	s_cbranch_scc0 .LBB11_11
.LBB11_12:
	v_cmp_neq_f32_e64 s[0:1], s8, 0
	v_cmp_neq_f32_e64 s[2:3], s9, 0
	s_or_b64 s[0:1], s[0:1], s[2:3]
	v_pk_mul_f32 v[6:7], v[0:1], s[6:7] op_sel:[1,1] op_sel_hi:[1,0]
	v_mul_lo_u32 v4, s16, v4
	s_andn2_b64 vcc, exec, s[0:1]
	v_pk_fma_f32 v[2:3], v[0:1], s[6:7], v[6:7] op_sel_hi:[0,1,1]
	v_ashrrev_i32_e32 v5, 31, v4
	s_cbranch_vccz .LBB11_14
; %bb.13:
	v_pk_mul_f32 v[8:9], v[0:1], s[6:7]
	s_nop 0
	v_sub_f32_e32 v2, v8, v6
	s_cbranch_execz .LBB11_15
	s_branch .LBB11_16
.LBB11_14:
.LBB11_15:
	v_lshl_add_u64 v[8:9], v[4:5], 3, s[10:11]
	global_load_dwordx2 v[8:9], v[8:9], off
	v_pk_fma_f32 v[0:1], v[0:1], s[6:7], v[6:7] neg_lo:[0,0,1] neg_hi:[0,0,1]
	s_waitcnt vmcnt(0)
	v_pk_mul_f32 v[6:7], v[8:9], s[8:9] op_sel:[1,1] op_sel_hi:[1,0]
	s_nop 0
	v_pk_fma_f32 v[10:11], v[8:9], s[8:9], v[6:7] neg_lo:[0,0,1] neg_hi:[0,0,1]
	v_pk_fma_f32 v[6:7], v[8:9], s[8:9], v[6:7] op_sel_hi:[0,1,1]
	v_mov_b32_e32 v11, v7
	v_mov_b32_e32 v1, v3
	v_pk_add_f32 v[2:3], v[0:1], v[10:11]
.LBB11_16:
	v_lshl_add_u64 v[0:1], v[4:5], 3, s[10:11]
	global_store_dwordx2 v[0:1], v[2:3], off
.LBB11_17:
	s_endpgm
	.section	.rodata,"a",@progbits
	.p2align	6, 0x0
	.amdhsa_kernel _ZL36rocblas_hemvn_kernel_lower_block_sumILi64EiPK19rocblas_complex_numIfEPS1_S1_EviT1_lS5_lT2_lT0_lPT3_i
		.amdhsa_group_segment_fixed_size 0
		.amdhsa_private_segment_fixed_size 0
		.amdhsa_kernarg_size 344
		.amdhsa_user_sgpr_count 2
		.amdhsa_user_sgpr_dispatch_ptr 0
		.amdhsa_user_sgpr_queue_ptr 0
		.amdhsa_user_sgpr_kernarg_segment_ptr 1
		.amdhsa_user_sgpr_dispatch_id 0
		.amdhsa_user_sgpr_kernarg_preload_length 0
		.amdhsa_user_sgpr_kernarg_preload_offset 0
		.amdhsa_user_sgpr_private_segment_size 0
		.amdhsa_uses_dynamic_stack 0
		.amdhsa_enable_private_segment 0
		.amdhsa_system_sgpr_workgroup_id_x 1
		.amdhsa_system_sgpr_workgroup_id_y 0
		.amdhsa_system_sgpr_workgroup_id_z 1
		.amdhsa_system_sgpr_workgroup_info 0
		.amdhsa_system_vgpr_workitem_id 0
		.amdhsa_next_free_vgpr 12
		.amdhsa_next_free_sgpr 24
		.amdhsa_accum_offset 12
		.amdhsa_reserve_vcc 1
		.amdhsa_float_round_mode_32 0
		.amdhsa_float_round_mode_16_64 0
		.amdhsa_float_denorm_mode_32 3
		.amdhsa_float_denorm_mode_16_64 3
		.amdhsa_dx10_clamp 1
		.amdhsa_ieee_mode 1
		.amdhsa_fp16_overflow 0
		.amdhsa_tg_split 0
		.amdhsa_exception_fp_ieee_invalid_op 0
		.amdhsa_exception_fp_denorm_src 0
		.amdhsa_exception_fp_ieee_div_zero 0
		.amdhsa_exception_fp_ieee_overflow 0
		.amdhsa_exception_fp_ieee_underflow 0
		.amdhsa_exception_fp_ieee_inexact 0
		.amdhsa_exception_int_div_zero 0
	.end_amdhsa_kernel
	.section	.text._ZL36rocblas_hemvn_kernel_lower_block_sumILi64EiPK19rocblas_complex_numIfEPS1_S1_EviT1_lS5_lT2_lT0_lPT3_i,"axG",@progbits,_ZL36rocblas_hemvn_kernel_lower_block_sumILi64EiPK19rocblas_complex_numIfEPS1_S1_EviT1_lS5_lT2_lT0_lPT3_i,comdat
.Lfunc_end11:
	.size	_ZL36rocblas_hemvn_kernel_lower_block_sumILi64EiPK19rocblas_complex_numIfEPS1_S1_EviT1_lS5_lT2_lT0_lPT3_i, .Lfunc_end11-_ZL36rocblas_hemvn_kernel_lower_block_sumILi64EiPK19rocblas_complex_numIfEPS1_S1_EviT1_lS5_lT2_lT0_lPT3_i
                                        ; -- End function
	.set _ZL36rocblas_hemvn_kernel_lower_block_sumILi64EiPK19rocblas_complex_numIfEPS1_S1_EviT1_lS5_lT2_lT0_lPT3_i.num_vgpr, 12
	.set _ZL36rocblas_hemvn_kernel_lower_block_sumILi64EiPK19rocblas_complex_numIfEPS1_S1_EviT1_lS5_lT2_lT0_lPT3_i.num_agpr, 0
	.set _ZL36rocblas_hemvn_kernel_lower_block_sumILi64EiPK19rocblas_complex_numIfEPS1_S1_EviT1_lS5_lT2_lT0_lPT3_i.numbered_sgpr, 24
	.set _ZL36rocblas_hemvn_kernel_lower_block_sumILi64EiPK19rocblas_complex_numIfEPS1_S1_EviT1_lS5_lT2_lT0_lPT3_i.num_named_barrier, 0
	.set _ZL36rocblas_hemvn_kernel_lower_block_sumILi64EiPK19rocblas_complex_numIfEPS1_S1_EviT1_lS5_lT2_lT0_lPT3_i.private_seg_size, 0
	.set _ZL36rocblas_hemvn_kernel_lower_block_sumILi64EiPK19rocblas_complex_numIfEPS1_S1_EviT1_lS5_lT2_lT0_lPT3_i.uses_vcc, 1
	.set _ZL36rocblas_hemvn_kernel_lower_block_sumILi64EiPK19rocblas_complex_numIfEPS1_S1_EviT1_lS5_lT2_lT0_lPT3_i.uses_flat_scratch, 0
	.set _ZL36rocblas_hemvn_kernel_lower_block_sumILi64EiPK19rocblas_complex_numIfEPS1_S1_EviT1_lS5_lT2_lT0_lPT3_i.has_dyn_sized_stack, 0
	.set _ZL36rocblas_hemvn_kernel_lower_block_sumILi64EiPK19rocblas_complex_numIfEPS1_S1_EviT1_lS5_lT2_lT0_lPT3_i.has_recursion, 0
	.set _ZL36rocblas_hemvn_kernel_lower_block_sumILi64EiPK19rocblas_complex_numIfEPS1_S1_EviT1_lS5_lT2_lT0_lPT3_i.has_indirect_call, 0
	.section	.AMDGPU.csdata,"",@progbits
; Kernel info:
; codeLenInByte = 716
; TotalNumSgprs: 30
; NumVgprs: 12
; NumAgprs: 0
; TotalNumVgprs: 12
; ScratchSize: 0
; MemoryBound: 0
; FloatMode: 240
; IeeeMode: 1
; LDSByteSize: 0 bytes/workgroup (compile time only)
; SGPRBlocks: 3
; VGPRBlocks: 1
; NumSGPRsForWavesPerEU: 30
; NumVGPRsForWavesPerEU: 12
; AccumOffset: 12
; Occupancy: 8
; WaveLimiterHint : 0
; COMPUTE_PGM_RSRC2:SCRATCH_EN: 0
; COMPUTE_PGM_RSRC2:USER_SGPR: 2
; COMPUTE_PGM_RSRC2:TRAP_HANDLER: 0
; COMPUTE_PGM_RSRC2:TGID_X_EN: 1
; COMPUTE_PGM_RSRC2:TGID_Y_EN: 0
; COMPUTE_PGM_RSRC2:TGID_Z_EN: 1
; COMPUTE_PGM_RSRC2:TIDIG_COMP_CNT: 0
; COMPUTE_PGM_RSRC3_GFX90A:ACCUM_OFFSET: 2
; COMPUTE_PGM_RSRC3_GFX90A:TG_SPLIT: 0
	.section	.text._ZL26rocblas_hemvn_kernel_lowerILb1ELi64ELi4ELi33ELi32ELi16El19rocblas_complex_numIfEPKS1_PS1_EviT6_lT7_lT5_lS6_lS7_lS5_lT8_i,"axG",@progbits,_ZL26rocblas_hemvn_kernel_lowerILb1ELi64ELi4ELi33ELi32ELi16El19rocblas_complex_numIfEPKS1_PS1_EviT6_lT7_lT5_lS6_lS7_lS5_lT8_i,comdat
	.globl	_ZL26rocblas_hemvn_kernel_lowerILb1ELi64ELi4ELi33ELi32ELi16El19rocblas_complex_numIfEPKS1_PS1_EviT6_lT7_lT5_lS6_lS7_lS5_lT8_i ; -- Begin function _ZL26rocblas_hemvn_kernel_lowerILb1ELi64ELi4ELi33ELi32ELi16El19rocblas_complex_numIfEPKS1_PS1_EviT6_lT7_lT5_lS6_lS7_lS5_lT8_i
	.p2align	8
	.type	_ZL26rocblas_hemvn_kernel_lowerILb1ELi64ELi4ELi33ELi32ELi16El19rocblas_complex_numIfEPKS1_PS1_EviT6_lT7_lT5_lS6_lS7_lS5_lT8_i,@function
_ZL26rocblas_hemvn_kernel_lowerILb1ELi64ELi4ELi33ELi32ELi16El19rocblas_complex_numIfEPKS1_PS1_EviT6_lT7_lT5_lS6_lS7_lS5_lT8_i: ; @_ZL26rocblas_hemvn_kernel_lowerILb1ELi64ELi4ELi33ELi32ELi16El19rocblas_complex_numIfEPKS1_PS1_EviT6_lT7_lT5_lS6_lS7_lS5_lT8_i
; %bb.0:
	s_load_dwordx2 s[6:7], s[0:1], 0x84
	s_add_u32 s4, s0, 0x78
	s_addc_u32 s5, s1, 0
	s_waitcnt lgkmcnt(0)
	s_lshr_b32 s8, s6, 16
	s_and_b32 s6, s6, 0xffff
	s_and_b32 s7, s7, 0xffff
	s_mul_i32 s6, s8, s6
	s_mul_i32 s6, s6, s7
	s_cmpk_lg_i32 s6, 0x100
	s_cbranch_scc1 .LBB12_145
; %bb.1:
	s_load_dwordx2 s[6:7], s[0:1], 0x4
	s_mov_b64 s[8:9], -1
	s_waitcnt lgkmcnt(0)
	s_or_b32 s6, s6, s7
	s_bitset0_b32 s6, 31
	s_cmp_lg_u32 s6, 0
	s_cselect_b64 s[6:7], -1, 0
	s_and_b64 vcc, exec, s[6:7]
	s_cbranch_vccnz .LBB12_3
; %bb.2:
	s_load_dwordx2 s[8:9], s[0:1], 0x58
	s_waitcnt lgkmcnt(0)
	v_cmp_neq_f32_e64 s[10:11], s8, 1.0
	v_cmp_neq_f32_e64 s[8:9], s9, 0
	s_or_b64 s[8:9], s[10:11], s[8:9]
.LBB12_3:
	s_andn2_b64 vcc, exec, s[8:9]
	s_cbranch_vccnz .LBB12_145
; %bb.4:
	s_andn2_b64 vcc, exec, s[6:7]
	s_cbranch_vccnz .LBB12_145
; %bb.5:
	s_load_dwordx16 s[36:51], s[0:1], 0x18
	s_load_dword s52, s[4:5], 0x0
	s_load_dword s33, s[0:1], 0x0
	v_and_b32_e32 v77, 0x3ff, v0
	v_bfe_u32 v76, v0, 10, 10
	s_waitcnt lgkmcnt(0)
	s_mul_i32 s5, s51, s3
	s_mul_hi_u32 s6, s50, s3
	s_mul_i32 s4, s50, s3
	s_add_i32 s5, s6, s5
	s_lshl_b64 s[4:5], s[4:5], 3
	s_add_u32 s6, s44, s4
	s_addc_u32 s7, s45, s5
	s_lshl_b64 s[4:5], s[46:47], 3
	s_add_u32 s4, s6, s4
	s_addc_u32 s5, s7, s5
	s_ashr_i32 s44, s33, 31
	s_lshr_b32 s7, s44, 26
	s_add_i32 s7, s33, s7
	s_lshl_b32 s26, s2, 6
	s_andn2_b32 s7, s7, 63
	s_add_i32 s6, s52, -1
	s_sub_i32 s7, s33, s7
	v_add_u32_e32 v32, s26, v77
	s_cmp_eq_u32 s2, s6
	v_ashrrev_i32_e32 v33, 31, v32
	s_cselect_b32 s24, s7, 0
	v_mul_lo_u32 v2, s48, v33
	v_mul_lo_u32 v3, s49, v32
	v_mad_u64_u32 v[0:1], s[6:7], s48, v32, 0
	v_add3_u32 v1, v1, v2, v3
	v_lshl_add_u64 v[16:17], v[0:1], 3, s[4:5]
	v_cmp_ne_u32_e64 s[4:5], 0, v76
	v_cmp_eq_u32_e64 s[18:19], 0, v76
	s_and_saveexec_b64 s[6:7], s[18:19]
	s_cbranch_execz .LBB12_10
; %bb.6:
	s_cmp_lg_u32 s24, 0
	s_cselect_b64 s[8:9], -1, 0
	v_cmp_le_i32_e32 vcc, s24, v77
	v_mov_b32_e32 v0, 0x2380
	s_and_b64 s[8:9], s[8:9], vcc
	v_lshl_add_u32 v0, v77, 3, v0
	s_and_saveexec_b64 s[10:11], s[8:9]
	s_xor_b64 s[8:9], exec, s[10:11]
; %bb.7:
	v_mov_b32_e32 v2, 0
	v_mov_b32_e32 v3, v2
	ds_write_b64 v0, v[2:3]
                                        ; implicit-def: $vgpr0
; %bb.8:
	s_andn2_saveexec_b64 s[8:9], s[8:9]
	s_cbranch_execz .LBB12_10
; %bb.9:
	global_load_dwordx2 v[2:3], v[16:17], off
	s_waitcnt vmcnt(0)
	ds_write_b64 v0, v[2:3]
.LBB12_10:
	s_or_b64 exec, exec, s[6:7]
	s_mul_i32 s6, s43, s3
	s_mul_hi_u32 s7, s42, s3
	s_add_i32 s7, s7, s6
	s_mul_i32 s6, s42, s3
	s_lshl_b64 s[6:7], s[6:7], 3
	s_add_u32 s8, s36, s6
	s_addc_u32 s9, s37, s7
	s_lshl_b64 s[6:7], s[38:39], 3
	s_add_u32 s8, s8, s6
	s_addc_u32 s9, s9, s7
	s_ashr_i32 s27, s26, 31
	v_lshl_add_u32 v22, v76, 6, v77
	s_lshl_b64 s[6:7], s[26:27], 3
	v_and_b32_e32 v0, 31, v77
	v_lshrrev_b32_e32 v8, 5, v22
	s_add_u32 s6, s8, s6
	v_mov_b32_e32 v1, 0
	s_addc_u32 s7, s9, s7
	v_mad_u64_u32 v[18:19], s[8:9], s40, v8, v[0:1]
	v_mov_b32_e32 v2, v19
	v_mad_u64_u32 v[2:3], s[8:9], s41, v8, v[2:3]
	v_mov_b32_e32 v19, v2
	v_lshl_add_u64 v[2:3], v[18:19], 3, s[6:7]
	s_mul_hi_u32 s6, s40, s26
	s_mul_i32 s7, s40, s27
	s_add_i32 s6, s6, s7
	s_mul_i32 s7, s41, s26
	s_add_i32 s29, s6, s7
	s_cmp_lg_u32 s24, 0
	s_mul_i32 s28, s40, s26
	s_cselect_b64 s[30:31], -1, 0
	s_cmp_eq_u32 s24, 0
	v_lshl_add_u64 v[2:3], s[28:29], 3, v[2:3]
	s_cselect_b64 s[20:21], -1, 0
	s_mov_b64 s[6:7], -1
	s_and_b64 vcc, exec, s[30:31]
	s_cbranch_vccnz .LBB12_12
; %bb.11:
	s_lshl_b64 s[6:7], s[40:41], 6
	v_lshl_add_u64 v[4:5], v[2:3], 0, s[6:7]
	v_lshl_add_u64 v[6:7], v[4:5], 0, s[6:7]
	;; [unrolled: 1-line block ×3, first 2 shown]
	global_load_dwordx2 v[12:13], v[2:3], off
	global_load_dwordx2 v[14:15], v[4:5], off
	;; [unrolled: 1-line block ×4, first 2 shown]
	v_mul_u32_u24_e32 v1, 0x108, v8
	v_lshl_add_u32 v1, v0, 3, v1
	s_mov_b64 s[6:7], 0
	s_waitcnt vmcnt(3)
	ds_write_b64 v1, v[12:13]
	s_waitcnt vmcnt(2)
	ds_write_b64 v1, v[14:15] offset:2112
	s_waitcnt vmcnt(1)
	ds_write_b64 v1, v[20:21] offset:4224
	;; [unrolled: 2-line block ×3, first 2 shown]
.LBB12_12:
	s_andn2_b64 vcc, exec, s[6:7]
	s_cbranch_vccnz .LBB12_28
; %bb.13:
	v_lshlrev_b32_e32 v4, 3, v0
	v_sub_co_u32_e32 v6, vcc, v2, v4
	s_ashr_i32 s25, s24, 31
	s_nop 0
	v_subbrev_co_u32_e32 v7, vcc, 0, v3, vcc
	v_lshl_add_u64 v[6:7], s[24:25], 3, v[6:7]
	v_mov_b32_e32 v10, 0
	v_lshl_add_u64 v[6:7], v[6:7], 0, -8
	v_cmp_gt_i32_e32 vcc, s24, v0
	v_cmp_gt_i32_e64 s[6:7], s24, v8
	v_mov_b32_e32 v11, v10
	v_cndmask_b32_e32 v7, v7, v3, vcc
	v_cndmask_b32_e32 v6, v6, v2, vcc
	s_and_saveexec_b64 s[8:9], s[6:7]
	s_cbranch_execz .LBB12_15
; %bb.14:
	global_load_dwordx2 v[10:11], v[6:7], off
.LBB12_15:
	s_or_b64 exec, exec, s[8:9]
	v_lshlrev_b32_e32 v1, 3, v0
	s_movk_i32 s6, 0x108
	v_mad_u32_u24 v9, v8, s6, v1
	s_waitcnt vmcnt(0)
	ds_write_b64 v9, v[10:11]
	v_add_u32_e32 v9, 8, v8
	v_mul_u32_u24_e32 v5, 0x108, v8
	v_cmp_le_i32_e64 s[6:7], s24, v9
	s_and_saveexec_b64 s[8:9], s[6:7]
	s_xor_b64 s[6:7], exec, s[8:9]
; %bb.16:
	v_mov_b32_e32 v10, 0
	v_add_u32_e32 v9, v5, v1
	v_mov_b32_e32 v11, v10
	ds_write_b64 v9, v[10:11] offset:2112
; %bb.17:
	s_andn2_saveexec_b64 s[6:7], s[6:7]
	s_cbranch_execz .LBB12_19
; %bb.18:
	s_lshl_b64 s[8:9], s[40:41], 6
	v_lshl_add_u64 v[10:11], v[6:7], 0, s[8:9]
	global_load_dwordx2 v[10:11], v[10:11], off
	v_add_u32_e32 v9, v5, v1
	s_waitcnt vmcnt(0)
	ds_write_b64 v9, v[10:11] offset:2112
.LBB12_19:
	s_or_b64 exec, exec, s[6:7]
	v_add_u32_e32 v9, 16, v8
	v_cmp_le_i32_e64 s[6:7], s24, v9
	s_and_saveexec_b64 s[8:9], s[6:7]
	s_xor_b64 s[6:7], exec, s[8:9]
; %bb.20:
	v_mov_b32_e32 v10, 0
	v_add_u32_e32 v9, v5, v1
	v_mov_b32_e32 v11, v10
	ds_write_b64 v9, v[10:11] offset:4224
; %bb.21:
	s_andn2_saveexec_b64 s[6:7], s[6:7]
	s_cbranch_execz .LBB12_23
; %bb.22:
	s_lshl_b64 s[8:9], s[40:41], 7
	v_lshl_add_u64 v[10:11], v[6:7], 0, s[8:9]
	global_load_dwordx2 v[10:11], v[10:11], off
	v_add_u32_e32 v9, v5, v1
	s_waitcnt vmcnt(0)
	ds_write_b64 v9, v[10:11] offset:4224
.LBB12_23:
	s_or_b64 exec, exec, s[6:7]
	v_add_u32_e32 v9, 24, v8
	v_cmp_le_i32_e64 s[6:7], s24, v9
	s_and_saveexec_b64 s[8:9], s[6:7]
	s_xor_b64 s[6:7], exec, s[8:9]
; %bb.24:
	v_mov_b32_e32 v10, 0
	v_add_u32_e32 v1, v5, v1
	v_mov_b32_e32 v11, v10
	ds_write_b64 v1, v[10:11] offset:6336
                                        ; implicit-def: $vgpr5
                                        ; implicit-def: $vgpr1
; %bb.25:
	s_andn2_saveexec_b64 s[6:7], s[6:7]
	s_cbranch_execz .LBB12_27
; %bb.26:
	v_mov_b32_e32 v9, 0xc0
	v_mad_u64_u32 v[10:11], s[8:9], s40, v9, v[6:7]
	s_mul_i32 s8, s41, 0xc0
	s_nop 0
	v_add_u32_e32 v11, s8, v11
	global_load_dwordx2 v[10:11], v[10:11], off
	v_add_u32_e32 v1, v5, v1
	s_waitcnt vmcnt(0)
	ds_write_b64 v1, v[10:11] offset:6336
.LBB12_27:
	s_or_b64 exec, exec, s[6:7]
	v_mov_b32_e32 v5, 0
	v_lshl_add_u64 v[4:5], v[6:7], 0, v[4:5]
	s_lshl_b64 s[6:7], s[24:25], 3
	v_mov_b32_e32 v1, s7
	v_subrev_co_u32_e64 v4, s[6:7], s6, v4
	s_nop 1
	v_subb_co_u32_e64 v5, s[6:7], v5, v1, s[6:7]
	v_lshl_add_u64 v[4:5], v[4:5], 0, 8
	v_cndmask_b32_e32 v3, v5, v3, vcc
	v_cndmask_b32_e32 v2, v4, v2, vcc
.LBB12_28:
	v_lshlrev_b32_e32 v9, 2, v8
	v_lshlrev_b32_e32 v10, 3, v0
	v_mul_u32_u24_e32 v1, 0x108, v0
	v_cmp_ge_u32_e64 s[8:9], v9, v0
	s_mov_b64 s[6:7], 0
	s_waitcnt lgkmcnt(0)
	s_barrier
                                        ; implicit-def: $vgpr5
	s_and_saveexec_b64 s[10:11], s[8:9]
	s_xor_b64 s[10:11], exec, s[10:11]
	s_cbranch_execz .LBB12_32
; %bb.29:
	v_cmp_eq_u32_e32 vcc, v9, v0
                                        ; implicit-def: $vgpr5
	s_and_saveexec_b64 s[12:13], vcc
	s_xor_b64 s[12:13], exec, s[12:13]
; %bb.30:
	s_mov_b64 s[6:7], exec
	v_add_u32_e32 v5, v10, v1
; %bb.31:
	s_or_b64 exec, exec, s[12:13]
	s_and_b64 s[6:7], s[6:7], exec
.LBB12_32:
	s_or_saveexec_b64 s[10:11], s[10:11]
	v_lshl_or_b32 v4, v0, 8, v10
	v_mov_b32_e32 v6, 0
	s_xor_b64 exec, exec, s[10:11]
	s_cbranch_execz .LBB12_34
; %bb.33:
	s_movk_i32 s12, 0x420
	v_mad_u32_u24 v5, v8, s12, v10
	ds_read_b64 v[12:13], v5
	v_lshl_add_u32 v5, v9, 3, v4
	s_or_b64 s[6:7], s[6:7], exec
	s_waitcnt lgkmcnt(0)
	v_xor_b32_e32 v6, 0x80000000, v13
	ds_write_b32 v5, v12
.LBB12_34:
	s_or_b64 exec, exec, s[10:11]
	s_and_saveexec_b64 s[10:11], s[6:7]
; %bb.35:
	ds_write_b32 v5, v6 offset:4
; %bb.36:
	s_or_b64 exec, exec, s[10:11]
	v_or_b32_e32 v11, 1, v9
	v_cmp_ge_u32_e64 s[10:11], v11, v0
	s_mov_b64 s[6:7], 0
                                        ; implicit-def: $vgpr5
	s_and_saveexec_b64 s[12:13], s[10:11]
	s_xor_b64 s[12:13], exec, s[12:13]
	s_cbranch_execnz .LBB12_96
; %bb.37:
	s_or_saveexec_b64 s[12:13], s[12:13]
	v_mov_b32_e32 v6, 0
	s_xor_b64 exec, exec, s[12:13]
	s_cbranch_execnz .LBB12_99
.LBB12_38:
	s_or_b64 exec, exec, s[12:13]
	s_and_saveexec_b64 s[12:13], s[6:7]
.LBB12_39:
	ds_write_b32 v5, v6 offset:4
.LBB12_40:
	s_or_b64 exec, exec, s[12:13]
	v_or_b32_e32 v12, 2, v9
	v_cmp_ge_u32_e64 s[12:13], v12, v0
	s_mov_b64 s[6:7], 0
                                        ; implicit-def: $vgpr5
	s_and_saveexec_b64 s[14:15], s[12:13]
	s_xor_b64 s[14:15], exec, s[14:15]
	s_cbranch_execnz .LBB12_100
; %bb.41:
	s_or_saveexec_b64 s[14:15], s[14:15]
	v_mov_b32_e32 v6, 0
	s_xor_b64 exec, exec, s[14:15]
	s_cbranch_execnz .LBB12_103
.LBB12_42:
	s_or_b64 exec, exec, s[14:15]
	s_and_saveexec_b64 s[14:15], s[6:7]
.LBB12_43:
	ds_write_b32 v5, v6 offset:4
.LBB12_44:
	s_or_b64 exec, exec, s[14:15]
	v_or_b32_e32 v13, 3, v9
	v_cmp_ge_u32_e64 s[14:15], v13, v0
	s_mov_b64 s[6:7], 0
                                        ; implicit-def: $vgpr5
	s_and_saveexec_b64 s[16:17], s[14:15]
	s_xor_b64 s[16:17], exec, s[16:17]
	s_cbranch_execnz .LBB12_104
; %bb.45:
	s_or_saveexec_b64 s[16:17], s[16:17]
	v_mov_b32_e32 v6, 0
	s_xor_b64 exec, exec, s[16:17]
	s_cbranch_execnz .LBB12_107
.LBB12_46:
	s_or_b64 exec, exec, s[16:17]
	s_and_saveexec_b64 s[16:17], s[6:7]
.LBB12_47:
	ds_write_b32 v5, v6 offset:4
.LBB12_48:
	s_or_b64 exec, exec, s[16:17]
	s_movk_i32 s6, 0x420
	v_mad_u32_u24 v15, v8, s6, v10
	s_movk_i32 s6, 0x108
	v_mad_u32_u24 v25, v11, s6, v10
	s_waitcnt lgkmcnt(0)
	s_barrier
	v_lshlrev_b32_e32 v14, 3, v9
	ds_read2_b64 v[4:7], v25 offset1:33
	ds_read_b64 v[20:21], v15
	ds_read_b128 v[26:29], v14 offset:9088
	ds_read_b64 v[30:31], v25 offset:528
	ds_read_b128 v[36:39], v14 offset:9104
	v_mul_u32_u24_e32 v23, 33, v0
	v_lshlrev_b32_e32 v23, 3, v23
	v_lshl_add_u32 v24, v8, 3, v23
	s_waitcnt lgkmcnt(2)
	v_pk_mul_f32 v[34:35], v[26:27], v[20:21] op_sel:[1,1] op_sel_hi:[0,1]
	v_pk_fma_f32 v[40:41], v[26:27], v[20:21], v[34:35] neg_lo:[0,0,1] neg_hi:[0,0,1]
	v_pk_fma_f32 v[20:21], v[26:27], v[20:21], v[34:35] op_sel_hi:[1,0,1]
	v_pk_mul_f32 v[26:27], v[28:29], v[4:5] op_sel:[1,1] op_sel_hi:[0,1]
	v_mov_b32_e32 v41, v21
	v_pk_add_f32 v[20:21], v[40:41], 0 op_sel_hi:[1,0]
	v_pk_fma_f32 v[40:41], v[28:29], v[4:5], v[26:27] neg_lo:[0,0,1] neg_hi:[0,0,1]
	v_pk_fma_f32 v[4:5], v[28:29], v[4:5], v[26:27] op_sel_hi:[1,0,1]
	v_mov_b32_e32 v34, 0
	v_mov_b32_e32 v41, v5
	v_pk_add_f32 v[4:5], v[20:21], v[40:41]
	s_waitcnt lgkmcnt(0)
	v_pk_mul_f32 v[20:21], v[36:37], v[6:7] op_sel:[1,1] op_sel_hi:[0,1]
	v_pk_fma_f32 v[26:27], v[36:37], v[6:7], v[20:21] neg_lo:[0,0,1] neg_hi:[0,0,1]
	v_pk_fma_f32 v[6:7], v[36:37], v[6:7], v[20:21] op_sel_hi:[1,0,1]
	v_mov_b32_e32 v35, v34
	v_mov_b32_e32 v27, v7
	v_pk_mul_f32 v[6:7], v[38:39], v[30:31] op_sel:[1,1] op_sel_hi:[0,1]
	v_pk_fma_f32 v[20:21], v[38:39], v[30:31], v[6:7] neg_lo:[0,0,1] neg_hi:[0,0,1]
	v_pk_fma_f32 v[6:7], v[38:39], v[30:31], v[6:7] op_sel_hi:[1,0,1]
	v_pk_add_f32 v[4:5], v[4:5], v[26:27]
	v_mov_b32_e32 v21, v7
	v_pk_add_f32 v[4:5], v[4:5], v[20:21]
	v_cmp_gt_u32_e64 s[6:7], 32, v22
	s_barrier
	ds_write_b64 v24, v[4:5]
	s_waitcnt lgkmcnt(0)
	s_barrier
	s_and_saveexec_b64 s[16:17], s[6:7]
	s_cbranch_execz .LBB12_50
; %bb.49:
	ds_read2_b64 v[4:7], v23 offset1:7
	ds_read2_b64 v[26:29], v23 offset0:1 offset1:2
	ds_read2_b64 v[34:37], v23 offset0:3 offset1:4
	s_waitcnt lgkmcnt(1)
	v_add_f32_e32 v4, v26, v4
	v_add_f32_e32 v5, v27, v5
	;; [unrolled: 1-line block ×4, first 2 shown]
	ds_read2_b64 v[26:29], v23 offset0:5 offset1:6
	s_waitcnt lgkmcnt(1)
	v_add_f32_e32 v4, v4, v34
	v_add_f32_e32 v5, v5, v35
	;; [unrolled: 1-line block ×4, first 2 shown]
	s_waitcnt lgkmcnt(0)
	v_add_f32_e32 v4, v4, v26
	v_add_f32_e32 v5, v5, v27
	;; [unrolled: 1-line block ×4, first 2 shown]
	v_pk_add_f32 v[34:35], v[4:5], v[6:7]
.LBB12_50:
	s_or_b64 exec, exec, s[16:17]
	s_lshl_b64 s[22:23], s[40:41], 8
	v_lshl_add_u64 v[6:7], v[2:3], 0, s[22:23]
	v_cndmask_b32_e64 v2, 0, 1, s[20:21]
	s_mov_b64 s[34:35], 0x100
	v_cmp_ne_u32_e64 s[16:17], 1, v2
	s_andn2_b64 vcc, exec, s[20:21]
	s_mov_b64 s[20:21], -1
	s_barrier
	s_cbranch_vccnz .LBB12_52
; %bb.51:
	s_lshl_b64 s[20:21], s[40:41], 6
	v_lshl_add_u64 v[2:3], v[6:7], 0, s[20:21]
	v_lshl_add_u64 v[4:5], v[2:3], 0, s[20:21]
	;; [unrolled: 1-line block ×3, first 2 shown]
	global_load_dwordx2 v[26:27], v[6:7], off offset:256
	global_load_dwordx2 v[28:29], v[2:3], off offset:256
	;; [unrolled: 1-line block ×4, first 2 shown]
	s_movk_i32 s20, 0x108
	v_mad_u32_u24 v2, v8, s20, v10
	s_mov_b64 s[20:21], 0
	s_waitcnt vmcnt(3)
	ds_write_b64 v2, v[26:27]
	s_waitcnt vmcnt(2)
	ds_write_b64 v2, v[28:29] offset:2112
	s_waitcnt vmcnt(1)
	ds_write_b64 v2, v[30:31] offset:4224
	;; [unrolled: 2-line block ×3, first 2 shown]
.LBB12_52:
	s_andn2_b64 vcc, exec, s[20:21]
	v_lshl_add_u64 v[2:3], v[6:7], 0, s[34:35]
	s_cbranch_vccnz .LBB12_68
; %bb.53:
	v_lshlrev_b32_e32 v4, 3, v0
	v_sub_co_u32_e32 v6, vcc, v6, v4
	s_ashr_i32 s25, s24, 31
	s_nop 0
	v_subbrev_co_u32_e32 v7, vcc, 0, v7, vcc
	v_or_b32_e32 v5, 32, v0
	v_lshl_add_u64 v[6:7], s[24:25], 3, v[6:7]
	v_mov_b32_e32 v20, 0
	v_lshl_add_u64 v[6:7], v[6:7], 0, -8
	v_cmp_gt_i32_e32 vcc, s24, v5
	s_sub_i32 s36, s24, 32
	v_cmp_gt_i32_e64 s[20:21], s36, v8
	v_cndmask_b32_e32 v7, v7, v3, vcc
	v_cndmask_b32_e32 v6, v6, v2, vcc
	v_mov_b32_e32 v21, v20
	s_and_saveexec_b64 s[34:35], s[20:21]
	s_cbranch_execz .LBB12_55
; %bb.54:
	global_load_dwordx2 v[20:21], v[6:7], off
.LBB12_55:
	s_or_b64 exec, exec, s[34:35]
	s_movk_i32 s20, 0x108
	v_mad_u32_u24 v15, v8, s20, v10
	s_waitcnt vmcnt(0)
	ds_write_b64 v15, v[20:21]
	v_add_u32_e32 v15, 8, v8
	v_mul_u32_u24_e32 v5, 0x108, v8
	v_cmp_le_i32_e64 s[20:21], s36, v15
	s_and_saveexec_b64 s[34:35], s[20:21]
	s_xor_b64 s[20:21], exec, s[34:35]
; %bb.56:
	v_mov_b32_e32 v20, 0
	v_add_u32_e32 v15, v5, v10
	v_mov_b32_e32 v21, v20
	ds_write_b64 v15, v[20:21] offset:2112
; %bb.57:
	s_andn2_saveexec_b64 s[20:21], s[20:21]
	s_cbranch_execz .LBB12_59
; %bb.58:
	s_lshl_b64 s[34:35], s[40:41], 6
	v_lshl_add_u64 v[20:21], v[6:7], 0, s[34:35]
	global_load_dwordx2 v[20:21], v[20:21], off
	v_add_u32_e32 v15, v5, v10
	s_waitcnt vmcnt(0)
	ds_write_b64 v15, v[20:21] offset:2112
.LBB12_59:
	s_or_b64 exec, exec, s[20:21]
	v_add_u32_e32 v15, 16, v8
	v_cmp_le_i32_e64 s[20:21], s36, v15
	s_and_saveexec_b64 s[34:35], s[20:21]
	s_xor_b64 s[20:21], exec, s[34:35]
; %bb.60:
	v_mov_b32_e32 v20, 0
	v_add_u32_e32 v15, v5, v10
	v_mov_b32_e32 v21, v20
	ds_write_b64 v15, v[20:21] offset:4224
; %bb.61:
	s_andn2_saveexec_b64 s[20:21], s[20:21]
	s_cbranch_execz .LBB12_63
; %bb.62:
	s_lshl_b64 s[34:35], s[40:41], 7
	v_lshl_add_u64 v[20:21], v[6:7], 0, s[34:35]
	global_load_dwordx2 v[20:21], v[20:21], off
	v_add_u32_e32 v15, v5, v10
	s_waitcnt vmcnt(0)
	ds_write_b64 v15, v[20:21] offset:4224
.LBB12_63:
	s_or_b64 exec, exec, s[20:21]
	v_add_u32_e32 v15, 24, v8
	v_cmp_le_i32_e64 s[20:21], s36, v15
	s_and_saveexec_b64 s[34:35], s[20:21]
	s_xor_b64 s[20:21], exec, s[34:35]
; %bb.64:
	v_mov_b32_e32 v20, 0
	v_add_u32_e32 v5, v5, v10
	v_mov_b32_e32 v21, v20
	ds_write_b64 v5, v[20:21] offset:6336
                                        ; implicit-def: $vgpr5
; %bb.65:
	s_andn2_saveexec_b64 s[20:21], s[20:21]
	s_cbranch_execz .LBB12_67
; %bb.66:
	v_mov_b32_e32 v15, 0xc0
	v_mad_u64_u32 v[20:21], s[34:35], s40, v15, v[6:7]
	s_mul_i32 s34, s41, 0xc0
	s_nop 0
	v_add_u32_e32 v21, s34, v21
	global_load_dwordx2 v[20:21], v[20:21], off
	v_add_u32_e32 v5, v5, v10
	s_waitcnt vmcnt(0)
	ds_write_b64 v5, v[20:21] offset:6336
.LBB12_67:
	s_or_b64 exec, exec, s[20:21]
	v_mov_b32_e32 v5, 0
	v_lshl_add_u64 v[4:5], v[6:7], 0, v[4:5]
	s_lshl_b64 s[20:21], s[24:25], 3
	v_mov_b32_e32 v6, s21
	v_subrev_co_u32_e64 v4, s[20:21], s20, v4
	s_nop 1
	v_subb_co_u32_e64 v5, s[20:21], v5, v6, s[20:21]
	s_mov_b64 s[20:21], 0x108
	s_nop 0
	v_lshl_add_u64 v[4:5], v[4:5], 0, s[20:21]
	v_cndmask_b32_e32 v3, v5, v3, vcc
	v_cndmask_b32_e32 v2, v4, v2, vcc
.LBB12_68:
	v_mul_u32_u24_e32 v5, 0x420, v8
	v_add_u32_e32 v4, 0x2380, v14
	v_mul_u32_u24_e32 v6, 0x108, v11
	s_lshl_b64 s[20:21], s[40:41], 5
	s_mov_b64 s[34:35], 0
	s_waitcnt lgkmcnt(0)
	s_barrier
                                        ; implicit-def: $vgpr7
	s_and_saveexec_b64 s[36:37], s[8:9]
	s_xor_b64 s[8:9], exec, s[36:37]
	s_cbranch_execz .LBB12_72
; %bb.69:
	v_cmp_eq_u32_e32 vcc, v9, v0
                                        ; implicit-def: $vgpr7
	s_and_saveexec_b64 s[36:37], vcc
	s_xor_b64 s[36:37], exec, s[36:37]
; %bb.70:
	s_mov_b64 s[34:35], exec
	v_add_u32_e32 v7, v10, v1
; %bb.71:
	s_or_b64 exec, exec, s[36:37]
	s_and_b64 s[34:35], s[34:35], exec
.LBB12_72:
	s_or_saveexec_b64 s[8:9], s[8:9]
	v_mov_b32_e32 v14, 0
	v_add_u32_e32 v5, v10, v5
	s_xor_b64 exec, exec, s[8:9]
	s_cbranch_execz .LBB12_74
; %bb.73:
	ds_read_b64 v[20:21], v5
	v_lshl_add_u32 v7, v9, 3, v23
	s_or_b64 s[34:35], s[34:35], exec
	s_waitcnt lgkmcnt(0)
	v_xor_b32_e32 v14, 0x80000000, v21
	ds_write_b32 v7, v20
.LBB12_74:
	s_or_b64 exec, exec, s[8:9]
	s_and_saveexec_b64 s[8:9], s[34:35]
; %bb.75:
	ds_write_b32 v7, v14 offset:4
; %bb.76:
	s_or_b64 exec, exec, s[8:9]
	s_mov_b64 s[8:9], 0
                                        ; implicit-def: $vgpr7
	s_and_saveexec_b64 s[34:35], s[10:11]
	s_xor_b64 s[10:11], exec, s[34:35]
	s_cbranch_execz .LBB12_80
; %bb.77:
	v_cmp_eq_u32_e32 vcc, v11, v0
                                        ; implicit-def: $vgpr7
	s_and_saveexec_b64 s[34:35], vcc
; %bb.78:
	s_mov_b64 s[8:9], exec
	v_add_u32_e32 v7, v10, v1
; %bb.79:
	s_or_b64 exec, exec, s[34:35]
	s_and_b64 s[8:9], s[8:9], exec
.LBB12_80:
	s_or_saveexec_b64 s[10:11], s[10:11]
	v_mov_b32_e32 v11, 0
	v_add_u32_e32 v6, v10, v6
	s_xor_b64 exec, exec, s[10:11]
	s_cbranch_execz .LBB12_82
; %bb.81:
	ds_read_b64 v[14:15], v6
	v_lshl_add_u32 v20, v9, 3, v23
	v_add_u32_e32 v7, 8, v20
	s_or_b64 s[8:9], s[8:9], exec
	s_waitcnt lgkmcnt(0)
	v_xor_b32_e32 v11, 0x80000000, v15
	ds_write_b32 v20, v14 offset:8
.LBB12_82:
	s_or_b64 exec, exec, s[10:11]
	s_and_saveexec_b64 s[10:11], s[8:9]
; %bb.83:
	ds_write_b32 v7, v11 offset:4
; %bb.84:
	s_or_b64 exec, exec, s[10:11]
	s_mov_b64 s[8:9], 0
                                        ; implicit-def: $vgpr7
	s_and_saveexec_b64 s[10:11], s[12:13]
	s_xor_b64 s[10:11], exec, s[10:11]
	s_cbranch_execnz .LBB12_108
; %bb.85:
	s_or_saveexec_b64 s[10:11], s[10:11]
	v_mov_b32_e32 v11, 0
	s_xor_b64 exec, exec, s[10:11]
	s_cbranch_execnz .LBB12_111
.LBB12_86:
	s_or_b64 exec, exec, s[10:11]
	s_and_saveexec_b64 s[10:11], s[8:9]
.LBB12_87:
	ds_write_b32 v7, v11 offset:4
.LBB12_88:
	s_or_b64 exec, exec, s[10:11]
	s_mov_b64 s[8:9], 0
                                        ; implicit-def: $vgpr7
	s_and_saveexec_b64 s[10:11], s[14:15]
	s_xor_b64 s[10:11], exec, s[10:11]
	s_cbranch_execnz .LBB12_112
; %bb.89:
	s_or_saveexec_b64 s[10:11], s[10:11]
	v_mov_b32_e32 v1, 0
	s_xor_b64 exec, exec, s[10:11]
	s_cbranch_execnz .LBB12_115
.LBB12_90:
	s_or_b64 exec, exec, s[10:11]
	s_and_saveexec_b64 s[10:11], s[8:9]
.LBB12_91:
	ds_write_b32 v7, v1 offset:4
.LBB12_92:
	s_or_b64 exec, exec, s[10:11]
	s_waitcnt lgkmcnt(0)
	s_barrier
	ds_read_b64 v[20:21], v5
	ds_read_b128 v[12:15], v4 offset:256
	ds_read2_b64 v[26:29], v6 offset1:33
	ds_read_b64 v[6:7], v6 offset:528
	ds_read_b128 v[36:39], v4 offset:272
	v_cmp_eq_u32_e64 s[8:9], 1, v8
	s_waitcnt lgkmcnt(3)
	v_pk_mul_f32 v[30:31], v[12:13], v[20:21] op_sel:[1,1] op_sel_hi:[0,1]
	v_pk_fma_f32 v[40:41], v[12:13], v[20:21], v[30:31] neg_lo:[0,0,1] neg_hi:[0,0,1]
	v_pk_fma_f32 v[12:13], v[12:13], v[20:21], v[30:31] op_sel_hi:[1,0,1]
	s_waitcnt lgkmcnt(2)
	v_pk_mul_f32 v[20:21], v[14:15], v[26:27] op_sel:[1,1] op_sel_hi:[0,1]
	v_pk_fma_f32 v[30:31], v[14:15], v[26:27], v[20:21] neg_lo:[0,0,1] neg_hi:[0,0,1]
	v_pk_fma_f32 v[14:15], v[14:15], v[26:27], v[20:21] op_sel_hi:[1,0,1]
	v_mov_b32_e32 v41, v13
	v_mov_b32_e32 v31, v15
	s_waitcnt lgkmcnt(0)
	v_pk_mul_f32 v[14:15], v[36:37], v[28:29] op_sel:[1,1] op_sel_hi:[0,1]
	v_pk_add_f32 v[12:13], v[40:41], 0 op_sel_hi:[1,0]
	v_pk_fma_f32 v[20:21], v[36:37], v[28:29], v[14:15] neg_lo:[0,0,1] neg_hi:[0,0,1]
	v_pk_fma_f32 v[14:15], v[36:37], v[28:29], v[14:15] op_sel_hi:[1,0,1]
	v_pk_add_f32 v[12:13], v[12:13], v[30:31]
	v_mov_b32_e32 v21, v15
	v_pk_mul_f32 v[14:15], v[38:39], v[6:7] op_sel:[1,1] op_sel_hi:[0,1]
	v_pk_add_f32 v[12:13], v[12:13], v[20:21]
	v_pk_fma_f32 v[20:21], v[38:39], v[6:7], v[14:15] neg_lo:[0,0,1] neg_hi:[0,0,1]
	v_pk_fma_f32 v[6:7], v[38:39], v[6:7], v[14:15] op_sel_hi:[1,0,1]
	s_nop 0
	v_mov_b32_e32 v21, v7
	v_pk_add_f32 v[6:7], v[12:13], v[20:21]
	s_barrier
	ds_write_b64 v24, v[6:7]
	s_waitcnt lgkmcnt(0)
	s_barrier
	s_and_saveexec_b64 s[10:11], s[8:9]
	s_cbranch_execz .LBB12_94
; %bb.93:
	ds_read2_b64 v[12:15], v23 offset1:7
	ds_read2_b64 v[26:29], v23 offset0:1 offset1:2
	ds_read2_b64 v[34:37], v23 offset0:3 offset1:4
	s_waitcnt lgkmcnt(1)
	v_add_f32_e32 v1, v26, v12
	v_add_f32_e32 v5, v27, v13
	;; [unrolled: 1-line block ×4, first 2 shown]
	ds_read2_b64 v[26:29], v23 offset0:5 offset1:6
	s_waitcnt lgkmcnt(1)
	v_add_f32_e32 v1, v1, v34
	v_add_f32_e32 v5, v5, v35
	;; [unrolled: 1-line block ×4, first 2 shown]
	s_waitcnt lgkmcnt(0)
	v_add_f32_e32 v6, v1, v26
	v_add_f32_e32 v7, v5, v27
	v_pk_add_f32 v[6:7], v[6:7], v[28:29]
	s_nop 0
	v_pk_add_f32 v[34:35], v[6:7], v[14:15]
.LBB12_94:
	s_or_b64 exec, exec, s[10:11]
	s_lshl_b64 s[10:11], s[20:21], 3
	v_mov_b32_e32 v1, s11
	v_subrev_co_u32_e64 v20, s[10:11], s10, v2
	s_and_b64 vcc, exec, s[16:17]
	s_nop 0
	v_subb_co_u32_e64 v21, s[10:11], v3, v1, s[10:11]
	s_barrier
	s_cbranch_vccnz .LBB12_116
; %bb.95:
	s_lshl_b64 s[10:11], s[40:41], 6
	v_lshl_add_u64 v[2:3], v[20:21], 0, s[10:11]
	v_lshl_add_u64 v[6:7], v[2:3], 0, s[10:11]
	;; [unrolled: 1-line block ×3, first 2 shown]
	global_load_dwordx2 v[14:15], v[20:21], off
	global_load_dwordx2 v[26:27], v[2:3], off
	;; [unrolled: 1-line block ×4, first 2 shown]
	s_movk_i32 s10, 0x108
	v_mov_b32_e32 v1, 0x840
	v_mov_b32_e32 v2, 0x1080
	;; [unrolled: 1-line block ×3, first 2 shown]
	v_mul_u32_u24_e32 v5, 0x108, v8
	v_add_u32_e32 v6, 8, v8
	v_add_u32_e32 v7, 16, v8
	v_add_u32_e32 v11, 24, v8
	v_mad_u32_u24 v13, v8, s10, v10
	v_mad_u32_u24 v1, v8, s10, v1
	;; [unrolled: 1-line block ×4, first 2 shown]
	v_add_u32_e32 v3, v10, v1
	v_add_u32_e32 v25, v10, v2
	;; [unrolled: 1-line block ×3, first 2 shown]
	s_waitcnt vmcnt(3)
	ds_write_b64 v13, v[14:15]
	s_waitcnt vmcnt(2)
	ds_write_b64 v3, v[26:27]
	;; [unrolled: 2-line block ×4, first 2 shown]
	s_cbranch_execz .LBB12_117
	s_branch .LBB12_132
.LBB12_96:
	v_cmp_eq_u32_e32 vcc, v11, v0
                                        ; implicit-def: $vgpr5
	s_and_saveexec_b64 s[14:15], vcc
; %bb.97:
	s_mov_b64 s[6:7], exec
	v_add_u32_e32 v5, v10, v1
; %bb.98:
	s_or_b64 exec, exec, s[14:15]
	s_and_b64 s[6:7], s[6:7], exec
	s_or_saveexec_b64 s[12:13], s[12:13]
	v_mov_b32_e32 v6, 0
	s_xor_b64 exec, exec, s[12:13]
	s_cbranch_execz .LBB12_38
.LBB12_99:
	s_movk_i32 s14, 0x108
	v_mad_u32_u24 v5, v11, s14, v10
	ds_read_b64 v[12:13], v5
	v_lshl_add_u32 v7, v9, 3, v4
	v_add_u32_e32 v5, 8, v7
	s_or_b64 s[6:7], s[6:7], exec
	s_waitcnt lgkmcnt(0)
	v_xor_b32_e32 v6, 0x80000000, v13
	ds_write_b32 v7, v12 offset:8
	s_or_b64 exec, exec, s[12:13]
	s_and_saveexec_b64 s[12:13], s[6:7]
	s_cbranch_execnz .LBB12_39
	s_branch .LBB12_40
.LBB12_100:
	v_cmp_eq_u32_e32 vcc, v12, v0
                                        ; implicit-def: $vgpr5
	s_and_saveexec_b64 s[16:17], vcc
; %bb.101:
	s_mov_b64 s[6:7], exec
	v_add_u32_e32 v5, v10, v1
; %bb.102:
	s_or_b64 exec, exec, s[16:17]
	s_and_b64 s[6:7], s[6:7], exec
	s_or_saveexec_b64 s[14:15], s[14:15]
	v_mov_b32_e32 v6, 0
	s_xor_b64 exec, exec, s[14:15]
	s_cbranch_execz .LBB12_42
.LBB12_103:
	s_movk_i32 s16, 0x108
	v_mad_u32_u24 v5, v12, s16, v10
	ds_read_b64 v[14:15], v5
	v_lshl_add_u32 v7, v9, 3, v4
	v_add_u32_e32 v5, 16, v7
	s_or_b64 s[6:7], s[6:7], exec
	s_waitcnt lgkmcnt(0)
	v_xor_b32_e32 v6, 0x80000000, v15
	ds_write_b32 v7, v14 offset:16
	s_or_b64 exec, exec, s[14:15]
	s_and_saveexec_b64 s[14:15], s[6:7]
	s_cbranch_execnz .LBB12_43
	s_branch .LBB12_44
.LBB12_104:
	v_cmp_eq_u32_e32 vcc, v13, v0
                                        ; implicit-def: $vgpr5
	s_and_saveexec_b64 s[22:23], vcc
; %bb.105:
	s_mov_b64 s[6:7], exec
	v_add_u32_e32 v5, v10, v1
; %bb.106:
	s_or_b64 exec, exec, s[22:23]
	s_and_b64 s[6:7], s[6:7], exec
                                        ; implicit-def: $vgpr4
	s_or_saveexec_b64 s[16:17], s[16:17]
	v_mov_b32_e32 v6, 0
	s_xor_b64 exec, exec, s[16:17]
	s_cbranch_execz .LBB12_46
.LBB12_107:
	s_movk_i32 s22, 0x108
	v_mad_u32_u24 v5, v13, s22, v10
	ds_read_b64 v[14:15], v5
	v_lshl_add_u32 v4, v9, 3, v4
	v_add_u32_e32 v5, 24, v4
	s_or_b64 s[6:7], s[6:7], exec
	s_waitcnt lgkmcnt(0)
	v_xor_b32_e32 v6, 0x80000000, v15
	ds_write_b32 v4, v14 offset:24
	s_or_b64 exec, exec, s[16:17]
	s_and_saveexec_b64 s[16:17], s[6:7]
	s_cbranch_execnz .LBB12_47
	s_branch .LBB12_48
.LBB12_108:
	v_cmp_eq_u32_e32 vcc, v12, v0
                                        ; implicit-def: $vgpr7
	s_and_saveexec_b64 s[12:13], vcc
; %bb.109:
	s_mov_b64 s[8:9], exec
	v_add_u32_e32 v7, v10, v1
; %bb.110:
	s_or_b64 exec, exec, s[12:13]
	s_and_b64 s[8:9], s[8:9], exec
	s_or_saveexec_b64 s[10:11], s[10:11]
	v_mov_b32_e32 v11, 0
	s_xor_b64 exec, exec, s[10:11]
	s_cbranch_execz .LBB12_86
.LBB12_111:
	ds_read_b64 v[14:15], v6 offset:264
	v_lshl_add_u32 v12, v9, 3, v23
	v_add_u32_e32 v7, 16, v12
	s_or_b64 s[8:9], s[8:9], exec
	s_waitcnt lgkmcnt(0)
	v_xor_b32_e32 v11, 0x80000000, v15
	ds_write_b32 v12, v14 offset:16
	s_or_b64 exec, exec, s[10:11]
	s_and_saveexec_b64 s[10:11], s[8:9]
	s_cbranch_execnz .LBB12_87
	s_branch .LBB12_88
.LBB12_112:
	v_cmp_eq_u32_e32 vcc, v13, v0
                                        ; implicit-def: $vgpr7
	s_and_saveexec_b64 s[12:13], vcc
; %bb.113:
	s_mov_b64 s[8:9], exec
	v_add_u32_e32 v7, v10, v1
; %bb.114:
	s_or_b64 exec, exec, s[12:13]
	s_and_b64 s[8:9], s[8:9], exec
	s_or_saveexec_b64 s[10:11], s[10:11]
	v_mov_b32_e32 v1, 0
	s_xor_b64 exec, exec, s[10:11]
	s_cbranch_execz .LBB12_90
.LBB12_115:
	ds_read_b64 v[12:13], v6 offset:528
	v_lshl_add_u32 v11, v9, 3, v23
	v_add_u32_e32 v7, 24, v11
	s_or_b64 s[8:9], s[8:9], exec
	s_waitcnt lgkmcnt(0)
	v_xor_b32_e32 v1, 0x80000000, v13
	ds_write_b32 v11, v12 offset:24
	s_or_b64 exec, exec, s[10:11]
	s_and_saveexec_b64 s[10:11], s[8:9]
	s_cbranch_execnz .LBB12_91
	s_branch .LBB12_92
.LBB12_116:
                                        ; implicit-def: $vgpr5
                                        ; implicit-def: $vgpr6
                                        ; implicit-def: $vgpr1
                                        ; implicit-def: $vgpr7
                                        ; implicit-def: $vgpr2
                                        ; implicit-def: $vgpr11
                                        ; implicit-def: $vgpr12
.LBB12_117:
	v_or_b32_e32 v1, 32, v0
	v_lshlrev_b32_e32 v0, 3, v0
	v_sub_co_u32_e32 v2, vcc, v20, v0
	s_ashr_i32 s25, s24, 31
	s_nop 0
	v_subbrev_co_u32_e32 v3, vcc, 0, v21, vcc
	s_movk_i32 s10, 0xfef8
	v_lshl_add_u64 v[2:3], s[24:25], 3, v[2:3]
	s_mov_b32 s11, -1
	v_mov_b32_e32 v6, 0
	v_lshl_add_u64 v[2:3], v[2:3], 0, s[10:11]
	v_cmp_gt_i32_e32 vcc, s24, v1
	v_cmp_gt_i32_e64 s[10:11], s24, v8
	v_mov_b32_e32 v7, v6
	v_cndmask_b32_e32 v3, v3, v21, vcc
	v_cndmask_b32_e32 v2, v2, v20, vcc
	s_and_saveexec_b64 s[12:13], s[10:11]
	s_cbranch_execz .LBB12_119
; %bb.118:
	global_load_dwordx2 v[6:7], v[2:3], off
.LBB12_119:
	s_or_b64 exec, exec, s[12:13]
	s_movk_i32 s10, 0x108
	v_mad_u32_u24 v1, v8, s10, v10
	s_waitcnt vmcnt(0)
	ds_write_b64 v1, v[6:7]
	v_add_u32_e32 v6, 8, v8
	v_mul_u32_u24_e32 v5, 0x108, v8
	v_cmp_le_i32_e64 s[10:11], s24, v6
	s_and_saveexec_b64 s[12:13], s[10:11]
	s_xor_b64 s[10:11], exec, s[12:13]
; %bb.120:
	v_mov_b32_e32 v12, 0
	v_add_u32_e32 v1, v5, v10
	v_mov_b32_e32 v13, v12
	ds_write_b64 v1, v[12:13] offset:2112
; %bb.121:
	s_andn2_saveexec_b64 s[10:11], s[10:11]
	s_cbranch_execz .LBB12_123
; %bb.122:
	s_lshl_b64 s[12:13], s[40:41], 6
	v_lshl_add_u64 v[12:13], v[2:3], 0, s[12:13]
	global_load_dwordx2 v[12:13], v[12:13], off
	v_add_u32_e32 v1, v5, v10
	s_waitcnt vmcnt(0)
	ds_write_b64 v1, v[12:13] offset:2112
.LBB12_123:
	s_or_b64 exec, exec, s[10:11]
	v_add_u32_e32 v7, 16, v8
	v_cmp_le_i32_e64 s[10:11], s24, v7
	s_and_saveexec_b64 s[12:13], s[10:11]
	s_xor_b64 s[10:11], exec, s[12:13]
; %bb.124:
	v_mov_b32_e32 v12, 0
	v_add_u32_e32 v1, v5, v10
	v_mov_b32_e32 v13, v12
	ds_write_b64 v1, v[12:13] offset:4224
; %bb.125:
	s_andn2_saveexec_b64 s[10:11], s[10:11]
	s_cbranch_execz .LBB12_127
; %bb.126:
	s_lshl_b64 s[12:13], s[40:41], 7
	v_lshl_add_u64 v[12:13], v[2:3], 0, s[12:13]
	global_load_dwordx2 v[12:13], v[12:13], off
	v_add_u32_e32 v1, v5, v10
	s_waitcnt vmcnt(0)
	ds_write_b64 v1, v[12:13] offset:4224
.LBB12_127:
	s_or_b64 exec, exec, s[10:11]
	v_add_u32_e32 v11, 24, v8
	v_cmp_le_i32_e64 s[10:11], s24, v11
                                        ; implicit-def: $vgpr12
	s_and_saveexec_b64 s[12:13], s[10:11]
	s_xor_b64 s[10:11], exec, s[12:13]
; %bb.128:
	v_add_u32_e32 v12, 0x18c0, v5
	v_mov_b32_e32 v14, 0
	v_add_u32_e32 v1, v10, v12
	v_mov_b32_e32 v15, v14
	ds_write_b64 v1, v[14:15]
; %bb.129:
	s_andn2_saveexec_b64 s[10:11], s[10:11]
	s_cbranch_execz .LBB12_131
; %bb.130:
	v_mov_b32_e32 v1, 0xc0
	v_mad_u64_u32 v[12:13], s[12:13], s40, v1, v[2:3]
	s_mul_i32 s12, s41, 0xc0
	s_nop 0
	v_add_u32_e32 v13, s12, v13
	global_load_dwordx2 v[14:15], v[12:13], off
	v_add_u32_e32 v12, 0x18c0, v5
	v_add_u32_e32 v1, v10, v12
	s_waitcnt vmcnt(0)
	ds_write_b64 v1, v[14:15]
.LBB12_131:
	s_or_b64 exec, exec, s[10:11]
	v_mov_b32_e32 v1, 0
	v_lshl_add_u64 v[0:1], v[2:3], 0, v[0:1]
	s_lshl_b64 s[10:11], s[24:25], 3
	v_mov_b32_e32 v2, s11
	v_subrev_co_u32_e64 v0, s[10:11], s10, v0
	s_nop 1
	v_subb_co_u32_e64 v1, s[10:11], v1, v2, s[10:11]
	s_mov_b64 s[10:11], 0x108
	s_nop 0
	v_lshl_add_u64 v[0:1], v[0:1], 0, s[10:11]
	v_cndmask_b32_e32 v21, v1, v21, vcc
	v_cndmask_b32_e32 v20, v0, v20, vcc
	v_add_u32_e32 v1, 0x840, v5
	v_add_u32_e32 v2, 0x1080, v5
.LBB12_132:
	v_lshlrev_b32_e32 v36, 3, v8
	v_add_u32_e32 v28, v10, v1
	v_lshlrev_b32_e32 v30, 3, v6
	v_add_u32_e32 v38, v10, v2
	;; [unrolled: 2-line block ×3, first 2 shown]
	v_lshlrev_b32_e32 v42, 3, v11
	v_lshl_add_u32 v0, v9, 3, v23
	s_waitcnt lgkmcnt(0)
	s_barrier
	v_add_u32_e32 v25, v10, v5
	ds_read2_b64 v[8:11], v0 offset1:1
	ds_read2_b64 v[0:3], v0 offset0:2 offset1:3
	ds_read_b128 v[12:15], v4 offset:256
	ds_read_b128 v[4:7], v4 offset:272
	ds_read_b64 v[26:27], v25
	ds_read_b64 v[28:29], v28
	ds_read_b64 v[30:31], v30 offset:9088
	ds_read_b64 v[36:37], v36 offset:9088
	ds_read_b64 v[38:39], v38
	ds_read2_b32 v[40:41], v40 offset1:1
	ds_read_b64 v[42:43], v42 offset:9088
	ds_read_b64 v[44:45], v44 offset:9088
	s_waitcnt lgkmcnt(4)
	v_pk_mul_f32 v[46:47], v[36:37], v[26:27] op_sel:[1,1] op_sel_hi:[0,1]
	v_pk_fma_f32 v[48:49], v[36:37], v[26:27], v[46:47] neg_lo:[0,0,1] neg_hi:[0,0,1]
	v_pk_fma_f32 v[26:27], v[36:37], v[26:27], v[46:47] op_sel_hi:[1,0,1]
	v_pk_mul_f32 v[36:37], v[30:31], v[28:29] op_sel:[1,1] op_sel_hi:[0,1]
	v_pk_fma_f32 v[46:47], v[30:31], v[28:29], v[36:37] neg_lo:[0,0,1] neg_hi:[0,0,1]
	v_pk_fma_f32 v[28:29], v[30:31], v[28:29], v[36:37] op_sel_hi:[1,0,1]
	v_mov_b32_e32 v49, v27
	v_mov_b32_e32 v47, v29
	s_waitcnt lgkmcnt(0)
	v_pk_mul_f32 v[28:29], v[44:45], v[38:39] op_sel:[1,1] op_sel_hi:[0,1]
	v_pk_add_f32 v[26:27], v[48:49], 0 op_sel_hi:[1,0]
	v_pk_fma_f32 v[30:31], v[44:45], v[38:39], v[28:29] neg_lo:[0,0,1] neg_hi:[0,0,1]
	v_pk_fma_f32 v[28:29], v[44:45], v[38:39], v[28:29] op_sel_hi:[1,0,1]
	v_pk_add_f32 v[26:27], v[26:27], v[46:47]
	v_mov_b32_e32 v31, v29
	v_pk_mul_f32 v[28:29], v[42:43], v[40:41] op_sel:[1,1] op_sel_hi:[0,1]
	v_pk_add_f32 v[26:27], v[26:27], v[30:31]
	v_pk_fma_f32 v[30:31], v[42:43], v[40:41], v[28:29] neg_lo:[0,0,1] neg_hi:[0,0,1]
	v_pk_fma_f32 v[28:29], v[42:43], v[40:41], v[28:29] op_sel_hi:[1,0,1]
	s_nop 0
	v_mov_b32_e32 v31, v29
	v_pk_add_f32 v[26:27], v[26:27], v[30:31]
	s_barrier
	ds_write_b64 v24, v[26:27]
	s_waitcnt lgkmcnt(0)
	s_barrier
	s_and_saveexec_b64 s[10:11], s[8:9]
	s_cbranch_execz .LBB12_134
; %bb.133:
	ds_read2_b64 v[26:29], v23 offset1:1
	ds_read2_b64 v[36:39], v23 offset0:2 offset1:3
	ds_read2_b64 v[40:43], v23 offset0:4 offset1:5
	s_waitcnt lgkmcnt(2)
	v_pk_add_f32 v[26:27], v[34:35], v[26:27]
	s_nop 0
	v_pk_add_f32 v[30:31], v[26:27], v[28:29]
	ds_read2_b64 v[26:29], v23 offset0:6 offset1:7
	s_waitcnt lgkmcnt(2)
	v_pk_add_f32 v[30:31], v[30:31], v[36:37]
	s_nop 0
	v_pk_add_f32 v[30:31], v[30:31], v[38:39]
	s_waitcnt lgkmcnt(1)
	v_pk_add_f32 v[30:31], v[30:31], v[40:41]
	s_nop 0
	v_pk_add_f32 v[30:31], v[30:31], v[42:43]
	;; [unrolled: 4-line block ×3, first 2 shown]
.LBB12_134:
	s_or_b64 exec, exec, s[10:11]
	v_pk_mul_f32 v[26:27], v[8:9], v[12:13] op_sel:[1,1] op_sel_hi:[1,0]
	s_nop 0
	v_pk_fma_f32 v[28:29], v[8:9], v[12:13], v[26:27]
	v_pk_fma_f32 v[8:9], v[8:9], v[12:13], v[26:27] op_sel_hi:[0,1,1] neg_lo:[0,0,1] neg_hi:[0,0,1]
	v_mov_b32_e32 v12, v11
	v_pk_mul_f32 v[12:13], v[12:13], v[14:15] op_sel:[0,1] op_sel_hi:[0,0]
	v_pk_fma_f32 v[26:27], v[10:11], v[14:15], v[12:13]
	v_pk_fma_f32 v[10:11], v[10:11], v[14:15], v[12:13] op_sel_hi:[0,1,1] neg_lo:[0,0,1] neg_hi:[0,0,1]
	v_mov_b32_e32 v29, v9
	v_mov_b32_e32 v27, v11
	v_pk_mul_f32 v[10:11], v[0:1], v[4:5] op_sel:[1,1] op_sel_hi:[1,0]
	v_pk_add_f32 v[8:9], v[28:29], 0 op_sel_hi:[1,0]
	v_pk_fma_f32 v[12:13], v[0:1], v[4:5], v[10:11]
	v_pk_fma_f32 v[0:1], v[0:1], v[4:5], v[10:11] op_sel_hi:[0,1,1] neg_lo:[0,0,1] neg_hi:[0,0,1]
	v_mov_b32_e32 v4, v3
	v_pk_add_f32 v[8:9], v[8:9], v[26:27]
	v_mov_b32_e32 v13, v1
	v_pk_mul_f32 v[4:5], v[4:5], v[6:7] op_sel:[0,1] op_sel_hi:[0,0]
	v_pk_add_f32 v[0:1], v[8:9], v[12:13]
	v_pk_fma_f32 v[8:9], v[2:3], v[6:7], v[4:5]
	v_pk_fma_f32 v[2:3], v[2:3], v[6:7], v[4:5] op_sel_hi:[0,1,1] neg_lo:[0,0,1] neg_hi:[0,0,1]
	v_mov_b32_e32 v9, v3
	v_pk_add_f32 v[0:1], v[0:1], v[8:9]
	s_barrier
	ds_write_b64 v24, v[0:1]
	s_waitcnt lgkmcnt(0)
	s_barrier
	s_and_saveexec_b64 s[8:9], s[6:7]
	s_cbranch_execz .LBB12_136
; %bb.135:
	ds_read2_b64 v[0:3], v23 offset1:1
	ds_read2_b64 v[4:7], v23 offset0:2 offset1:3
	ds_read2_b64 v[8:11], v23 offset0:4 offset1:5
	s_waitcnt lgkmcnt(2)
	v_pk_add_f32 v[0:1], v[34:35], v[0:1]
	s_nop 0
	v_pk_add_f32 v[12:13], v[0:1], v[2:3]
	ds_read2_b64 v[0:3], v23 offset0:6 offset1:7
	s_waitcnt lgkmcnt(2)
	v_pk_add_f32 v[4:5], v[12:13], v[4:5]
	s_nop 0
	v_pk_add_f32 v[4:5], v[4:5], v[6:7]
	s_waitcnt lgkmcnt(1)
	v_pk_add_f32 v[4:5], v[4:5], v[8:9]
	s_nop 0
	v_pk_add_f32 v[4:5], v[4:5], v[10:11]
	;; [unrolled: 4-line block ×3, first 2 shown]
.LBB12_136:
	s_or_b64 exec, exec, s[8:9]
	s_load_dwordx2 s[0:1], s[0:1], 0x68
	s_mul_hi_u32 s6, s33, s3
	s_mul_i32 s44, s44, s3
	s_add_i32 s6, s6, s44
	s_mul_i32 s3, s33, s3
	s_mul_i32 s6, s6, s52
	s_mul_hi_u32 s7, s3, s52
	s_add_i32 s7, s7, s6
	s_mul_i32 s6, s3, s52
	s_lshl_b64 s[6:7], s[6:7], 3
	s_waitcnt lgkmcnt(0)
	s_add_u32 s3, s0, s6
	s_mul_i32 s0, s33, s2
	s_addc_u32 s7, s1, s7
	s_ashr_i32 s1, s0, 31
	s_lshl_b64 s[0:1], s[0:1], 3
	s_add_u32 s6, s3, s0
	v_cmp_le_i32_e32 vcc, s24, v77
	s_addc_u32 s7, s7, s1
	s_and_b64 vcc, s[30:31], vcc
	s_cmp_lt_i32 s2, 1
	v_lshlrev_b32_e32 v36, 3, v77
	s_barrier
	s_cbranch_scc1 .LBB12_143
; %bb.137:
	s_mul_i32 s0, s48, s27
	s_mul_hi_u32 s1, s48, s26
	s_add_i32 s0, s1, s0
	s_mul_i32 s1, s49, s26
	s_add_i32 s1, s0, s1
	s_mul_i32 s0, s48, s26
	s_lshl_b64 s[0:1], s[0:1], 3
	v_mov_b32_e32 v0, s1
	v_subrev_co_u32_e64 v38, s[0:1], s0, v16
	v_lshlrev_b32_e32 v5, 2, v76
	s_nop 0
	v_subb_co_u32_e64 v39, s[0:1], v17, v0, s[0:1]
	s_lshl_b64 s[0:1], s[28:29], 3
	s_nop 0
	v_mov_b32_e32 v0, s1
	v_subrev_co_u32_e64 v2, s[0:1], s0, v20
	s_ashr_i32 s25, s24, 31
	s_nop 0
	v_subb_co_u32_e64 v3, s[0:1], v21, v0, s[0:1]
	v_lshlrev_b64 v[0:1], 3, v[18:19]
	v_sub_co_u32_e64 v0, s[0:1], v2, v0
	v_mov_b32_e32 v41, 0
	s_nop 0
	v_subb_co_u32_e64 v1, s[0:1], v3, v1, s[0:1]
	v_mad_u64_u32 v[2:3], s[0:1], s40, v5, 0
	v_mov_b32_e32 v4, v3
	v_mad_u64_u32 v[4:5], s[0:1], s41, v5, v[4:5]
	v_mov_b32_e32 v3, v4
	v_lshl_add_u64 v[0:1], v[2:3], 3, v[0:1]
	s_movk_i32 s0, 0xfef8
	v_lshl_add_u64 v[2:3], s[24:25], 3, v[0:1]
	s_mov_b32 s1, -1
	v_lshl_add_u64 v[2:3], v[2:3], 0, s[0:1]
	v_mov_b32_e32 v37, v41
	s_movk_i32 s0, 0xff00
	v_lshl_add_u64 v[0:1], v[0:1], 0, v[36:37]
	s_mov_b32 s1, -1
	v_lshl_add_u64 v[0:1], v[0:1], 0, s[0:1]
	v_cndmask_b32_e32 v43, v1, v3, vcc
	v_and_b32_e32 v1, 48, v77
	v_lshrrev_b32_e32 v6, 4, v22
	v_and_b32_e32 v7, 15, v77
	v_cndmask_b32_e32 v42, v0, v2, vcc
	v_mov_b32_e32 v0, 0x2180
	s_movk_i32 s3, 0x218
	v_lshlrev_b32_e32 v1, 3, v1
	v_lshl_add_u32 v78, v76, 5, v0
	v_lshlrev_b32_e32 v0, 5, v6
	v_mad_u32_u24 v82, v7, s3, v1
	v_or_b32_e32 v1, 0x78, v36
	v_mad_u32_u24 v81, v7, s3, v0
	v_mad_u32_u24 v83, v7, s3, v1
	s_mul_i32 s3, s41, 24
	s_mul_hi_u32 s14, s40, 24
	s_add_i32 s15, s14, s3
	s_mul_i32 s3, s41, 0x90
	s_mul_hi_u32 s16, s40, 0x90
	s_add_i32 s17, s16, s3
	;; [unrolled: 3-line block ×9, first 2 shown]
	s_mul_i32 s3, s41, 0x108
	s_mul_hi_u32 s33, s40, 0x108
	s_movk_i32 s0, 0x860
	v_mul_i32_i24_e32 v0, 0xffffffe8, v6
	s_add_i32 s39, s33, s3
	s_mul_i32 s3, s41, 0x88
	s_mul_hi_u32 s33, s40, 0x88
	v_add_u32_e32 v37, 0x2180, v36
	v_add_u32_e32 v79, 0x2380, v36
	v_mad_u32_u24 v80, v76, s0, v36
	v_cmp_gt_u32_e64 s[0:1], 64, v22
	s_lshl_b64 s[8:9], s[40:41], 3
	s_lshl_b64 s[10:11], s[40:41], 9
	;; [unrolled: 1-line block ×3, first 2 shown]
	s_mul_i32 s14, s40, 24
	s_mul_i32 s16, s40, 0x90
	;; [unrolled: 1-line block ×10, first 2 shown]
	s_add_i32 s43, s33, s3
	s_mul_i32 s42, s40, 0x88
	s_lshl_b64 s[40:41], s[40:41], 7
	s_mov_b32 s3, 0
	v_add_u32_e32 v84, v81, v0
	s_branch .LBB12_139
.LBB12_138:                             ;   in Loop: Header=BB12_139 Depth=1
	s_or_b64 exec, exec, s[44:45]
	v_pk_mul_f32 v[86:87], v[50:51], v[4:5] op_sel:[1,1] op_sel_hi:[0,1]
	v_mov_b32_e32 v40, v7
	v_pk_fma_f32 v[94:95], v[50:51], v[4:5], v[86:87] neg_lo:[0,0,1] neg_hi:[0,0,1]
	v_pk_fma_f32 v[4:5], v[50:51], v[4:5], v[86:87] op_sel_hi:[1,0,1]
	v_pk_mul_f32 v[88:89], v[48:49], v[40:41] op_sel:[1,0] op_sel_hi:[0,0]
	v_mov_b32_e32 v95, v5
	v_pk_mul_f32 v[90:91], v[46:47], v[0:1] op_sel:[1,1] op_sel_hi:[0,1]
	v_pk_add_f32 v[4:5], v[34:35], v[94:95]
	v_pk_fma_f32 v[34:35], v[48:49], v[6:7], v[88:89] neg_lo:[0,0,1] neg_hi:[0,0,1]
	v_pk_fma_f32 v[6:7], v[48:49], v[6:7], v[88:89] op_sel_hi:[1,0,1]
	v_mov_b32_e32 v40, v3
	v_mov_b32_e32 v35, v7
	v_pk_fma_f32 v[6:7], v[46:47], v[0:1], v[90:91] neg_lo:[0,0,1] neg_hi:[0,0,1]
	v_pk_fma_f32 v[0:1], v[46:47], v[0:1], v[90:91] op_sel_hi:[1,0,1]
	v_pk_mul_f32 v[92:93], v[44:45], v[40:41] op_sel:[1,0] op_sel_hi:[0,0]
	v_pk_add_f32 v[4:5], v[4:5], v[34:35]
	v_mov_b32_e32 v7, v1
	v_pk_add_f32 v[0:1], v[4:5], v[6:7]
	v_pk_fma_f32 v[4:5], v[44:45], v[2:3], v[92:93] neg_lo:[0,0,1] neg_hi:[0,0,1]
	v_pk_fma_f32 v[2:3], v[44:45], v[2:3], v[92:93] op_sel_hi:[1,0,1]
	s_add_i32 s3, s3, 64
	v_mov_b32_e32 v5, v3
	v_pk_add_f32 v[0:1], v[0:1], v[4:5]
	v_pk_mul_f32 v[2:3], v[54:55], v[12:13] op_sel:[1,1] op_sel_hi:[0,1]
	v_mov_b32_e32 v4, v15
	v_pk_mul_f32 v[4:5], v[52:53], v[4:5] op_sel:[1,0] op_sel_hi:[0,0]
	v_pk_fma_f32 v[6:7], v[54:55], v[12:13], v[2:3] neg_lo:[0,0,1] neg_hi:[0,0,1]
	v_pk_fma_f32 v[2:3], v[54:55], v[12:13], v[2:3] op_sel_hi:[1,0,1]
	s_add_i32 s2, s2, -1
	v_mov_b32_e32 v7, v3
	v_pk_fma_f32 v[2:3], v[52:53], v[14:15], v[4:5] neg_lo:[0,0,1] neg_hi:[0,0,1]
	v_pk_fma_f32 v[4:5], v[52:53], v[14:15], v[4:5] op_sel_hi:[1,0,1]
	v_pk_add_f32 v[0:1], v[0:1], v[6:7]
	v_mov_b32_e32 v3, v5
	v_pk_add_f32 v[0:1], v[0:1], v[2:3]
	v_pk_mul_f32 v[2:3], v[56:57], v[8:9] op_sel:[1,1] op_sel_hi:[0,1]
	v_pk_fma_f32 v[4:5], v[56:57], v[8:9], v[2:3] neg_lo:[0,0,1] neg_hi:[0,0,1]
	v_pk_fma_f32 v[2:3], v[56:57], v[8:9], v[2:3] op_sel_hi:[1,0,1]
	v_mov_b32_e32 v8, v23
	v_mov_b32_e32 v2, v11
	;; [unrolled: 1-line block ×3, first 2 shown]
	v_pk_mul_f32 v[2:3], v[58:59], v[2:3] op_sel:[1,0] op_sel_hi:[0,0]
	v_pk_fma_f32 v[6:7], v[58:59], v[10:11], v[2:3] neg_lo:[0,0,1] neg_hi:[0,0,1]
	v_pk_fma_f32 v[2:3], v[58:59], v[10:11], v[2:3] op_sel_hi:[1,0,1]
	v_pk_add_f32 v[0:1], v[0:1], v[4:5]
	v_mov_b32_e32 v7, v3
	v_pk_mul_f32 v[2:3], v[66:67], v[16:17] op_sel:[1,1] op_sel_hi:[0,1]
	v_mov_b32_e32 v4, v19
	v_pk_mul_f32 v[4:5], v[64:65], v[4:5] op_sel:[1,0] op_sel_hi:[0,0]
	v_pk_fma_f32 v[10:11], v[66:67], v[16:17], v[2:3] neg_lo:[0,0,1] neg_hi:[0,0,1]
	v_pk_fma_f32 v[2:3], v[66:67], v[16:17], v[2:3] op_sel_hi:[1,0,1]
	v_pk_add_f32 v[0:1], v[0:1], v[6:7]
	v_mov_b32_e32 v11, v3
	v_pk_fma_f32 v[2:3], v[64:65], v[18:19], v[4:5] neg_lo:[0,0,1] neg_hi:[0,0,1]
	v_pk_fma_f32 v[4:5], v[64:65], v[18:19], v[4:5] op_sel_hi:[1,0,1]
	v_pk_mul_f32 v[6:7], v[62:63], v[20:21] op_sel:[1,1] op_sel_hi:[0,1]
	v_pk_add_f32 v[0:1], v[0:1], v[10:11]
	v_mov_b32_e32 v3, v5
	v_pk_add_f32 v[0:1], v[0:1], v[2:3]
	v_pk_fma_f32 v[2:3], v[62:63], v[20:21], v[6:7] neg_lo:[0,0,1] neg_hi:[0,0,1]
	v_pk_fma_f32 v[4:5], v[62:63], v[20:21], v[6:7] op_sel_hi:[1,0,1]
	v_pk_mul_f32 v[8:9], v[60:61], v[8:9] op_sel:[1,0] op_sel_hi:[0,0]
	v_mov_b32_e32 v3, v5
	v_pk_add_f32 v[0:1], v[0:1], v[2:3]
	v_pk_fma_f32 v[2:3], v[60:61], v[22:23], v[8:9] neg_lo:[0,0,1] neg_hi:[0,0,1]
	v_pk_fma_f32 v[4:5], v[60:61], v[22:23], v[8:9] op_sel_hi:[1,0,1]
	v_pk_mul_f32 v[6:7], v[70:71], v[28:29] op_sel:[1,1] op_sel_hi:[0,1]
	v_mov_b32_e32 v3, v5
	v_pk_add_f32 v[0:1], v[0:1], v[2:3]
	v_pk_mul_f32 v[2:3], v[74:75], v[24:25] op_sel:[1,1] op_sel_hi:[0,1]
	v_mov_b32_e32 v4, v27
	v_pk_mul_f32 v[4:5], v[72:73], v[4:5] op_sel:[1,0] op_sel_hi:[0,0]
	v_pk_fma_f32 v[10:11], v[74:75], v[24:25], v[2:3] neg_lo:[0,0,1] neg_hi:[0,0,1]
	v_pk_fma_f32 v[2:3], v[74:75], v[24:25], v[2:3] op_sel_hi:[1,0,1]
	v_mov_b32_e32 v8, v31
	v_mov_b32_e32 v11, v3
	v_pk_fma_f32 v[2:3], v[72:73], v[26:27], v[4:5] neg_lo:[0,0,1] neg_hi:[0,0,1]
	v_pk_fma_f32 v[4:5], v[72:73], v[26:27], v[4:5] op_sel_hi:[1,0,1]
	v_pk_mul_f32 v[8:9], v[68:69], v[8:9] op_sel:[1,0] op_sel_hi:[0,0]
	v_mov_b32_e32 v3, v5
	v_pk_fma_f32 v[4:5], v[70:71], v[28:29], v[6:7] neg_lo:[0,0,1] neg_hi:[0,0,1]
	v_pk_fma_f32 v[6:7], v[70:71], v[28:29], v[6:7] op_sel_hi:[1,0,1]
	v_pk_add_f32 v[0:1], v[0:1], v[10:11]
	v_mov_b32_e32 v5, v7
	v_pk_fma_f32 v[6:7], v[68:69], v[30:31], v[8:9] neg_lo:[0,0,1] neg_hi:[0,0,1]
	v_pk_fma_f32 v[8:9], v[68:69], v[30:31], v[8:9] op_sel_hi:[1,0,1]
	v_pk_add_f32 v[0:1], v[0:1], v[2:3]
	v_mov_b32_e32 v7, v9
	v_pk_add_f32 v[0:1], v[0:1], v[4:5]
	s_cmp_eq_u32 s2, 0
	v_pk_add_f32 v[34:35], v[0:1], v[6:7]
	v_lshl_add_u64 v[42:43], v[42:43], 0, s[10:11]
	s_barrier
	s_cbranch_scc1 .LBB12_143
.LBB12_139:                             ; =>This Inner Loop Header: Depth=1
	s_and_saveexec_b64 s[44:45], s[18:19]
	s_cbranch_execz .LBB12_141
; %bb.140:                              ;   in Loop: Header=BB12_139 Depth=1
	s_mul_i32 s33, s49, s3
	s_mul_hi_u32 s46, s48, s3
	s_add_i32 s47, s46, s33
	s_mul_i32 s46, s48, s3
	v_lshl_add_u64 v[0:1], s[46:47], 3, v[38:39]
	global_load_dwordx2 v[0:1], v[0:1], off
	s_waitcnt vmcnt(0)
	ds_write_b64 v37, v[0:1]
.LBB12_141:                             ;   in Loop: Header=BB12_139 Depth=1
	s_or_b64 exec, exec, s[44:45]
	v_lshl_add_u64 v[0:1], v[42:43], 0, s[8:9]
	s_waitcnt lgkmcnt(0)
	s_barrier
	global_load_dwordx2 v[50:51], v[42:43], off
	global_load_dwordx2 v[48:49], v[0:1], off
	v_lshl_add_u64 v[0:1], v[42:43], 0, s[12:13]
	global_load_dwordx2 v[46:47], v[0:1], off
	v_lshl_add_u64 v[0:1], v[42:43], 0, s[14:15]
	global_load_dwordx2 v[44:45], v[0:1], off
	ds_read_b64 v[8:9], v79
	ds_read_b128 v[4:7], v78
	ds_read_b128 v[0:3], v78 offset:16
	v_lshl_add_u64 v[10:11], v[42:43], 0, s[40:41]
	v_lshl_add_u64 v[70:71], v[42:43], 0, s[36:37]
	s_waitcnt vmcnt(3) lgkmcnt(2)
	v_mul_f32_e32 v12, v51, v9
	v_mul_f32_e32 v13, v51, v8
	s_waitcnt vmcnt(2)
	v_mul_f32_e32 v14, v49, v9
	v_mul_f32_e32 v15, v49, v8
	s_waitcnt vmcnt(1)
	;; [unrolled: 3-line block ×3, first 2 shown]
	v_mul_f32_e32 v18, v45, v9
	v_mul_f32_e32 v19, v45, v8
	v_fmac_f32_e32 v12, v50, v8
	v_fma_f32 v13, v50, v9, -v13
	v_fmac_f32_e32 v14, v48, v8
	v_fma_f32 v15, v48, v9, -v15
	;; [unrolled: 2-line block ×4, first 2 shown]
	v_lshl_add_u64 v[8:9], v[42:43], 0, s[42:43]
	ds_write2_b64 v80, v[12:13], v[14:15] offset1:67
	ds_write2_b64 v80, v[16:17], v[18:19] offset0:134 offset1:201
	s_waitcnt lgkmcnt(0)
	s_barrier
	ds_read2_b64 v[24:27], v81 offset1:1
	ds_read2_b64 v[28:31], v81 offset0:2 offset1:3
	s_waitcnt lgkmcnt(0)
	s_barrier
	global_load_dwordx2 v[54:55], v[10:11], off
	global_load_dwordx2 v[52:53], v[8:9], off
	v_lshl_add_u64 v[8:9], v[42:43], 0, s[16:17]
	global_load_dwordx2 v[56:57], v[8:9], off
	v_lshl_add_u64 v[8:9], v[42:43], 0, s[20:21]
	global_load_dwordx2 v[58:59], v[8:9], off
	ds_read_b64 v[16:17], v79
	v_lshl_add_u64 v[18:19], v[42:43], 0, s[22:23]
	ds_read_b128 v[12:15], v78 offset:128
	ds_read_b128 v[8:11], v78 offset:144
	v_pk_add_f32 v[24:25], v[24:25], 0 op_sel_hi:[1,0]
	s_waitcnt vmcnt(3) lgkmcnt(2)
	v_mul_f32_e32 v20, v55, v17
	v_mul_f32_e32 v21, v55, v16
	s_waitcnt vmcnt(2)
	v_mul_f32_e32 v22, v53, v17
	v_mul_f32_e32 v23, v53, v16
	s_waitcnt vmcnt(1)
	v_mul_f32_e32 v60, v57, v17
	v_mul_f32_e32 v40, v57, v16
	s_waitcnt vmcnt(0)
	v_mul_f32_e32 v62, v59, v17
	v_mul_f32_e32 v63, v59, v16
	v_fma_f32 v21, v54, v17, -v21
	v_fmac_f32_e32 v20, v54, v16
	v_fmac_f32_e32 v22, v52, v16
	v_fma_f32 v23, v52, v17, -v23
	v_fmac_f32_e32 v60, v56, v16
	v_fma_f32 v61, v56, v17, -v40
	;; [unrolled: 2-line block ×3, first 2 shown]
	v_lshl_add_u64 v[16:17], v[42:43], 0, s[38:39]
	ds_write2_b64 v80, v[20:21], v[22:23] offset1:67
	ds_write2_b64 v80, v[60:61], v[62:63] offset0:134 offset1:201
	s_waitcnt lgkmcnt(0)
	s_barrier
	ds_read2_b64 v[86:89], v81 offset1:1
	ds_read2_b64 v[90:93], v81 offset0:2 offset1:3
	s_waitcnt lgkmcnt(0)
	s_barrier
	global_load_dwordx2 v[66:67], v[18:19], off
	global_load_dwordx2 v[64:65], v[16:17], off
	v_lshl_add_u64 v[16:17], v[42:43], 0, s[24:25]
	global_load_dwordx2 v[62:63], v[16:17], off
	v_lshl_add_u64 v[16:17], v[42:43], 0, s[26:27]
	global_load_dwordx2 v[60:61], v[16:17], off
	ds_read_b64 v[68:69], v79
	ds_read_b128 v[16:19], v78 offset:256
	ds_read_b128 v[20:23], v78 offset:272
	v_pk_add_f32 v[24:25], v[24:25], v[26:27]
	s_waitcnt vmcnt(3) lgkmcnt(2)
	v_mul_f32_e32 v72, v67, v69
	v_mul_f32_e32 v40, v67, v68
	s_waitcnt vmcnt(2)
	v_mul_f32_e32 v74, v65, v69
	v_mul_f32_e32 v75, v65, v68
	s_waitcnt vmcnt(1)
	;; [unrolled: 3-line block ×3, first 2 shown]
	v_mul_f32_e32 v97, v61, v68
	v_mul_f32_e32 v96, v61, v69
	v_fma_f32 v73, v66, v69, -v40
	v_fma_f32 v75, v64, v69, -v75
	;; [unrolled: 1-line block ×4, first 2 shown]
	v_fmac_f32_e32 v72, v66, v68
	v_fmac_f32_e32 v74, v64, v68
	;; [unrolled: 1-line block ×4, first 2 shown]
	v_lshl_add_u64 v[68:69], v[42:43], 0, s[34:35]
	ds_write2_b64 v80, v[72:73], v[74:75] offset1:67
	ds_write2_b64 v80, v[94:95], v[96:97] offset0:134 offset1:201
	s_waitcnt lgkmcnt(0)
	s_barrier
	ds_read2_b64 v[94:97], v81 offset1:1
	ds_read2_b64 v[98:101], v81 offset0:2 offset1:3
	s_waitcnt lgkmcnt(0)
	s_barrier
	global_load_dwordx2 v[74:75], v[70:71], off
	global_load_dwordx2 v[72:73], v[68:69], off
	v_lshl_add_u64 v[68:69], v[42:43], 0, s[28:29]
	global_load_dwordx2 v[70:71], v[68:69], off
	v_lshl_add_u64 v[68:69], v[42:43], 0, s[30:31]
	global_load_dwordx2 v[68:69], v[68:69], off
	v_pk_add_f32 v[24:25], v[24:25], v[28:29]
	s_nop 0
	v_pk_add_f32 v[102:103], v[24:25], v[30:31]
	v_pk_add_f32 v[24:25], v[86:87], 0 op_sel_hi:[1,0]
	s_nop 0
	v_pk_add_f32 v[24:25], v[24:25], v[88:89]
	v_pk_add_f32 v[88:89], v[94:95], 0 op_sel_hi:[1,0]
	v_pk_add_f32 v[24:25], v[24:25], v[90:91]
	v_pk_add_f32 v[88:89], v[88:89], v[96:97]
	;; [unrolled: 1-line block ×3, first 2 shown]
	ds_read_b64 v[86:87], v79
	ds_read_b128 v[24:27], v78 offset:384
	ds_read_b128 v[28:31], v78 offset:400
	v_pk_add_f32 v[88:89], v[88:89], v[98:99]
	s_waitcnt vmcnt(3) lgkmcnt(2)
	v_mul_f32_e32 v40, v75, v86
	v_pk_add_f32 v[94:95], v[88:89], v[100:101]
	v_mul_f32_e32 v88, v75, v87
	s_waitcnt vmcnt(2)
	v_mul_f32_e32 v85, v73, v86
	v_mul_f32_e32 v90, v73, v87
	s_waitcnt vmcnt(1)
	v_mul_f32_e32 v93, v71, v86
	;; [unrolled: 3-line block ×3, first 2 shown]
	v_mul_f32_e32 v96, v69, v87
	v_fma_f32 v89, v74, v87, -v40
	v_fma_f32 v91, v72, v87, -v85
	v_fmac_f32_e32 v88, v74, v86
	v_fmac_f32_e32 v90, v72, v86
	v_fma_f32 v93, v70, v87, -v93
	v_fmac_f32_e32 v92, v70, v86
	v_fma_f32 v97, v68, v87, -v97
	v_fmac_f32_e32 v96, v68, v86
	ds_write2_b64 v80, v[88:89], v[90:91] offset1:67
	ds_write2_b64 v80, v[92:93], v[96:97] offset0:134 offset1:201
	s_waitcnt lgkmcnt(0)
	s_barrier
	ds_read2_b64 v[86:89], v81 offset1:1
	ds_read2_b64 v[90:93], v81 offset0:2 offset1:3
	s_waitcnt lgkmcnt(0)
	s_barrier
	v_pk_add_f32 v[86:87], v[86:87], 0 op_sel_hi:[1,0]
	ds_write2_b64 v84, v[102:103], v[104:105] offset1:16
	v_pk_add_f32 v[86:87], v[86:87], v[88:89]
	s_nop 0
	v_pk_add_f32 v[86:87], v[86:87], v[90:91]
	s_nop 0
	v_pk_add_f32 v[86:87], v[86:87], v[92:93]
	ds_write2_b64 v84, v[94:95], v[86:87] offset0:32 offset1:48
	s_waitcnt lgkmcnt(0)
	s_barrier
	s_and_saveexec_b64 s[44:45], s[0:1]
	s_cbranch_execz .LBB12_138
; %bb.142:                              ;   in Loop: Header=BB12_139 Depth=1
	ds_read_b64 v[94:95], v82
	ds_read2_b64 v[86:89], v82 offset0:1 offset1:2
	ds_read2_b64 v[90:93], v82 offset0:3 offset1:4
	s_waitcnt lgkmcnt(1)
	v_add_f32_e32 v40, v86, v94
	v_add_f32_e32 v85, v87, v95
	v_add_f32_e32 v40, v88, v40
	v_add_f32_e32 v85, v89, v85
	ds_read2_b64 v[86:89], v82 offset0:5 offset1:6
	s_waitcnt lgkmcnt(1)
	v_add_f32_e32 v40, v40, v90
	v_add_f32_e32 v85, v85, v91
	;; [unrolled: 1-line block ×4, first 2 shown]
	ds_read2_b64 v[90:93], v82 offset0:7 offset1:8
	s_waitcnt lgkmcnt(1)
	v_pk_add_f32 v[86:87], v[94:95], v[86:87]
	ds_read2_b64 v[94:97], v82 offset0:9 offset1:10
	v_pk_add_f32 v[86:87], v[86:87], v[88:89]
	v_add_u32_e32 v40, s3, v77
	s_waitcnt lgkmcnt(1)
	v_pk_add_f32 v[86:87], v[86:87], v[90:91]
	v_lshl_add_u64 v[98:99], v[40:41], 3, s[6:7]
	v_pk_add_f32 v[90:91], v[86:87], v[92:93]
	ds_read2_b64 v[86:89], v82 offset0:11 offset1:12
	s_waitcnt lgkmcnt(1)
	v_pk_add_f32 v[94:95], v[90:91], v[94:95]
	ds_read2_b64 v[90:93], v82 offset0:13 offset1:14
	v_pk_add_f32 v[94:95], v[94:95], v[96:97]
	ds_read_b64 v[96:97], v83
	s_waitcnt lgkmcnt(2)
	v_pk_add_f32 v[86:87], v[94:95], v[86:87]
	s_nop 0
	v_pk_add_f32 v[86:87], v[86:87], v[88:89]
	s_waitcnt lgkmcnt(1)
	v_pk_add_f32 v[86:87], v[86:87], v[90:91]
	s_nop 0
	v_pk_add_f32 v[86:87], v[86:87], v[92:93]
	s_waitcnt lgkmcnt(0)
	v_pk_add_f32 v[86:87], v[86:87], v[96:97]
	global_store_dwordx2 v[98:99], v[86:87], off
	s_branch .LBB12_138
.LBB12_143:
	s_movk_i32 s0, 0x218
	v_mad_u32_u24 v0, v76, s0, v36
	s_nor_b64 s[0:1], s[4:5], vcc
	ds_write_b64 v0, v[34:35]
	s_waitcnt lgkmcnt(0)
	s_barrier
	s_and_saveexec_b64 s[2:3], s[0:1]
	s_cbranch_execz .LBB12_145
; %bb.144:
	ds_read2_b64 v[0:3], v36 offset1:67
	ds_read2_b64 v[4:7], v36 offset0:134 offset1:201
	v_lshl_add_u64 v[8:9], v[32:33], 3, s[6:7]
	s_waitcnt lgkmcnt(1)
	v_pk_add_f32 v[0:1], v[2:3], v[0:1]
	s_waitcnt lgkmcnt(0)
	v_pk_add_f32 v[0:1], v[4:5], v[0:1]
	s_nop 0
	v_pk_add_f32 v[0:1], v[0:1], v[6:7]
	global_store_dwordx2 v[8:9], v[0:1], off
.LBB12_145:
	s_endpgm
	.section	.rodata,"a",@progbits
	.p2align	6, 0x0
	.amdhsa_kernel _ZL26rocblas_hemvn_kernel_lowerILb1ELi64ELi4ELi33ELi32ELi16El19rocblas_complex_numIfEPKS1_PS1_EviT6_lT7_lT5_lS6_lS7_lS5_lT8_i
		.amdhsa_group_segment_fixed_size 9600
		.amdhsa_private_segment_fixed_size 0
		.amdhsa_kernarg_size 376
		.amdhsa_user_sgpr_count 2
		.amdhsa_user_sgpr_dispatch_ptr 0
		.amdhsa_user_sgpr_queue_ptr 0
		.amdhsa_user_sgpr_kernarg_segment_ptr 1
		.amdhsa_user_sgpr_dispatch_id 0
		.amdhsa_user_sgpr_kernarg_preload_length 0
		.amdhsa_user_sgpr_kernarg_preload_offset 0
		.amdhsa_user_sgpr_private_segment_size 0
		.amdhsa_uses_dynamic_stack 0
		.amdhsa_enable_private_segment 0
		.amdhsa_system_sgpr_workgroup_id_x 1
		.amdhsa_system_sgpr_workgroup_id_y 0
		.amdhsa_system_sgpr_workgroup_id_z 1
		.amdhsa_system_sgpr_workgroup_info 0
		.amdhsa_system_vgpr_workitem_id 1
		.amdhsa_next_free_vgpr 106
		.amdhsa_next_free_sgpr 53
		.amdhsa_accum_offset 108
		.amdhsa_reserve_vcc 1
		.amdhsa_float_round_mode_32 0
		.amdhsa_float_round_mode_16_64 0
		.amdhsa_float_denorm_mode_32 3
		.amdhsa_float_denorm_mode_16_64 3
		.amdhsa_dx10_clamp 1
		.amdhsa_ieee_mode 1
		.amdhsa_fp16_overflow 0
		.amdhsa_tg_split 0
		.amdhsa_exception_fp_ieee_invalid_op 0
		.amdhsa_exception_fp_denorm_src 0
		.amdhsa_exception_fp_ieee_div_zero 0
		.amdhsa_exception_fp_ieee_overflow 0
		.amdhsa_exception_fp_ieee_underflow 0
		.amdhsa_exception_fp_ieee_inexact 0
		.amdhsa_exception_int_div_zero 0
	.end_amdhsa_kernel
	.section	.text._ZL26rocblas_hemvn_kernel_lowerILb1ELi64ELi4ELi33ELi32ELi16El19rocblas_complex_numIfEPKS1_PS1_EviT6_lT7_lT5_lS6_lS7_lS5_lT8_i,"axG",@progbits,_ZL26rocblas_hemvn_kernel_lowerILb1ELi64ELi4ELi33ELi32ELi16El19rocblas_complex_numIfEPKS1_PS1_EviT6_lT7_lT5_lS6_lS7_lS5_lT8_i,comdat
.Lfunc_end12:
	.size	_ZL26rocblas_hemvn_kernel_lowerILb1ELi64ELi4ELi33ELi32ELi16El19rocblas_complex_numIfEPKS1_PS1_EviT6_lT7_lT5_lS6_lS7_lS5_lT8_i, .Lfunc_end12-_ZL26rocblas_hemvn_kernel_lowerILb1ELi64ELi4ELi33ELi32ELi16El19rocblas_complex_numIfEPKS1_PS1_EviT6_lT7_lT5_lS6_lS7_lS5_lT8_i
                                        ; -- End function
	.set _ZL26rocblas_hemvn_kernel_lowerILb1ELi64ELi4ELi33ELi32ELi16El19rocblas_complex_numIfEPKS1_PS1_EviT6_lT7_lT5_lS6_lS7_lS5_lT8_i.num_vgpr, 106
	.set _ZL26rocblas_hemvn_kernel_lowerILb1ELi64ELi4ELi33ELi32ELi16El19rocblas_complex_numIfEPKS1_PS1_EviT6_lT7_lT5_lS6_lS7_lS5_lT8_i.num_agpr, 0
	.set _ZL26rocblas_hemvn_kernel_lowerILb1ELi64ELi4ELi33ELi32ELi16El19rocblas_complex_numIfEPKS1_PS1_EviT6_lT7_lT5_lS6_lS7_lS5_lT8_i.numbered_sgpr, 53
	.set _ZL26rocblas_hemvn_kernel_lowerILb1ELi64ELi4ELi33ELi32ELi16El19rocblas_complex_numIfEPKS1_PS1_EviT6_lT7_lT5_lS6_lS7_lS5_lT8_i.num_named_barrier, 0
	.set _ZL26rocblas_hemvn_kernel_lowerILb1ELi64ELi4ELi33ELi32ELi16El19rocblas_complex_numIfEPKS1_PS1_EviT6_lT7_lT5_lS6_lS7_lS5_lT8_i.private_seg_size, 0
	.set _ZL26rocblas_hemvn_kernel_lowerILb1ELi64ELi4ELi33ELi32ELi16El19rocblas_complex_numIfEPKS1_PS1_EviT6_lT7_lT5_lS6_lS7_lS5_lT8_i.uses_vcc, 1
	.set _ZL26rocblas_hemvn_kernel_lowerILb1ELi64ELi4ELi33ELi32ELi16El19rocblas_complex_numIfEPKS1_PS1_EviT6_lT7_lT5_lS6_lS7_lS5_lT8_i.uses_flat_scratch, 0
	.set _ZL26rocblas_hemvn_kernel_lowerILb1ELi64ELi4ELi33ELi32ELi16El19rocblas_complex_numIfEPKS1_PS1_EviT6_lT7_lT5_lS6_lS7_lS5_lT8_i.has_dyn_sized_stack, 0
	.set _ZL26rocblas_hemvn_kernel_lowerILb1ELi64ELi4ELi33ELi32ELi16El19rocblas_complex_numIfEPKS1_PS1_EviT6_lT7_lT5_lS6_lS7_lS5_lT8_i.has_recursion, 0
	.set _ZL26rocblas_hemvn_kernel_lowerILb1ELi64ELi4ELi33ELi32ELi16El19rocblas_complex_numIfEPKS1_PS1_EviT6_lT7_lT5_lS6_lS7_lS5_lT8_i.has_indirect_call, 0
	.section	.AMDGPU.csdata,"",@progbits
; Kernel info:
; codeLenInByte = 8352
; TotalNumSgprs: 59
; NumVgprs: 106
; NumAgprs: 0
; TotalNumVgprs: 106
; ScratchSize: 0
; MemoryBound: 1
; FloatMode: 240
; IeeeMode: 1
; LDSByteSize: 9600 bytes/workgroup (compile time only)
; SGPRBlocks: 7
; VGPRBlocks: 13
; NumSGPRsForWavesPerEU: 59
; NumVGPRsForWavesPerEU: 106
; AccumOffset: 108
; Occupancy: 4
; WaveLimiterHint : 0
; COMPUTE_PGM_RSRC2:SCRATCH_EN: 0
; COMPUTE_PGM_RSRC2:USER_SGPR: 2
; COMPUTE_PGM_RSRC2:TRAP_HANDLER: 0
; COMPUTE_PGM_RSRC2:TGID_X_EN: 1
; COMPUTE_PGM_RSRC2:TGID_Y_EN: 0
; COMPUTE_PGM_RSRC2:TGID_Z_EN: 1
; COMPUTE_PGM_RSRC2:TIDIG_COMP_CNT: 1
; COMPUTE_PGM_RSRC3_GFX90A:ACCUM_OFFSET: 26
; COMPUTE_PGM_RSRC3_GFX90A:TG_SPLIT: 0
	.section	.text._ZL36rocblas_hemvn_kernel_lower_block_sumILi64El19rocblas_complex_numIfEPS1_S1_EviT1_lS3_lT2_lT0_lPT3_i,"axG",@progbits,_ZL36rocblas_hemvn_kernel_lower_block_sumILi64El19rocblas_complex_numIfEPS1_S1_EviT1_lS3_lT2_lT0_lPT3_i,comdat
	.globl	_ZL36rocblas_hemvn_kernel_lower_block_sumILi64El19rocblas_complex_numIfEPS1_S1_EviT1_lS3_lT2_lT0_lPT3_i ; -- Begin function _ZL36rocblas_hemvn_kernel_lower_block_sumILi64El19rocblas_complex_numIfEPS1_S1_EviT1_lS3_lT2_lT0_lPT3_i
	.p2align	8
	.type	_ZL36rocblas_hemvn_kernel_lower_block_sumILi64El19rocblas_complex_numIfEPS1_S1_EviT1_lS3_lT2_lT0_lPT3_i,@function
_ZL36rocblas_hemvn_kernel_lower_block_sumILi64El19rocblas_complex_numIfEPS1_S1_EviT1_lS3_lT2_lT0_lPT3_i: ; @_ZL36rocblas_hemvn_kernel_lower_block_sumILi64El19rocblas_complex_numIfEPS1_S1_EviT1_lS3_lT2_lT0_lPT3_i
; %bb.0:
	s_load_dwordx4 s[8:11], s[0:1], 0x0
	s_load_dwordx2 s[12:13], s[0:1], 0x18
	s_waitcnt lgkmcnt(0)
	s_or_b32 s4, s9, s10
	s_bitset0_b32 s4, 31
	s_cmp_eq_u32 s4, 0
	v_cmp_eq_f32_e64 s[4:5], s12, 1.0
	v_cmp_eq_f32_e64 s[6:7], s13, 0
	s_cselect_b64 s[16:17], -1, 0
	s_and_b64 s[4:5], s[4:5], s[6:7]
	s_and_b64 s[4:5], s[16:17], s[4:5]
	s_and_b64 vcc, exec, s[4:5]
	s_cbranch_vccnz .LBB13_17
; %bb.1:
	s_mov_b32 s15, s10
	s_load_dwordx2 s[10:11], s[0:1], 0x40
	s_load_dwordx2 s[18:19], s[0:1], 0x28
	s_load_dwordx4 s[4:7], s[0:1], 0x30
	s_mov_b32 s14, s9
	v_lshl_or_b32 v8, s2, 6, v0
	s_waitcnt lgkmcnt(0)
	s_mul_i32 s9, s11, s3
	s_mul_hi_u32 s11, s10, s3
	s_mul_i32 s10, s10, s3
	s_add_i32 s11, s11, s9
	s_lshl_b64 s[10:11], s[10:11], 3
	s_add_u32 s9, s18, s10
	s_addc_u32 s11, s19, s11
	s_lshl_b64 s[4:5], s[4:5], 3
	s_add_u32 s10, s9, s4
	s_addc_u32 s11, s11, s5
	s_mov_b64 s[18:19], -1
	s_andn2_b64 vcc, exec, s[16:17]
	v_cmp_gt_i32_e64 s[4:5], s8, v8
	s_cbranch_vccnz .LBB13_7
; %bb.2:
	s_and_saveexec_b64 s[16:17], s[4:5]
	s_cbranch_execz .LBB13_6
; %bb.3:
	v_ashrrev_i32_e32 v0, 31, v8
	v_cmp_neq_f32_e64 s[4:5], s12, 0
	v_cmp_neq_f32_e64 s[18:19], s13, 0
	v_mul_lo_u32 v1, s7, v8
	v_mul_lo_u32 v0, s6, v0
	v_mad_u64_u32 v[2:3], s[20:21], s6, v8, 0
	v_add3_u32 v3, v3, v0, v1
	s_or_b64 s[4:5], s[4:5], s[18:19]
	v_mov_b32_e32 v0, 0
	s_andn2_b64 vcc, exec, s[4:5]
	v_lshl_add_u64 v[2:3], v[2:3], 3, s[10:11]
	v_mov_b32_e32 v1, 0
	s_cbranch_vccnz .LBB13_5
; %bb.4:
	global_load_dwordx2 v[4:5], v[2:3], off
	s_waitcnt vmcnt(0)
	v_pk_mul_f32 v[6:7], v[4:5], s[12:13] op_sel:[1,1] op_sel_hi:[1,0]
	s_nop 0
	v_pk_fma_f32 v[0:1], v[4:5], s[12:13], v[6:7] neg_lo:[0,0,1] neg_hi:[0,0,1]
	v_pk_fma_f32 v[4:5], v[4:5], s[12:13], v[6:7] op_sel_hi:[0,1,1]
	v_mov_b32_e32 v1, v5
.LBB13_5:
	global_store_dwordx2 v[2:3], v[0:1], off
.LBB13_6:
	s_or_b64 exec, exec, s[16:17]
	s_mov_b64 s[18:19], 0
.LBB13_7:
	s_andn2_b64 vcc, exec, s[18:19]
	s_cbranch_vccnz .LBB13_17
; %bb.8:
	v_cmp_gt_i32_e32 vcc, s8, v8
	s_and_saveexec_b64 s[4:5], vcc
	s_cbranch_execz .LBB13_17
; %bb.9:
	s_load_dword s4, s[0:1], 0x58
	v_mov_b32_e32 v1, 0
	v_mov_b32_e32 v0, v1
	s_waitcnt lgkmcnt(0)
	s_cmp_ge_i32 s2, s4
	s_cbranch_scc1 .LBB13_12
; %bb.10:
	s_ashr_i32 s9, s8, 31
	s_mul_i32 s5, s8, s2
	s_load_dwordx2 s[0:1], s[0:1], 0x48
	v_add_u32_e32 v0, s5, v8
	s_mul_hi_u32 s5, s8, s3
	s_mul_i32 s16, s9, s3
	s_add_i32 s5, s5, s16
	s_mul_i32 s3, s8, s3
	s_mul_i32 s5, s5, s4
	s_mul_hi_u32 s16, s3, s4
	s_add_i32 s17, s16, s5
	s_mul_i32 s16, s3, s4
	s_lshl_b64 s[16:17], s[16:17], 3
	s_waitcnt lgkmcnt(0)
	s_add_u32 s0, s0, s16
	v_ashrrev_i32_e32 v1, 31, v0
	s_addc_u32 s1, s1, s17
	v_lshl_add_u64 v[2:3], v[0:1], 3, s[0:1]
	v_mov_b32_e32 v0, 0
	s_lshl_b64 s[0:1], s[8:9], 3
	v_mov_b32_e32 v1, v0
.LBB13_11:                              ; =>This Inner Loop Header: Depth=1
	global_load_dwordx2 v[4:5], v[2:3], off
	s_add_i32 s2, s2, 1
	v_lshl_add_u64 v[2:3], v[2:3], 0, s[0:1]
	s_cmp_ge_i32 s2, s4
	s_waitcnt vmcnt(0)
	v_pk_add_f32 v[0:1], v[0:1], v[4:5]
	s_cbranch_scc0 .LBB13_11
.LBB13_12:
	v_cmp_neq_f32_e64 s[0:1], s12, 0
	v_cmp_neq_f32_e64 s[2:3], s13, 0
	s_or_b64 s[0:1], s[0:1], s[2:3]
	v_pk_mul_f32 v[6:7], v[0:1], s[14:15] op_sel:[1,1] op_sel_hi:[1,0]
	v_ashrrev_i32_e32 v4, 31, v8
	s_andn2_b64 vcc, exec, s[0:1]
	v_pk_fma_f32 v[2:3], v[0:1], s[14:15], v[6:7] op_sel_hi:[0,1,1]
	v_mul_lo_u32 v9, s7, v8
	v_mul_lo_u32 v10, s6, v4
	s_cbranch_vccz .LBB13_14
; %bb.13:
	v_pk_mul_f32 v[12:13], v[0:1], s[14:15]
	v_mad_u64_u32 v[4:5], s[0:1], s6, v8, 0
	v_add3_u32 v5, v5, v10, v9
	v_sub_f32_e32 v2, v12, v6
	s_cbranch_execz .LBB13_15
	s_branch .LBB13_16
.LBB13_14:
                                        ; implicit-def: $vgpr4_vgpr5
.LBB13_15:
	v_mad_u64_u32 v[4:5], s[0:1], s6, v8, 0
	v_add3_u32 v5, v5, v10, v9
	v_lshl_add_u64 v[8:9], v[4:5], 3, s[10:11]
	global_load_dwordx2 v[8:9], v[8:9], off
	v_pk_fma_f32 v[0:1], v[0:1], s[14:15], v[6:7] neg_lo:[0,0,1] neg_hi:[0,0,1]
	s_waitcnt vmcnt(0)
	v_pk_mul_f32 v[6:7], v[8:9], s[12:13] op_sel:[1,1] op_sel_hi:[1,0]
	s_nop 0
	v_pk_fma_f32 v[10:11], v[8:9], s[12:13], v[6:7] neg_lo:[0,0,1] neg_hi:[0,0,1]
	v_pk_fma_f32 v[6:7], v[8:9], s[12:13], v[6:7] op_sel_hi:[0,1,1]
	v_mov_b32_e32 v11, v7
	v_mov_b32_e32 v1, v3
	v_pk_add_f32 v[2:3], v[0:1], v[10:11]
.LBB13_16:
	v_lshl_add_u64 v[0:1], v[4:5], 3, s[10:11]
	global_store_dwordx2 v[0:1], v[2:3], off
.LBB13_17:
	s_endpgm
	.section	.rodata,"a",@progbits
	.p2align	6, 0x0
	.amdhsa_kernel _ZL36rocblas_hemvn_kernel_lower_block_sumILi64El19rocblas_complex_numIfEPS1_S1_EviT1_lS3_lT2_lT0_lPT3_i
		.amdhsa_group_segment_fixed_size 0
		.amdhsa_private_segment_fixed_size 0
		.amdhsa_kernarg_size 344
		.amdhsa_user_sgpr_count 2
		.amdhsa_user_sgpr_dispatch_ptr 0
		.amdhsa_user_sgpr_queue_ptr 0
		.amdhsa_user_sgpr_kernarg_segment_ptr 1
		.amdhsa_user_sgpr_dispatch_id 0
		.amdhsa_user_sgpr_kernarg_preload_length 0
		.amdhsa_user_sgpr_kernarg_preload_offset 0
		.amdhsa_user_sgpr_private_segment_size 0
		.amdhsa_uses_dynamic_stack 0
		.amdhsa_enable_private_segment 0
		.amdhsa_system_sgpr_workgroup_id_x 1
		.amdhsa_system_sgpr_workgroup_id_y 0
		.amdhsa_system_sgpr_workgroup_id_z 1
		.amdhsa_system_sgpr_workgroup_info 0
		.amdhsa_system_vgpr_workitem_id 0
		.amdhsa_next_free_vgpr 14
		.amdhsa_next_free_sgpr 22
		.amdhsa_accum_offset 16
		.amdhsa_reserve_vcc 1
		.amdhsa_float_round_mode_32 0
		.amdhsa_float_round_mode_16_64 0
		.amdhsa_float_denorm_mode_32 3
		.amdhsa_float_denorm_mode_16_64 3
		.amdhsa_dx10_clamp 1
		.amdhsa_ieee_mode 1
		.amdhsa_fp16_overflow 0
		.amdhsa_tg_split 0
		.amdhsa_exception_fp_ieee_invalid_op 0
		.amdhsa_exception_fp_denorm_src 0
		.amdhsa_exception_fp_ieee_div_zero 0
		.amdhsa_exception_fp_ieee_overflow 0
		.amdhsa_exception_fp_ieee_underflow 0
		.amdhsa_exception_fp_ieee_inexact 0
		.amdhsa_exception_int_div_zero 0
	.end_amdhsa_kernel
	.section	.text._ZL36rocblas_hemvn_kernel_lower_block_sumILi64El19rocblas_complex_numIfEPS1_S1_EviT1_lS3_lT2_lT0_lPT3_i,"axG",@progbits,_ZL36rocblas_hemvn_kernel_lower_block_sumILi64El19rocblas_complex_numIfEPS1_S1_EviT1_lS3_lT2_lT0_lPT3_i,comdat
.Lfunc_end13:
	.size	_ZL36rocblas_hemvn_kernel_lower_block_sumILi64El19rocblas_complex_numIfEPS1_S1_EviT1_lS3_lT2_lT0_lPT3_i, .Lfunc_end13-_ZL36rocblas_hemvn_kernel_lower_block_sumILi64El19rocblas_complex_numIfEPS1_S1_EviT1_lS3_lT2_lT0_lPT3_i
                                        ; -- End function
	.set _ZL36rocblas_hemvn_kernel_lower_block_sumILi64El19rocblas_complex_numIfEPS1_S1_EviT1_lS3_lT2_lT0_lPT3_i.num_vgpr, 14
	.set _ZL36rocblas_hemvn_kernel_lower_block_sumILi64El19rocblas_complex_numIfEPS1_S1_EviT1_lS3_lT2_lT0_lPT3_i.num_agpr, 0
	.set _ZL36rocblas_hemvn_kernel_lower_block_sumILi64El19rocblas_complex_numIfEPS1_S1_EviT1_lS3_lT2_lT0_lPT3_i.numbered_sgpr, 22
	.set _ZL36rocblas_hemvn_kernel_lower_block_sumILi64El19rocblas_complex_numIfEPS1_S1_EviT1_lS3_lT2_lT0_lPT3_i.num_named_barrier, 0
	.set _ZL36rocblas_hemvn_kernel_lower_block_sumILi64El19rocblas_complex_numIfEPS1_S1_EviT1_lS3_lT2_lT0_lPT3_i.private_seg_size, 0
	.set _ZL36rocblas_hemvn_kernel_lower_block_sumILi64El19rocblas_complex_numIfEPS1_S1_EviT1_lS3_lT2_lT0_lPT3_i.uses_vcc, 1
	.set _ZL36rocblas_hemvn_kernel_lower_block_sumILi64El19rocblas_complex_numIfEPS1_S1_EviT1_lS3_lT2_lT0_lPT3_i.uses_flat_scratch, 0
	.set _ZL36rocblas_hemvn_kernel_lower_block_sumILi64El19rocblas_complex_numIfEPS1_S1_EviT1_lS3_lT2_lT0_lPT3_i.has_dyn_sized_stack, 0
	.set _ZL36rocblas_hemvn_kernel_lower_block_sumILi64El19rocblas_complex_numIfEPS1_S1_EviT1_lS3_lT2_lT0_lPT3_i.has_recursion, 0
	.set _ZL36rocblas_hemvn_kernel_lower_block_sumILi64El19rocblas_complex_numIfEPS1_S1_EviT1_lS3_lT2_lT0_lPT3_i.has_indirect_call, 0
	.section	.AMDGPU.csdata,"",@progbits
; Kernel info:
; codeLenInByte = 708
; TotalNumSgprs: 28
; NumVgprs: 14
; NumAgprs: 0
; TotalNumVgprs: 14
; ScratchSize: 0
; MemoryBound: 0
; FloatMode: 240
; IeeeMode: 1
; LDSByteSize: 0 bytes/workgroup (compile time only)
; SGPRBlocks: 3
; VGPRBlocks: 1
; NumSGPRsForWavesPerEU: 28
; NumVGPRsForWavesPerEU: 14
; AccumOffset: 16
; Occupancy: 8
; WaveLimiterHint : 0
; COMPUTE_PGM_RSRC2:SCRATCH_EN: 0
; COMPUTE_PGM_RSRC2:USER_SGPR: 2
; COMPUTE_PGM_RSRC2:TRAP_HANDLER: 0
; COMPUTE_PGM_RSRC2:TGID_X_EN: 1
; COMPUTE_PGM_RSRC2:TGID_Y_EN: 0
; COMPUTE_PGM_RSRC2:TGID_Z_EN: 1
; COMPUTE_PGM_RSRC2:TIDIG_COMP_CNT: 0
; COMPUTE_PGM_RSRC3_GFX90A:ACCUM_OFFSET: 3
; COMPUTE_PGM_RSRC3_GFX90A:TG_SPLIT: 0
	.section	.text._ZL26rocblas_hemvn_kernel_lowerILb1ELi64ELi4ELi33ELi32ELi16Ei19rocblas_complex_numIfEPKS1_PS1_EviT6_lT7_lT5_lS6_lS7_lS5_lT8_i,"axG",@progbits,_ZL26rocblas_hemvn_kernel_lowerILb1ELi64ELi4ELi33ELi32ELi16Ei19rocblas_complex_numIfEPKS1_PS1_EviT6_lT7_lT5_lS6_lS7_lS5_lT8_i,comdat
	.globl	_ZL26rocblas_hemvn_kernel_lowerILb1ELi64ELi4ELi33ELi32ELi16Ei19rocblas_complex_numIfEPKS1_PS1_EviT6_lT7_lT5_lS6_lS7_lS5_lT8_i ; -- Begin function _ZL26rocblas_hemvn_kernel_lowerILb1ELi64ELi4ELi33ELi32ELi16Ei19rocblas_complex_numIfEPKS1_PS1_EviT6_lT7_lT5_lS6_lS7_lS5_lT8_i
	.p2align	8
	.type	_ZL26rocblas_hemvn_kernel_lowerILb1ELi64ELi4ELi33ELi32ELi16Ei19rocblas_complex_numIfEPKS1_PS1_EviT6_lT7_lT5_lS6_lS7_lS5_lT8_i,@function
_ZL26rocblas_hemvn_kernel_lowerILb1ELi64ELi4ELi33ELi32ELi16Ei19rocblas_complex_numIfEPKS1_PS1_EviT6_lT7_lT5_lS6_lS7_lS5_lT8_i: ; @_ZL26rocblas_hemvn_kernel_lowerILb1ELi64ELi4ELi33ELi32ELi16Ei19rocblas_complex_numIfEPKS1_PS1_EviT6_lT7_lT5_lS6_lS7_lS5_lT8_i
; %bb.0:
	s_load_dwordx2 s[6:7], s[0:1], 0x84
	s_add_u32 s4, s0, 0x78
	s_addc_u32 s5, s1, 0
	s_waitcnt lgkmcnt(0)
	s_lshr_b32 s8, s6, 16
	s_and_b32 s6, s6, 0xffff
	s_and_b32 s7, s7, 0xffff
	s_mul_i32 s6, s8, s6
	s_mul_i32 s6, s6, s7
	s_cmpk_lg_i32 s6, 0x100
	s_cbranch_scc1 .LBB14_145
; %bb.1:
	s_load_dwordx2 s[6:7], s[0:1], 0x4
	s_mov_b64 s[8:9], -1
	s_waitcnt lgkmcnt(0)
	s_or_b32 s6, s6, s7
	s_bitset0_b32 s6, 31
	s_cmp_lg_u32 s6, 0
	s_cselect_b64 s[6:7], -1, 0
	s_and_b64 vcc, exec, s[6:7]
	s_cbranch_vccnz .LBB14_3
; %bb.2:
	s_load_dwordx2 s[8:9], s[0:1], 0x58
	s_waitcnt lgkmcnt(0)
	v_cmp_neq_f32_e64 s[10:11], s8, 1.0
	v_cmp_neq_f32_e64 s[8:9], s9, 0
	s_or_b64 s[8:9], s[10:11], s[8:9]
.LBB14_3:
	s_andn2_b64 vcc, exec, s[8:9]
	s_cbranch_vccnz .LBB14_145
; %bb.4:
	s_andn2_b64 vcc, exec, s[6:7]
	s_cbranch_vccnz .LBB14_145
; %bb.5:
	s_load_dwordx2 s[6:7], s[0:1], 0x40
	s_load_dwordx2 s[12:13], s[0:1], 0x50
	s_load_dword s33, s[0:1], 0x48
	s_load_dword s39, s[4:5], 0x0
	;; [unrolled: 1-line block ×3, first 2 shown]
	s_load_dwordx4 s[8:11], s[0:1], 0x30
	s_waitcnt lgkmcnt(0)
	s_mul_i32 s4, s13, s3
	s_mul_hi_u32 s5, s12, s3
	s_add_i32 s5, s5, s4
	s_mul_i32 s4, s12, s3
	s_lshl_b64 s[4:5], s[4:5], 3
	s_add_u32 s10, s10, s4
	s_addc_u32 s11, s11, s5
	s_lshl_b64 s[4:5], s[6:7], 3
	s_add_u32 s4, s10, s4
	s_addc_u32 s5, s11, s5
	s_ashr_i32 s40, s38, 31
	s_lshr_b32 s7, s40, 26
	v_and_b32_e32 v34, 0x3ff, v0
	s_lshl_b32 s26, s2, 6
	s_add_i32 s7, s38, s7
	s_andn2_b32 s7, s7, 63
	v_add_u32_e32 v32, s26, v34
	v_bfe_u32 v33, v0, 10, 10
	s_add_i32 s6, s39, -1
	s_sub_i32 s7, s38, s7
	v_mul_lo_u32 v0, s33, v32
	s_cmp_eq_u32 s2, s6
	v_ashrrev_i32_e32 v1, 31, v0
	s_cselect_b32 s24, s7, 0
	v_lshl_add_u64 v[16:17], v[0:1], 3, s[4:5]
	v_cmp_ne_u32_e64 s[4:5], 0, v33
	v_cmp_eq_u32_e64 s[18:19], 0, v33
	s_and_saveexec_b64 s[6:7], s[18:19]
	s_cbranch_execz .LBB14_10
; %bb.6:
	s_cmp_lg_u32 s24, 0
	s_cselect_b64 s[10:11], -1, 0
	v_cmp_le_i32_e32 vcc, s24, v34
	v_mov_b32_e32 v0, 0x2380
	s_and_b64 s[10:11], s[10:11], vcc
	v_lshl_add_u32 v0, v34, 3, v0
	s_and_saveexec_b64 s[12:13], s[10:11]
	s_xor_b64 s[10:11], exec, s[12:13]
; %bb.7:
	v_mov_b32_e32 v2, 0
	v_mov_b32_e32 v3, v2
	ds_write_b64 v0, v[2:3]
                                        ; implicit-def: $vgpr0
; %bb.8:
	s_andn2_saveexec_b64 s[10:11], s[10:11]
	s_cbranch_execz .LBB14_10
; %bb.9:
	global_load_dwordx2 v[2:3], v[16:17], off
	s_waitcnt vmcnt(0)
	ds_write_b64 v0, v[2:3]
.LBB14_10:
	s_or_b64 exec, exec, s[6:7]
	s_load_dwordx4 s[12:15], s[0:1], 0x18
	s_load_dword s22, s[0:1], 0x28
	s_mul_i32 s6, s9, s3
	s_mul_hi_u32 s7, s8, s3
	s_add_i32 s7, s7, s6
	s_mul_i32 s6, s8, s3
	s_lshl_b64 s[6:7], s[6:7], 3
	s_waitcnt lgkmcnt(0)
	s_add_u32 s8, s12, s6
	s_addc_u32 s9, s13, s7
	s_lshl_b64 s[6:7], s[14:15], 3
	s_add_u32 s8, s8, s6
	s_addc_u32 s9, s9, s7
	s_ashr_i32 s27, s26, 31
	v_lshl_add_u32 v22, v33, 6, v34
	s_lshl_b64 s[6:7], s[26:27], 3
	v_and_b32_e32 v2, 31, v34
	v_lshrrev_b32_e32 v8, 5, v22
	s_add_u32 s6, s8, s6
	s_mul_i32 s28, s22, s26
	s_addc_u32 s7, s9, s7
	v_mad_u64_u32 v[18:19], s[8:9], s22, v8, v[2:3]
	s_ashr_i32 s29, s28, 31
	v_ashrrev_i32_e32 v19, 31, v18
	s_cmp_lg_u32 s24, 0
	v_lshl_add_u64 v[0:1], v[18:19], 3, s[6:7]
	s_cselect_b64 s[30:31], -1, 0
	s_cmp_eq_u32 s24, 0
	v_lshl_add_u64 v[4:5], s[28:29], 3, v[0:1]
	s_cselect_b64 s[20:21], -1, 0
	s_mov_b64 s[6:7], -1
	s_and_b64 vcc, exec, s[30:31]
	s_cbranch_vccnz .LBB14_12
; %bb.11:
	s_lshl_b32 s6, s22, 3
	s_ashr_i32 s7, s6, 31
	s_ashr_i32 s23, s22, 31
	v_lshl_add_u64 v[0:1], s[6:7], 3, v[4:5]
	s_lshl_b64 s[6:7], s[22:23], 6
	v_lshl_add_u64 v[6:7], v[0:1], 0, s[6:7]
	v_lshl_add_u64 v[10:11], v[6:7], 0, s[6:7]
	global_load_dwordx2 v[12:13], v[4:5], off
	global_load_dwordx2 v[14:15], v[0:1], off
	;; [unrolled: 1-line block ×4, first 2 shown]
	v_mul_u32_u24_e32 v0, 0x108, v8
	v_lshl_add_u32 v0, v2, 3, v0
	s_mov_b64 s[6:7], 0
	s_waitcnt vmcnt(3)
	ds_write_b64 v0, v[12:13]
	s_waitcnt vmcnt(2)
	ds_write_b64 v0, v[14:15] offset:2112
	s_waitcnt vmcnt(1)
	ds_write_b64 v0, v[20:21] offset:4224
	;; [unrolled: 2-line block ×3, first 2 shown]
.LBB14_12:
	s_andn2_b64 vcc, exec, s[6:7]
	v_lshlrev_b32_e32 v0, 3, v2
	s_cbranch_vccnz .LBB14_28
; %bb.13:
	v_sub_co_u32_e32 v6, vcc, v4, v0
	s_ashr_i32 s25, s24, 31
	s_nop 0
	v_subbrev_co_u32_e32 v7, vcc, 0, v5, vcc
	v_lshl_add_u64 v[6:7], s[24:25], 3, v[6:7]
	v_mov_b32_e32 v10, 0
	v_lshl_add_u64 v[6:7], v[6:7], 0, -8
	v_cmp_gt_i32_e32 vcc, s24, v2
	v_cmp_gt_i32_e64 s[6:7], s24, v8
	v_mov_b32_e32 v11, v10
	v_cndmask_b32_e32 v7, v7, v5, vcc
	v_cndmask_b32_e32 v6, v6, v4, vcc
	s_and_saveexec_b64 s[8:9], s[6:7]
	s_cbranch_execz .LBB14_15
; %bb.14:
	global_load_dwordx2 v[10:11], v[6:7], off
.LBB14_15:
	s_or_b64 exec, exec, s[8:9]
	s_movk_i32 s6, 0x108
	v_mad_u32_u24 v3, v8, s6, v0
	s_waitcnt vmcnt(0)
	ds_write_b64 v3, v[10:11]
	v_add_u32_e32 v3, 8, v8
	v_mul_u32_u24_e32 v1, 0x108, v8
	v_cmp_le_i32_e64 s[6:7], s24, v3
	s_and_saveexec_b64 s[8:9], s[6:7]
	s_xor_b64 s[6:7], exec, s[8:9]
; %bb.16:
	v_mov_b32_e32 v10, 0
	v_add_u32_e32 v3, v1, v0
	v_mov_b32_e32 v11, v10
	ds_write_b64 v3, v[10:11] offset:2112
; %bb.17:
	s_andn2_saveexec_b64 s[6:7], s[6:7]
	s_cbranch_execz .LBB14_19
; %bb.18:
	s_lshl_b32 s8, s22, 3
	s_ashr_i32 s9, s8, 31
	v_lshl_add_u64 v[10:11], s[8:9], 3, v[6:7]
	global_load_dwordx2 v[10:11], v[10:11], off
	v_add_u32_e32 v3, v1, v0
	s_waitcnt vmcnt(0)
	ds_write_b64 v3, v[10:11] offset:2112
.LBB14_19:
	s_or_b64 exec, exec, s[6:7]
	v_add_u32_e32 v3, 16, v8
	v_cmp_le_i32_e64 s[6:7], s24, v3
	s_and_saveexec_b64 s[8:9], s[6:7]
	s_xor_b64 s[6:7], exec, s[8:9]
; %bb.20:
	v_mov_b32_e32 v10, 0
	v_add_u32_e32 v3, v1, v0
	v_mov_b32_e32 v11, v10
	ds_write_b64 v3, v[10:11] offset:4224
; %bb.21:
	s_andn2_saveexec_b64 s[6:7], s[6:7]
	s_cbranch_execz .LBB14_23
; %bb.22:
	s_lshl_b32 s8, s22, 4
	s_ashr_i32 s9, s8, 31
	v_lshl_add_u64 v[10:11], s[8:9], 3, v[6:7]
	global_load_dwordx2 v[10:11], v[10:11], off
	v_add_u32_e32 v3, v1, v0
	s_waitcnt vmcnt(0)
	ds_write_b64 v3, v[10:11] offset:4224
.LBB14_23:
	s_or_b64 exec, exec, s[6:7]
	v_add_u32_e32 v3, 24, v8
	v_cmp_le_i32_e64 s[6:7], s24, v3
	s_and_saveexec_b64 s[8:9], s[6:7]
	s_xor_b64 s[6:7], exec, s[8:9]
; %bb.24:
	v_mov_b32_e32 v10, 0
	v_add_u32_e32 v1, v1, v0
	v_mov_b32_e32 v11, v10
	ds_write_b64 v1, v[10:11] offset:6336
                                        ; implicit-def: $vgpr1
; %bb.25:
	s_andn2_saveexec_b64 s[6:7], s[6:7]
	s_cbranch_execz .LBB14_27
; %bb.26:
	s_mul_i32 s8, s22, 24
	s_ashr_i32 s9, s8, 31
	v_lshl_add_u64 v[10:11], s[8:9], 3, v[6:7]
	global_load_dwordx2 v[10:11], v[10:11], off
	v_add_u32_e32 v1, v1, v0
	s_waitcnt vmcnt(0)
	ds_write_b64 v1, v[10:11] offset:6336
.LBB14_27:
	s_or_b64 exec, exec, s[6:7]
	v_mov_b32_e32 v1, 0
	v_lshl_add_u64 v[6:7], v[6:7], 0, v[0:1]
	s_lshl_b64 s[6:7], s[24:25], 3
	v_mov_b32_e32 v1, s7
	v_subrev_co_u32_e64 v6, s[6:7], s6, v6
	s_nop 1
	v_subb_co_u32_e64 v7, s[6:7], v7, v1, s[6:7]
	v_lshl_add_u64 v[6:7], v[6:7], 0, 8
	v_cndmask_b32_e32 v5, v7, v5, vcc
	v_cndmask_b32_e32 v4, v6, v4, vcc
.LBB14_28:
	v_lshlrev_b32_e32 v9, 2, v8
	v_mul_u32_u24_e32 v3, 0x108, v2
	v_cmp_ge_u32_e64 s[8:9], v9, v2
	s_mov_b64 s[6:7], 0
	s_waitcnt lgkmcnt(0)
	s_barrier
                                        ; implicit-def: $vgpr6
	s_and_saveexec_b64 s[10:11], s[8:9]
	s_xor_b64 s[10:11], exec, s[10:11]
	s_cbranch_execz .LBB14_32
; %bb.29:
	v_cmp_eq_u32_e32 vcc, v9, v2
                                        ; implicit-def: $vgpr6
	s_and_saveexec_b64 s[12:13], vcc
	s_xor_b64 s[12:13], exec, s[12:13]
; %bb.30:
	s_mov_b64 s[6:7], exec
	v_add_u32_e32 v6, v0, v3
; %bb.31:
	s_or_b64 exec, exec, s[12:13]
	s_and_b64 s[6:7], s[6:7], exec
.LBB14_32:
	s_or_saveexec_b64 s[10:11], s[10:11]
	v_lshl_or_b32 v1, v2, 8, v0
	v_mov_b32_e32 v7, 0
	s_xor_b64 exec, exec, s[10:11]
	s_cbranch_execz .LBB14_34
; %bb.33:
	s_movk_i32 s12, 0x420
	v_mad_u32_u24 v6, v8, s12, v0
	ds_read_b64 v[10:11], v6
	v_lshl_add_u32 v6, v9, 3, v1
	s_or_b64 s[6:7], s[6:7], exec
	s_waitcnt lgkmcnt(0)
	v_xor_b32_e32 v7, 0x80000000, v11
	ds_write_b32 v6, v10
.LBB14_34:
	s_or_b64 exec, exec, s[10:11]
	s_and_saveexec_b64 s[10:11], s[6:7]
; %bb.35:
	ds_write_b32 v6, v7 offset:4
; %bb.36:
	s_or_b64 exec, exec, s[10:11]
	v_or_b32_e32 v10, 1, v9
	v_cmp_ge_u32_e64 s[10:11], v10, v2
	s_mov_b64 s[6:7], 0
                                        ; implicit-def: $vgpr6
	s_and_saveexec_b64 s[12:13], s[10:11]
	s_xor_b64 s[12:13], exec, s[12:13]
	s_cbranch_execnz .LBB14_96
; %bb.37:
	s_or_saveexec_b64 s[12:13], s[12:13]
	v_mov_b32_e32 v7, 0
	s_xor_b64 exec, exec, s[12:13]
	s_cbranch_execnz .LBB14_99
.LBB14_38:
	s_or_b64 exec, exec, s[12:13]
	s_and_saveexec_b64 s[12:13], s[6:7]
.LBB14_39:
	ds_write_b32 v6, v7 offset:4
.LBB14_40:
	s_or_b64 exec, exec, s[12:13]
	v_or_b32_e32 v11, 2, v9
	v_cmp_ge_u32_e64 s[12:13], v11, v2
	s_mov_b64 s[6:7], 0
                                        ; implicit-def: $vgpr6
	s_and_saveexec_b64 s[14:15], s[12:13]
	s_xor_b64 s[14:15], exec, s[14:15]
	s_cbranch_execnz .LBB14_100
; %bb.41:
	s_or_saveexec_b64 s[14:15], s[14:15]
	v_mov_b32_e32 v7, 0
	s_xor_b64 exec, exec, s[14:15]
	s_cbranch_execnz .LBB14_103
.LBB14_42:
	s_or_b64 exec, exec, s[14:15]
	s_and_saveexec_b64 s[14:15], s[6:7]
.LBB14_43:
	ds_write_b32 v6, v7 offset:4
.LBB14_44:
	s_or_b64 exec, exec, s[14:15]
	v_or_b32_e32 v12, 3, v9
	v_cmp_ge_u32_e64 s[14:15], v12, v2
	s_mov_b64 s[6:7], 0
                                        ; implicit-def: $vgpr6
	s_and_saveexec_b64 s[16:17], s[14:15]
	s_xor_b64 s[16:17], exec, s[16:17]
	s_cbranch_execnz .LBB14_104
; %bb.45:
	s_or_saveexec_b64 s[16:17], s[16:17]
	v_mov_b32_e32 v7, 0
	s_xor_b64 exec, exec, s[16:17]
	s_cbranch_execnz .LBB14_107
.LBB14_46:
	s_or_b64 exec, exec, s[16:17]
	s_and_saveexec_b64 s[16:17], s[6:7]
.LBB14_47:
	ds_write_b32 v6, v7 offset:4
.LBB14_48:
	s_or_b64 exec, exec, s[16:17]
	s_movk_i32 s6, 0x420
	v_mad_u32_u24 v1, v8, s6, v0
	s_movk_i32 s6, 0x108
	v_mad_u32_u24 v14, v10, s6, v0
	s_waitcnt lgkmcnt(0)
	s_barrier
	v_lshlrev_b32_e32 v13, 3, v9
	ds_read2_b64 v[26:29], v14 offset1:33
	ds_read_b64 v[6:7], v1
	ds_read_b128 v[36:39], v13 offset:9088
	v_mul_u32_u24_e32 v15, 33, v2
	v_lshlrev_b32_e32 v23, 3, v15
	ds_read_b64 v[14:15], v14 offset:528
	ds_read_b128 v[40:43], v13 offset:9104
	v_lshl_add_u32 v24, v8, 3, v23
	s_waitcnt lgkmcnt(2)
	v_pk_mul_f32 v[20:21], v[36:37], v[6:7] op_sel:[1,1] op_sel_hi:[0,1]
	v_pk_fma_f32 v[30:31], v[36:37], v[6:7], v[20:21] neg_lo:[0,0,1] neg_hi:[0,0,1]
	v_pk_fma_f32 v[6:7], v[36:37], v[6:7], v[20:21] op_sel_hi:[1,0,1]
	v_pk_mul_f32 v[20:21], v[38:39], v[26:27] op_sel:[1,1] op_sel_hi:[0,1]
	v_mov_b32_e32 v31, v7
	v_pk_add_f32 v[6:7], v[30:31], 0 op_sel_hi:[1,0]
	v_pk_fma_f32 v[30:31], v[38:39], v[26:27], v[20:21] neg_lo:[0,0,1] neg_hi:[0,0,1]
	v_pk_fma_f32 v[20:21], v[38:39], v[26:27], v[20:21] op_sel_hi:[1,0,1]
	v_mov_b32_e32 v36, 0
	v_mov_b32_e32 v31, v21
	s_waitcnt lgkmcnt(0)
	v_pk_mul_f32 v[20:21], v[40:41], v[28:29] op_sel:[1,1] op_sel_hi:[0,1]
	v_pk_fma_f32 v[26:27], v[40:41], v[28:29], v[20:21] neg_lo:[0,0,1] neg_hi:[0,0,1]
	v_pk_fma_f32 v[20:21], v[40:41], v[28:29], v[20:21] op_sel_hi:[1,0,1]
	v_pk_add_f32 v[6:7], v[6:7], v[30:31]
	v_mov_b32_e32 v27, v21
	v_pk_mul_f32 v[20:21], v[42:43], v[14:15] op_sel:[1,1] op_sel_hi:[0,1]
	v_pk_add_f32 v[6:7], v[6:7], v[26:27]
	v_pk_fma_f32 v[26:27], v[42:43], v[14:15], v[20:21] neg_lo:[0,0,1] neg_hi:[0,0,1]
	v_pk_fma_f32 v[14:15], v[42:43], v[14:15], v[20:21] op_sel_hi:[1,0,1]
	v_mov_b32_e32 v37, v36
	v_mov_b32_e32 v27, v15
	v_pk_add_f32 v[6:7], v[6:7], v[26:27]
	v_cmp_gt_u32_e64 s[6:7], 32, v22
	s_barrier
	ds_write_b64 v24, v[6:7]
	s_waitcnt lgkmcnt(0)
	s_barrier
	s_and_saveexec_b64 s[16:17], s[6:7]
	s_cbranch_execz .LBB14_50
; %bb.49:
	ds_read2_b64 v[26:29], v23 offset1:7
	ds_read2_b64 v[36:39], v23 offset0:1 offset1:2
	ds_read2_b64 v[40:43], v23 offset0:3 offset1:4
	s_waitcnt lgkmcnt(1)
	v_add_f32_e32 v1, v36, v26
	v_add_f32_e32 v6, v37, v27
	;; [unrolled: 1-line block ×4, first 2 shown]
	ds_read2_b64 v[36:39], v23 offset0:5 offset1:6
	s_waitcnt lgkmcnt(1)
	v_add_f32_e32 v1, v1, v40
	v_add_f32_e32 v6, v6, v41
	;; [unrolled: 1-line block ×4, first 2 shown]
	s_waitcnt lgkmcnt(0)
	v_add_f32_e32 v1, v1, v36
	v_add_f32_e32 v7, v6, v37
	;; [unrolled: 1-line block ×4, first 2 shown]
	v_pk_add_f32 v[36:37], v[6:7], v[28:29]
.LBB14_50:
	s_or_b64 exec, exec, s[16:17]
	s_lshl_b32 s34, s22, 5
	s_ashr_i32 s35, s34, 31
	v_cndmask_b32_e64 v1, 0, 1, s[20:21]
	v_lshl_add_u64 v[6:7], s[34:35], 3, v[4:5]
	s_mov_b64 s[36:37], 0x100
	v_cmp_ne_u32_e64 s[16:17], 1, v1
	s_andn2_b64 vcc, exec, s[20:21]
	s_mov_b64 s[20:21], -1
	s_barrier
	s_cbranch_vccnz .LBB14_52
; %bb.51:
	s_lshl_b32 s20, s22, 3
	s_ashr_i32 s21, s20, 31
	s_ashr_i32 s23, s22, 31
	v_lshl_add_u64 v[4:5], s[20:21], 3, v[6:7]
	s_lshl_b64 s[20:21], s[22:23], 6
	v_lshl_add_u64 v[14:15], v[4:5], 0, s[20:21]
	v_lshl_add_u64 v[20:21], v[14:15], 0, s[20:21]
	global_load_dwordx2 v[26:27], v[6:7], off offset:256
	global_load_dwordx2 v[28:29], v[4:5], off offset:256
	;; [unrolled: 1-line block ×4, first 2 shown]
	s_movk_i32 s20, 0x108
	v_mad_u32_u24 v1, v8, s20, v0
	s_mov_b64 s[20:21], 0
	s_waitcnt vmcnt(3)
	ds_write_b64 v1, v[26:27]
	s_waitcnt vmcnt(2)
	ds_write_b64 v1, v[28:29] offset:2112
	s_waitcnt vmcnt(1)
	ds_write_b64 v1, v[30:31] offset:4224
	;; [unrolled: 2-line block ×3, first 2 shown]
.LBB14_52:
	s_andn2_b64 vcc, exec, s[20:21]
	v_lshl_add_u64 v[4:5], v[6:7], 0, s[36:37]
	s_cbranch_vccnz .LBB14_68
; %bb.53:
	v_sub_co_u32_e32 v6, vcc, v6, v0
	s_ashr_i32 s25, s24, 31
	s_nop 0
	v_subbrev_co_u32_e32 v7, vcc, 0, v7, vcc
	v_or_b32_e32 v1, 32, v2
	v_lshl_add_u64 v[6:7], s[24:25], 3, v[6:7]
	v_mov_b32_e32 v14, 0
	v_lshl_add_u64 v[6:7], v[6:7], 0, -8
	v_cmp_gt_i32_e32 vcc, s24, v1
	s_sub_i32 s23, s24, 32
	v_cmp_gt_i32_e64 s[20:21], s23, v8
	v_cndmask_b32_e32 v7, v7, v5, vcc
	v_cndmask_b32_e32 v6, v6, v4, vcc
	v_mov_b32_e32 v15, v14
	s_and_saveexec_b64 s[36:37], s[20:21]
	s_cbranch_execz .LBB14_55
; %bb.54:
	global_load_dwordx2 v[14:15], v[6:7], off
.LBB14_55:
	s_or_b64 exec, exec, s[36:37]
	s_movk_i32 s20, 0x108
	v_mad_u32_u24 v20, v8, s20, v0
	s_waitcnt vmcnt(0)
	ds_write_b64 v20, v[14:15]
	v_add_u32_e32 v14, 8, v8
	v_mul_u32_u24_e32 v1, 0x108, v8
	v_cmp_le_i32_e64 s[20:21], s23, v14
	s_and_saveexec_b64 s[36:37], s[20:21]
	s_xor_b64 s[20:21], exec, s[36:37]
; %bb.56:
	v_mov_b32_e32 v20, 0
	v_add_u32_e32 v14, v1, v0
	v_mov_b32_e32 v21, v20
	ds_write_b64 v14, v[20:21] offset:2112
; %bb.57:
	s_andn2_saveexec_b64 s[20:21], s[20:21]
	s_cbranch_execz .LBB14_59
; %bb.58:
	s_lshl_b32 s36, s22, 3
	s_ashr_i32 s37, s36, 31
	v_lshl_add_u64 v[14:15], s[36:37], 3, v[6:7]
	global_load_dwordx2 v[14:15], v[14:15], off
	v_add_u32_e32 v20, v1, v0
	s_waitcnt vmcnt(0)
	ds_write_b64 v20, v[14:15] offset:2112
.LBB14_59:
	s_or_b64 exec, exec, s[20:21]
	v_add_u32_e32 v14, 16, v8
	v_cmp_le_i32_e64 s[20:21], s23, v14
	s_and_saveexec_b64 s[36:37], s[20:21]
	s_xor_b64 s[20:21], exec, s[36:37]
; %bb.60:
	v_mov_b32_e32 v20, 0
	v_add_u32_e32 v14, v1, v0
	v_mov_b32_e32 v21, v20
	ds_write_b64 v14, v[20:21] offset:4224
; %bb.61:
	s_andn2_saveexec_b64 s[20:21], s[20:21]
	s_cbranch_execz .LBB14_63
; %bb.62:
	s_lshl_b32 s36, s22, 4
	s_ashr_i32 s37, s36, 31
	v_lshl_add_u64 v[14:15], s[36:37], 3, v[6:7]
	global_load_dwordx2 v[14:15], v[14:15], off
	v_add_u32_e32 v20, v1, v0
	s_waitcnt vmcnt(0)
	ds_write_b64 v20, v[14:15] offset:4224
.LBB14_63:
	s_or_b64 exec, exec, s[20:21]
	v_add_u32_e32 v14, 24, v8
	v_cmp_le_i32_e64 s[20:21], s23, v14
	s_and_saveexec_b64 s[36:37], s[20:21]
	s_xor_b64 s[20:21], exec, s[36:37]
; %bb.64:
	v_mov_b32_e32 v14, 0
	v_add_u32_e32 v1, v1, v0
	v_mov_b32_e32 v15, v14
	ds_write_b64 v1, v[14:15] offset:6336
                                        ; implicit-def: $vgpr1
; %bb.65:
	s_andn2_saveexec_b64 s[20:21], s[20:21]
	s_cbranch_execz .LBB14_67
; %bb.66:
	s_mul_i32 s36, s22, 24
	s_ashr_i32 s37, s36, 31
	v_lshl_add_u64 v[14:15], s[36:37], 3, v[6:7]
	global_load_dwordx2 v[14:15], v[14:15], off
	v_add_u32_e32 v1, v1, v0
	s_waitcnt vmcnt(0)
	ds_write_b64 v1, v[14:15] offset:6336
.LBB14_67:
	s_or_b64 exec, exec, s[20:21]
	v_mov_b32_e32 v1, 0
	v_lshl_add_u64 v[6:7], v[6:7], 0, v[0:1]
	s_lshl_b64 s[20:21], s[24:25], 3
	v_mov_b32_e32 v1, s21
	v_subrev_co_u32_e64 v6, s[20:21], s20, v6
	s_nop 1
	v_subb_co_u32_e64 v7, s[20:21], v7, v1, s[20:21]
	s_mov_b64 s[20:21], 0x108
	s_nop 0
	v_lshl_add_u64 v[6:7], v[6:7], 0, s[20:21]
	v_cndmask_b32_e32 v5, v7, v5, vcc
	v_cndmask_b32_e32 v4, v6, v4, vcc
.LBB14_68:
	v_mul_u32_u24_e32 v1, 0x420, v8
	v_add_u32_e32 v6, 0x2380, v13
	v_mul_u32_u24_e32 v7, 0x108, v10
	s_mov_b64 s[20:21], 0
	s_waitcnt lgkmcnt(0)
	s_barrier
                                        ; implicit-def: $vgpr13
	s_and_saveexec_b64 s[36:37], s[8:9]
	s_xor_b64 s[8:9], exec, s[36:37]
	s_cbranch_execz .LBB14_72
; %bb.69:
	v_cmp_eq_u32_e32 vcc, v9, v2
                                        ; implicit-def: $vgpr13
	s_and_saveexec_b64 s[36:37], vcc
	s_xor_b64 s[36:37], exec, s[36:37]
; %bb.70:
	s_mov_b64 s[20:21], exec
	v_add_u32_e32 v13, v0, v3
; %bb.71:
	s_or_b64 exec, exec, s[36:37]
	s_and_b64 s[20:21], s[20:21], exec
.LBB14_72:
	s_or_saveexec_b64 s[8:9], s[8:9]
	v_mov_b32_e32 v14, 0
	v_add_u32_e32 v1, v0, v1
	s_xor_b64 exec, exec, s[8:9]
	s_cbranch_execz .LBB14_74
; %bb.73:
	ds_read_b64 v[20:21], v1
	v_lshl_add_u32 v13, v9, 3, v23
	s_or_b64 s[20:21], s[20:21], exec
	s_waitcnt lgkmcnt(0)
	v_xor_b32_e32 v14, 0x80000000, v21
	ds_write_b32 v13, v20
.LBB14_74:
	s_or_b64 exec, exec, s[8:9]
	s_and_saveexec_b64 s[8:9], s[20:21]
; %bb.75:
	ds_write_b32 v13, v14 offset:4
; %bb.76:
	s_or_b64 exec, exec, s[8:9]
	s_mov_b64 s[8:9], 0
                                        ; implicit-def: $vgpr13
	s_and_saveexec_b64 s[20:21], s[10:11]
	s_xor_b64 s[10:11], exec, s[20:21]
	s_cbranch_execz .LBB14_80
; %bb.77:
	v_cmp_eq_u32_e32 vcc, v10, v2
                                        ; implicit-def: $vgpr13
	s_and_saveexec_b64 s[20:21], vcc
; %bb.78:
	s_mov_b64 s[8:9], exec
	v_add_u32_e32 v13, v0, v3
; %bb.79:
	s_or_b64 exec, exec, s[20:21]
	s_and_b64 s[8:9], s[8:9], exec
.LBB14_80:
	s_or_saveexec_b64 s[10:11], s[10:11]
	v_mov_b32_e32 v10, 0
	v_add_u32_e32 v7, v0, v7
	s_xor_b64 exec, exec, s[10:11]
	s_cbranch_execz .LBB14_82
; %bb.81:
	ds_read_b64 v[14:15], v7
	v_lshl_add_u32 v20, v9, 3, v23
	v_add_u32_e32 v13, 8, v20
	s_or_b64 s[8:9], s[8:9], exec
	s_waitcnt lgkmcnt(0)
	v_xor_b32_e32 v10, 0x80000000, v15
	ds_write_b32 v20, v14 offset:8
.LBB14_82:
	s_or_b64 exec, exec, s[10:11]
	s_and_saveexec_b64 s[10:11], s[8:9]
; %bb.83:
	ds_write_b32 v13, v10 offset:4
; %bb.84:
	s_or_b64 exec, exec, s[10:11]
	s_mov_b64 s[8:9], 0
                                        ; implicit-def: $vgpr10
	s_and_saveexec_b64 s[10:11], s[12:13]
	s_xor_b64 s[10:11], exec, s[10:11]
	s_cbranch_execnz .LBB14_108
; %bb.85:
	s_or_saveexec_b64 s[10:11], s[10:11]
	v_mov_b32_e32 v11, 0
	s_xor_b64 exec, exec, s[10:11]
	s_cbranch_execnz .LBB14_111
.LBB14_86:
	s_or_b64 exec, exec, s[10:11]
	s_and_saveexec_b64 s[10:11], s[8:9]
.LBB14_87:
	ds_write_b32 v10, v11 offset:4
.LBB14_88:
	s_or_b64 exec, exec, s[10:11]
	s_mov_b64 s[8:9], 0
                                        ; implicit-def: $vgpr10
	s_and_saveexec_b64 s[10:11], s[14:15]
	s_xor_b64 s[10:11], exec, s[10:11]
	s_cbranch_execnz .LBB14_112
; %bb.89:
	s_or_saveexec_b64 s[10:11], s[10:11]
	v_mov_b32_e32 v3, 0
	s_xor_b64 exec, exec, s[10:11]
	s_cbranch_execnz .LBB14_115
.LBB14_90:
	s_or_b64 exec, exec, s[10:11]
	s_and_saveexec_b64 s[10:11], s[8:9]
.LBB14_91:
	ds_write_b32 v10, v3 offset:4
.LBB14_92:
	s_or_b64 exec, exec, s[10:11]
	s_waitcnt lgkmcnt(0)
	s_barrier
	ds_read_b64 v[14:15], v1
	ds_read_b128 v[10:13], v6 offset:256
	ds_read2_b64 v[26:29], v7 offset1:33
	ds_read_b64 v[20:21], v7 offset:528
	ds_read_b128 v[38:41], v6 offset:272
	v_cmp_eq_u32_e64 s[8:9], 1, v8
	s_waitcnt lgkmcnt(3)
	v_pk_mul_f32 v[30:31], v[10:11], v[14:15] op_sel:[1,1] op_sel_hi:[0,1]
	v_pk_fma_f32 v[42:43], v[10:11], v[14:15], v[30:31] neg_lo:[0,0,1] neg_hi:[0,0,1]
	v_pk_fma_f32 v[10:11], v[10:11], v[14:15], v[30:31] op_sel_hi:[1,0,1]
	s_waitcnt lgkmcnt(2)
	v_pk_mul_f32 v[14:15], v[12:13], v[26:27] op_sel:[1,1] op_sel_hi:[0,1]
	v_pk_fma_f32 v[30:31], v[12:13], v[26:27], v[14:15] neg_lo:[0,0,1] neg_hi:[0,0,1]
	v_pk_fma_f32 v[12:13], v[12:13], v[26:27], v[14:15] op_sel_hi:[1,0,1]
	v_mov_b32_e32 v43, v11
	v_mov_b32_e32 v31, v13
	s_waitcnt lgkmcnt(0)
	v_pk_mul_f32 v[12:13], v[38:39], v[28:29] op_sel:[1,1] op_sel_hi:[0,1]
	v_pk_add_f32 v[10:11], v[42:43], 0 op_sel_hi:[1,0]
	v_pk_fma_f32 v[14:15], v[38:39], v[28:29], v[12:13] neg_lo:[0,0,1] neg_hi:[0,0,1]
	v_pk_fma_f32 v[12:13], v[38:39], v[28:29], v[12:13] op_sel_hi:[1,0,1]
	v_pk_add_f32 v[10:11], v[10:11], v[30:31]
	v_mov_b32_e32 v15, v13
	v_pk_mul_f32 v[12:13], v[40:41], v[20:21] op_sel:[1,1] op_sel_hi:[0,1]
	v_pk_add_f32 v[10:11], v[10:11], v[14:15]
	v_pk_fma_f32 v[14:15], v[40:41], v[20:21], v[12:13] neg_lo:[0,0,1] neg_hi:[0,0,1]
	v_pk_fma_f32 v[12:13], v[40:41], v[20:21], v[12:13] op_sel_hi:[1,0,1]
	s_nop 0
	v_mov_b32_e32 v15, v13
	v_pk_add_f32 v[10:11], v[10:11], v[14:15]
	s_barrier
	ds_write_b64 v24, v[10:11]
	s_waitcnt lgkmcnt(0)
	s_barrier
	s_and_saveexec_b64 s[10:11], s[8:9]
	s_cbranch_execz .LBB14_94
; %bb.93:
	ds_read2_b64 v[10:13], v23 offset1:7
	ds_read2_b64 v[26:29], v23 offset0:1 offset1:2
	ds_read2_b64 v[36:39], v23 offset0:3 offset1:4
	s_waitcnt lgkmcnt(1)
	v_add_f32_e32 v1, v26, v10
	v_add_f32_e32 v3, v27, v11
	;; [unrolled: 1-line block ×4, first 2 shown]
	ds_read2_b64 v[26:29], v23 offset0:5 offset1:6
	s_waitcnt lgkmcnt(1)
	v_add_f32_e32 v1, v1, v36
	v_add_f32_e32 v3, v3, v37
	;; [unrolled: 1-line block ×4, first 2 shown]
	s_waitcnt lgkmcnt(0)
	v_add_f32_e32 v10, v1, v26
	v_add_f32_e32 v11, v3, v27
	v_pk_add_f32 v[10:11], v[10:11], v[28:29]
	s_nop 0
	v_pk_add_f32 v[36:37], v[10:11], v[12:13]
.LBB14_94:
	s_or_b64 exec, exec, s[10:11]
	s_lshl_b64 s[10:11], s[34:35], 3
	v_mov_b32_e32 v1, s11
	v_subrev_co_u32_e64 v20, s[10:11], s10, v4
	s_and_b64 vcc, exec, s[16:17]
	s_nop 0
	v_subb_co_u32_e64 v21, s[10:11], v5, v1, s[10:11]
	s_barrier
	s_cbranch_vccnz .LBB14_116
; %bb.95:
	s_lshl_b32 s10, s22, 3
	s_ashr_i32 s11, s10, 31
	s_ashr_i32 s23, s22, 31
	v_lshl_add_u64 v[4:5], s[10:11], 3, v[20:21]
	s_lshl_b64 s[10:11], s[22:23], 6
	v_lshl_add_u64 v[10:11], v[4:5], 0, s[10:11]
	v_lshl_add_u64 v[12:13], v[10:11], 0, s[10:11]
	global_load_dwordx2 v[14:15], v[20:21], off
	global_load_dwordx2 v[26:27], v[4:5], off
	;; [unrolled: 1-line block ×4, first 2 shown]
	s_movk_i32 s10, 0x108
	v_mov_b32_e32 v1, 0x840
	v_mov_b32_e32 v3, 0x1080
	;; [unrolled: 1-line block ×3, first 2 shown]
	v_mul_u32_u24_e32 v4, 0x108, v8
	v_add_u32_e32 v5, 8, v8
	v_add_u32_e32 v7, 16, v8
	;; [unrolled: 1-line block ×3, first 2 shown]
	v_mad_u32_u24 v12, v8, s10, v0
	v_mad_u32_u24 v1, v8, s10, v1
	;; [unrolled: 1-line block ×4, first 2 shown]
	v_add_u32_e32 v13, v0, v1
	v_add_u32_e32 v25, v0, v3
	v_add_u32_e32 v35, v0, v11
	s_waitcnt vmcnt(3)
	ds_write_b64 v12, v[14:15]
	s_waitcnt vmcnt(2)
	ds_write_b64 v13, v[26:27]
	;; [unrolled: 2-line block ×4, first 2 shown]
	s_cbranch_execz .LBB14_117
	s_branch .LBB14_132
.LBB14_96:
	v_cmp_eq_u32_e32 vcc, v10, v2
                                        ; implicit-def: $vgpr6
	s_and_saveexec_b64 s[14:15], vcc
; %bb.97:
	s_mov_b64 s[6:7], exec
	v_add_u32_e32 v6, v0, v3
; %bb.98:
	s_or_b64 exec, exec, s[14:15]
	s_and_b64 s[6:7], s[6:7], exec
	s_or_saveexec_b64 s[12:13], s[12:13]
	v_mov_b32_e32 v7, 0
	s_xor_b64 exec, exec, s[12:13]
	s_cbranch_execz .LBB14_38
.LBB14_99:
	s_movk_i32 s14, 0x108
	v_mad_u32_u24 v6, v10, s14, v0
	ds_read_b64 v[12:13], v6
	v_lshl_add_u32 v11, v9, 3, v1
	v_add_u32_e32 v6, 8, v11
	s_or_b64 s[6:7], s[6:7], exec
	s_waitcnt lgkmcnt(0)
	v_xor_b32_e32 v7, 0x80000000, v13
	ds_write_b32 v11, v12 offset:8
	s_or_b64 exec, exec, s[12:13]
	s_and_saveexec_b64 s[12:13], s[6:7]
	s_cbranch_execnz .LBB14_39
	s_branch .LBB14_40
.LBB14_100:
	v_cmp_eq_u32_e32 vcc, v11, v2
                                        ; implicit-def: $vgpr6
	s_and_saveexec_b64 s[16:17], vcc
; %bb.101:
	s_mov_b64 s[6:7], exec
	v_add_u32_e32 v6, v0, v3
; %bb.102:
	s_or_b64 exec, exec, s[16:17]
	s_and_b64 s[6:7], s[6:7], exec
	s_or_saveexec_b64 s[14:15], s[14:15]
	v_mov_b32_e32 v7, 0
	s_xor_b64 exec, exec, s[14:15]
	s_cbranch_execz .LBB14_42
.LBB14_103:
	s_movk_i32 s16, 0x108
	v_mad_u32_u24 v6, v11, s16, v0
	ds_read_b64 v[12:13], v6
	v_lshl_add_u32 v14, v9, 3, v1
	v_add_u32_e32 v6, 16, v14
	s_or_b64 s[6:7], s[6:7], exec
	s_waitcnt lgkmcnt(0)
	v_xor_b32_e32 v7, 0x80000000, v13
	ds_write_b32 v14, v12 offset:16
	s_or_b64 exec, exec, s[14:15]
	s_and_saveexec_b64 s[14:15], s[6:7]
	s_cbranch_execnz .LBB14_43
	s_branch .LBB14_44
.LBB14_104:
	v_cmp_eq_u32_e32 vcc, v12, v2
                                        ; implicit-def: $vgpr6
	s_and_saveexec_b64 s[34:35], vcc
; %bb.105:
	s_mov_b64 s[6:7], exec
	v_add_u32_e32 v6, v0, v3
; %bb.106:
	s_or_b64 exec, exec, s[34:35]
	s_and_b64 s[6:7], s[6:7], exec
                                        ; implicit-def: $vgpr1
	s_or_saveexec_b64 s[16:17], s[16:17]
	v_mov_b32_e32 v7, 0
	s_xor_b64 exec, exec, s[16:17]
	s_cbranch_execz .LBB14_46
.LBB14_107:
	s_movk_i32 s23, 0x108
	v_mad_u32_u24 v6, v12, s23, v0
	ds_read_b64 v[14:15], v6
	v_lshl_add_u32 v1, v9, 3, v1
	v_add_u32_e32 v6, 24, v1
	s_or_b64 s[6:7], s[6:7], exec
	s_waitcnt lgkmcnt(0)
	v_xor_b32_e32 v7, 0x80000000, v15
	ds_write_b32 v1, v14 offset:24
	s_or_b64 exec, exec, s[16:17]
	s_and_saveexec_b64 s[16:17], s[6:7]
	s_cbranch_execnz .LBB14_47
	s_branch .LBB14_48
.LBB14_108:
	v_cmp_eq_u32_e32 vcc, v11, v2
                                        ; implicit-def: $vgpr10
	s_and_saveexec_b64 s[12:13], vcc
; %bb.109:
	s_mov_b64 s[8:9], exec
	v_add_u32_e32 v10, v0, v3
; %bb.110:
	s_or_b64 exec, exec, s[12:13]
	s_and_b64 s[8:9], s[8:9], exec
	s_or_saveexec_b64 s[10:11], s[10:11]
	v_mov_b32_e32 v11, 0
	s_xor_b64 exec, exec, s[10:11]
	s_cbranch_execz .LBB14_86
.LBB14_111:
	ds_read_b64 v[14:15], v7 offset:264
	v_lshl_add_u32 v13, v9, 3, v23
	v_add_u32_e32 v10, 16, v13
	s_or_b64 s[8:9], s[8:9], exec
	s_waitcnt lgkmcnt(0)
	v_xor_b32_e32 v11, 0x80000000, v15
	ds_write_b32 v13, v14 offset:16
	s_or_b64 exec, exec, s[10:11]
	s_and_saveexec_b64 s[10:11], s[8:9]
	s_cbranch_execnz .LBB14_87
	s_branch .LBB14_88
.LBB14_112:
	v_cmp_eq_u32_e32 vcc, v12, v2
                                        ; implicit-def: $vgpr10
	s_and_saveexec_b64 s[12:13], vcc
; %bb.113:
	s_mov_b64 s[8:9], exec
	v_add_u32_e32 v10, v0, v3
; %bb.114:
	s_or_b64 exec, exec, s[12:13]
	s_and_b64 s[8:9], s[8:9], exec
	s_or_saveexec_b64 s[10:11], s[10:11]
	v_mov_b32_e32 v3, 0
	s_xor_b64 exec, exec, s[10:11]
	s_cbranch_execz .LBB14_90
.LBB14_115:
	ds_read_b64 v[12:13], v7 offset:528
	v_lshl_add_u32 v11, v9, 3, v23
	v_add_u32_e32 v10, 24, v11
	s_or_b64 s[8:9], s[8:9], exec
	s_waitcnt lgkmcnt(0)
	v_xor_b32_e32 v3, 0x80000000, v13
	ds_write_b32 v11, v12 offset:24
	s_or_b64 exec, exec, s[10:11]
	s_and_saveexec_b64 s[10:11], s[8:9]
	s_cbranch_execnz .LBB14_91
	s_branch .LBB14_92
.LBB14_116:
                                        ; implicit-def: $vgpr4
                                        ; implicit-def: $vgpr5
                                        ; implicit-def: $vgpr1
                                        ; implicit-def: $vgpr7
                                        ; implicit-def: $vgpr3
                                        ; implicit-def: $vgpr10
                                        ; implicit-def: $vgpr11
.LBB14_117:
	v_or_b32_e32 v1, 32, v2
	v_sub_co_u32_e32 v2, vcc, v20, v0
	s_ashr_i32 s25, s24, 31
	s_nop 0
	v_subbrev_co_u32_e32 v3, vcc, 0, v21, vcc
	s_movk_i32 s10, 0xfef8
	v_lshl_add_u64 v[2:3], s[24:25], 3, v[2:3]
	s_mov_b32 s11, -1
	v_mov_b32_e32 v10, 0
	v_lshl_add_u64 v[2:3], v[2:3], 0, s[10:11]
	v_cmp_gt_i32_e32 vcc, s24, v1
	v_cmp_gt_i32_e64 s[10:11], s24, v8
	v_mov_b32_e32 v11, v10
	v_cndmask_b32_e32 v3, v3, v21, vcc
	v_cndmask_b32_e32 v2, v2, v20, vcc
	s_and_saveexec_b64 s[12:13], s[10:11]
	s_cbranch_execz .LBB14_119
; %bb.118:
	global_load_dwordx2 v[10:11], v[2:3], off
.LBB14_119:
	s_or_b64 exec, exec, s[12:13]
	s_movk_i32 s10, 0x108
	v_add_u32_e32 v5, 8, v8
	v_mul_u32_u24_e32 v4, 0x108, v8
	v_mad_u32_u24 v1, v8, s10, v0
	v_cmp_le_i32_e64 s[10:11], s24, v5
	s_waitcnt vmcnt(0)
	ds_write_b64 v1, v[10:11]
	s_and_saveexec_b64 s[12:13], s[10:11]
	s_xor_b64 s[10:11], exec, s[12:13]
; %bb.120:
	v_mov_b32_e32 v10, 0
	v_add_u32_e32 v1, v4, v0
	v_mov_b32_e32 v11, v10
	ds_write_b64 v1, v[10:11] offset:2112
; %bb.121:
	s_andn2_saveexec_b64 s[10:11], s[10:11]
	s_cbranch_execz .LBB14_123
; %bb.122:
	s_lshl_b32 s12, s22, 3
	s_ashr_i32 s13, s12, 31
	v_lshl_add_u64 v[10:11], s[12:13], 3, v[2:3]
	global_load_dwordx2 v[10:11], v[10:11], off
	v_add_u32_e32 v1, v4, v0
	s_waitcnt vmcnt(0)
	ds_write_b64 v1, v[10:11] offset:2112
.LBB14_123:
	s_or_b64 exec, exec, s[10:11]
	v_add_u32_e32 v7, 16, v8
	v_cmp_le_i32_e64 s[10:11], s24, v7
	s_and_saveexec_b64 s[12:13], s[10:11]
	s_xor_b64 s[10:11], exec, s[12:13]
; %bb.124:
	v_mov_b32_e32 v10, 0
	v_add_u32_e32 v1, v4, v0
	v_mov_b32_e32 v11, v10
	ds_write_b64 v1, v[10:11] offset:4224
; %bb.125:
	s_andn2_saveexec_b64 s[10:11], s[10:11]
	s_cbranch_execz .LBB14_127
; %bb.126:
	s_lshl_b32 s12, s22, 4
	s_ashr_i32 s13, s12, 31
	v_lshl_add_u64 v[10:11], s[12:13], 3, v[2:3]
	global_load_dwordx2 v[10:11], v[10:11], off
	v_add_u32_e32 v1, v4, v0
	s_waitcnt vmcnt(0)
	ds_write_b64 v1, v[10:11] offset:4224
.LBB14_127:
	s_or_b64 exec, exec, s[10:11]
	v_add_u32_e32 v10, 24, v8
	v_cmp_le_i32_e64 s[10:11], s24, v10
                                        ; implicit-def: $vgpr11
	s_and_saveexec_b64 s[12:13], s[10:11]
	s_xor_b64 s[10:11], exec, s[12:13]
; %bb.128:
	v_add_u32_e32 v11, 0x18c0, v4
	v_mov_b32_e32 v12, 0
	v_add_u32_e32 v1, v0, v11
	v_mov_b32_e32 v13, v12
	ds_write_b64 v1, v[12:13]
; %bb.129:
	s_andn2_saveexec_b64 s[10:11], s[10:11]
	s_cbranch_execz .LBB14_131
; %bb.130:
	s_mul_i32 s12, s22, 24
	s_ashr_i32 s13, s12, 31
	v_lshl_add_u64 v[12:13], s[12:13], 3, v[2:3]
	global_load_dwordx2 v[12:13], v[12:13], off
	v_add_u32_e32 v11, 0x18c0, v4
	v_add_u32_e32 v1, v0, v11
	s_waitcnt vmcnt(0)
	ds_write_b64 v1, v[12:13]
.LBB14_131:
	s_or_b64 exec, exec, s[10:11]
	v_mov_b32_e32 v1, 0
	v_lshl_add_u64 v[2:3], v[2:3], 0, v[0:1]
	s_lshl_b64 s[10:11], s[24:25], 3
	v_mov_b32_e32 v1, s11
	v_subrev_co_u32_e64 v2, s[10:11], s10, v2
	s_nop 1
	v_subb_co_u32_e64 v3, s[10:11], v3, v1, s[10:11]
	s_mov_b64 s[10:11], 0x108
	s_nop 0
	v_lshl_add_u64 v[2:3], v[2:3], 0, s[10:11]
	v_cndmask_b32_e32 v21, v3, v21, vcc
	v_cndmask_b32_e32 v20, v2, v20, vcc
	v_add_u32_e32 v1, 0x840, v4
	v_add_u32_e32 v3, 0x1080, v4
.LBB14_132:
	v_add_u32_e32 v25, v0, v4
	v_add_u32_e32 v28, v0, v1
	v_lshlrev_b32_e32 v30, 3, v5
	v_add_u32_e32 v40, v0, v3
	v_lshlrev_b32_e32 v46, 3, v7
	;; [unrolled: 2-line block ×3, first 2 shown]
	v_lshl_add_u32 v0, v9, 3, v23
	s_waitcnt lgkmcnt(0)
	s_barrier
	v_lshlrev_b32_e32 v35, 3, v8
	ds_read2_b64 v[8:11], v0 offset1:1
	ds_read2_b64 v[0:3], v0 offset0:2 offset1:3
	ds_read_b128 v[12:15], v6 offset:256
	ds_read_b128 v[4:7], v6 offset:272
	ds_read_b64 v[26:27], v25
	ds_read_b64 v[28:29], v28
	ds_read_b64 v[30:31], v30 offset:9088
	ds_read_b64 v[38:39], v35 offset:9088
	ds_read_b64 v[40:41], v40
	ds_read2_b32 v[42:43], v42 offset1:1
	ds_read_b64 v[44:45], v44 offset:9088
	ds_read_b64 v[46:47], v46 offset:9088
	s_waitcnt lgkmcnt(4)
	v_pk_mul_f32 v[48:49], v[38:39], v[26:27] op_sel:[1,1] op_sel_hi:[0,1]
	v_pk_fma_f32 v[50:51], v[38:39], v[26:27], v[48:49] neg_lo:[0,0,1] neg_hi:[0,0,1]
	v_pk_fma_f32 v[26:27], v[38:39], v[26:27], v[48:49] op_sel_hi:[1,0,1]
	v_pk_mul_f32 v[38:39], v[30:31], v[28:29] op_sel:[1,1] op_sel_hi:[0,1]
	v_pk_fma_f32 v[48:49], v[30:31], v[28:29], v[38:39] neg_lo:[0,0,1] neg_hi:[0,0,1]
	v_pk_fma_f32 v[28:29], v[30:31], v[28:29], v[38:39] op_sel_hi:[1,0,1]
	v_mov_b32_e32 v51, v27
	v_mov_b32_e32 v49, v29
	s_waitcnt lgkmcnt(0)
	v_pk_mul_f32 v[28:29], v[46:47], v[40:41] op_sel:[1,1] op_sel_hi:[0,1]
	v_pk_add_f32 v[26:27], v[50:51], 0 op_sel_hi:[1,0]
	v_pk_fma_f32 v[30:31], v[46:47], v[40:41], v[28:29] neg_lo:[0,0,1] neg_hi:[0,0,1]
	v_pk_fma_f32 v[28:29], v[46:47], v[40:41], v[28:29] op_sel_hi:[1,0,1]
	v_pk_add_f32 v[26:27], v[26:27], v[48:49]
	v_mov_b32_e32 v31, v29
	v_pk_mul_f32 v[28:29], v[44:45], v[42:43] op_sel:[1,1] op_sel_hi:[0,1]
	v_pk_add_f32 v[26:27], v[26:27], v[30:31]
	v_pk_fma_f32 v[30:31], v[44:45], v[42:43], v[28:29] neg_lo:[0,0,1] neg_hi:[0,0,1]
	v_pk_fma_f32 v[28:29], v[44:45], v[42:43], v[28:29] op_sel_hi:[1,0,1]
	s_nop 0
	v_mov_b32_e32 v31, v29
	v_pk_add_f32 v[26:27], v[26:27], v[30:31]
	s_barrier
	ds_write_b64 v24, v[26:27]
	s_waitcnt lgkmcnt(0)
	s_barrier
	s_and_saveexec_b64 s[10:11], s[8:9]
	s_cbranch_execz .LBB14_134
; %bb.133:
	ds_read2_b64 v[26:29], v23 offset1:1
	ds_read2_b64 v[38:41], v23 offset0:2 offset1:3
	ds_read2_b64 v[42:45], v23 offset0:4 offset1:5
	s_waitcnt lgkmcnt(2)
	v_pk_add_f32 v[26:27], v[36:37], v[26:27]
	s_nop 0
	v_pk_add_f32 v[30:31], v[26:27], v[28:29]
	ds_read2_b64 v[26:29], v23 offset0:6 offset1:7
	s_waitcnt lgkmcnt(2)
	v_pk_add_f32 v[30:31], v[30:31], v[38:39]
	s_nop 0
	v_pk_add_f32 v[30:31], v[30:31], v[40:41]
	s_waitcnt lgkmcnt(1)
	v_pk_add_f32 v[30:31], v[30:31], v[42:43]
	s_nop 0
	v_pk_add_f32 v[30:31], v[30:31], v[44:45]
	;; [unrolled: 4-line block ×3, first 2 shown]
.LBB14_134:
	s_or_b64 exec, exec, s[10:11]
	v_pk_mul_f32 v[26:27], v[8:9], v[12:13] op_sel:[1,1] op_sel_hi:[1,0]
	s_nop 0
	v_pk_fma_f32 v[28:29], v[8:9], v[12:13], v[26:27]
	v_pk_fma_f32 v[8:9], v[8:9], v[12:13], v[26:27] op_sel_hi:[0,1,1] neg_lo:[0,0,1] neg_hi:[0,0,1]
	v_mov_b32_e32 v12, v11
	v_pk_mul_f32 v[12:13], v[12:13], v[14:15] op_sel:[0,1] op_sel_hi:[0,0]
	v_pk_fma_f32 v[26:27], v[10:11], v[14:15], v[12:13]
	v_pk_fma_f32 v[10:11], v[10:11], v[14:15], v[12:13] op_sel_hi:[0,1,1] neg_lo:[0,0,1] neg_hi:[0,0,1]
	v_mov_b32_e32 v29, v9
	v_mov_b32_e32 v27, v11
	v_pk_mul_f32 v[10:11], v[0:1], v[4:5] op_sel:[1,1] op_sel_hi:[1,0]
	v_pk_add_f32 v[8:9], v[28:29], 0 op_sel_hi:[1,0]
	v_pk_fma_f32 v[12:13], v[0:1], v[4:5], v[10:11]
	v_pk_fma_f32 v[0:1], v[0:1], v[4:5], v[10:11] op_sel_hi:[0,1,1] neg_lo:[0,0,1] neg_hi:[0,0,1]
	v_mov_b32_e32 v4, v3
	v_pk_add_f32 v[8:9], v[8:9], v[26:27]
	v_mov_b32_e32 v13, v1
	v_pk_mul_f32 v[4:5], v[4:5], v[6:7] op_sel:[0,1] op_sel_hi:[0,0]
	v_pk_add_f32 v[0:1], v[8:9], v[12:13]
	v_pk_fma_f32 v[8:9], v[2:3], v[6:7], v[4:5]
	v_pk_fma_f32 v[2:3], v[2:3], v[6:7], v[4:5] op_sel_hi:[0,1,1] neg_lo:[0,0,1] neg_hi:[0,0,1]
	v_mov_b32_e32 v9, v3
	v_pk_add_f32 v[0:1], v[0:1], v[8:9]
	s_barrier
	ds_write_b64 v24, v[0:1]
	s_waitcnt lgkmcnt(0)
	s_barrier
	s_and_saveexec_b64 s[8:9], s[6:7]
	s_cbranch_execz .LBB14_136
; %bb.135:
	ds_read2_b64 v[0:3], v23 offset1:1
	ds_read2_b64 v[4:7], v23 offset0:2 offset1:3
	ds_read2_b64 v[8:11], v23 offset0:4 offset1:5
	s_waitcnt lgkmcnt(2)
	v_pk_add_f32 v[0:1], v[36:37], v[0:1]
	s_nop 0
	v_pk_add_f32 v[12:13], v[0:1], v[2:3]
	ds_read2_b64 v[0:3], v23 offset0:6 offset1:7
	s_waitcnt lgkmcnt(2)
	v_pk_add_f32 v[4:5], v[12:13], v[4:5]
	s_nop 0
	v_pk_add_f32 v[4:5], v[4:5], v[6:7]
	s_waitcnt lgkmcnt(1)
	v_pk_add_f32 v[4:5], v[4:5], v[8:9]
	s_nop 0
	v_pk_add_f32 v[4:5], v[4:5], v[10:11]
	;; [unrolled: 4-line block ×3, first 2 shown]
.LBB14_136:
	s_or_b64 exec, exec, s[8:9]
	s_load_dwordx2 s[0:1], s[0:1], 0x68
	s_mul_hi_u32 s6, s38, s3
	s_mul_i32 s40, s40, s3
	s_add_i32 s6, s6, s40
	s_mul_i32 s3, s38, s3
	s_mul_i32 s6, s6, s39
	s_mul_hi_u32 s7, s3, s39
	s_add_i32 s7, s7, s6
	s_mul_i32 s6, s3, s39
	s_lshl_b64 s[6:7], s[6:7], 3
	s_waitcnt lgkmcnt(0)
	s_add_u32 s3, s0, s6
	s_mul_i32 s0, s38, s2
	s_addc_u32 s7, s1, s7
	s_ashr_i32 s1, s0, 31
	s_lshl_b64 s[0:1], s[0:1], 3
	s_add_u32 s6, s3, s0
	v_cmp_le_i32_e32 vcc, s24, v34
	s_addc_u32 s7, s7, s1
	s_and_b64 vcc, s[30:31], vcc
	s_cmp_lt_i32 s2, 1
	v_lshlrev_b32_e32 v74, 3, v34
	s_barrier
	s_cbranch_scc1 .LBB14_143
; %bb.137:
	s_mul_i32 s0, s33, s26
	s_ashr_i32 s1, s0, 31
	s_lshl_b64 s[0:1], s[0:1], 3
	v_mov_b32_e32 v0, s1
	v_subrev_co_u32_e64 v38, s[0:1], s0, v16
	s_ashr_i32 s25, s24, 31
	s_nop 0
	v_subb_co_u32_e64 v39, s[0:1], v17, v0, s[0:1]
	s_lshl_b64 s[0:1], s[28:29], 3
	s_nop 0
	v_mov_b32_e32 v0, s1
	v_subrev_co_u32_e64 v2, s[0:1], s0, v20
	v_lshrrev_b32_e32 v4, 4, v22
	s_nop 0
	v_subb_co_u32_e64 v3, s[0:1], v21, v0, s[0:1]
	v_lshlrev_b64 v[0:1], 3, v[18:19]
	v_sub_co_u32_e64 v0, s[0:1], v2, v0
	v_mul_lo_u32 v2, v33, s22
	s_nop 0
	v_subb_co_u32_e64 v1, s[0:1], v3, v1, s[0:1]
	v_lshl_add_u32 v2, v2, 2, v34
	v_ashrrev_i32_e32 v3, 31, v2
	s_movk_i32 s0, 0xff00
	v_lshl_add_u64 v[0:1], v[2:3], 3, v[0:1]
	s_mov_b32 s1, -1
	v_lshl_add_u64 v[2:3], v[0:1], 0, s[0:1]
	v_sub_co_u32_e64 v0, s[0:1], v0, v74
	v_and_b32_e32 v5, 15, v34
	s_nop 0
	v_subbrev_co_u32_e64 v1, s[0:1], 0, v1, s[0:1]
	s_movk_i32 s0, 0xfef8
	v_lshl_add_u64 v[0:1], s[24:25], 3, v[0:1]
	s_mov_b32 s1, -1
	v_lshl_add_u64 v[0:1], v[0:1], 0, s[0:1]
	v_cndmask_b32_e32 v41, v3, v1, vcc
	v_cndmask_b32_e32 v40, v2, v0, vcc
	v_mov_b32_e32 v0, 0x2180
	v_and_b32_e32 v1, 48, v34
	v_lshl_add_u32 v76, v33, 5, v0
	v_lshlrev_b32_e32 v0, 5, v4
	s_movk_i32 s8, 0x218
	v_lshlrev_b32_e32 v1, 3, v1
	s_movk_i32 s0, 0x860
	v_mad_u32_u24 v79, v5, s8, v0
	v_mul_i32_i24_e32 v0, 0xffffffe8, v4
	v_mad_u32_u24 v80, v5, s8, v1
	v_or_b32_e32 v1, 0x78, v74
	s_ashr_i32 s23, s22, 31
	v_mov_b32_e32 v35, 0
	s_lshl_b32 s3, s33, 6
	v_add_u32_e32 v75, 0x2180, v74
	v_add_u32_e32 v77, 0x2380, v74
	v_mad_u32_u24 v78, v33, s0, v74
	v_cmp_gt_u32_e64 s[0:1], 64, v22
	v_mad_u32_u24 v81, v5, s8, v1
	s_lshl_b64 s[8:9], s[22:23], 3
	s_lshl_b64 s[10:11], s[22:23], 9
	;; [unrolled: 1-line block ×3, first 2 shown]
	s_mul_hi_i32 s15, s22, 24
	s_mul_i32 s14, s22, 24
	s_mul_hi_i32 s17, s22, 0x90
	s_mul_i32 s16, s22, 0x90
	s_mul_hi_i32 s21, s22, 0x98
	s_mul_i32 s20, s22, 0x98
	s_mul_hi_i32 s25, s22, 0x110
	s_mul_i32 s24, s22, 0x110
	s_mul_hi_i32 s27, s22, 0x118
	s_mul_i32 s26, s22, 0x118
	s_mul_hi_i32 s29, s22, 0x190
	s_mul_i32 s28, s22, 0x190
	s_mul_hi_i32 s31, s22, 0x198
	s_mul_i32 s30, s22, 0x198
	s_mul_hi_i32 s35, s22, 0x188
	s_mul_i32 s34, s22, 0x188
	s_mul_hi_i32 s37, s22, 0x180
	s_mul_i32 s36, s22, 0x180
	s_mul_hi_i32 s39, s22, 0x108
	s_mul_i32 s38, s22, 0x108
	s_lshl_b64 s[40:41], s[22:23], 8
	s_mul_hi_i32 s43, s22, 0x88
	s_mul_i32 s42, s22, 0x88
	s_lshl_b64 s[22:23], s[22:23], 7
	s_mov_b32 s44, 0
	v_add_u32_e32 v82, v79, v0
	s_branch .LBB14_139
.LBB14_138:                             ;   in Loop: Header=BB14_139 Depth=1
	s_or_b64 exec, exec, s[46:47]
	v_pk_mul_f32 v[84:85], v[48:49], v[4:5] op_sel:[1,1] op_sel_hi:[0,1]
	v_mov_b32_e32 v86, v7
	v_pk_fma_f32 v[92:93], v[48:49], v[4:5], v[84:85] neg_lo:[0,0,1] neg_hi:[0,0,1]
	v_pk_fma_f32 v[4:5], v[48:49], v[4:5], v[84:85] op_sel_hi:[1,0,1]
	v_pk_mul_f32 v[86:87], v[46:47], v[86:87] op_sel:[1,0] op_sel_hi:[0,0]
	v_mov_b32_e32 v93, v5
	v_pk_mul_f32 v[88:89], v[44:45], v[0:1] op_sel:[1,1] op_sel_hi:[0,1]
	v_pk_add_f32 v[4:5], v[36:37], v[92:93]
	v_pk_fma_f32 v[36:37], v[46:47], v[6:7], v[86:87] neg_lo:[0,0,1] neg_hi:[0,0,1]
	v_pk_fma_f32 v[6:7], v[46:47], v[6:7], v[86:87] op_sel_hi:[1,0,1]
	v_mov_b32_e32 v90, v3
	v_mov_b32_e32 v37, v7
	v_pk_fma_f32 v[6:7], v[44:45], v[0:1], v[88:89] neg_lo:[0,0,1] neg_hi:[0,0,1]
	v_pk_fma_f32 v[0:1], v[44:45], v[0:1], v[88:89] op_sel_hi:[1,0,1]
	v_pk_mul_f32 v[90:91], v[42:43], v[90:91] op_sel:[1,0] op_sel_hi:[0,0]
	v_pk_add_f32 v[4:5], v[4:5], v[36:37]
	v_mov_b32_e32 v7, v1
	v_pk_add_f32 v[0:1], v[4:5], v[6:7]
	v_pk_fma_f32 v[4:5], v[42:43], v[2:3], v[90:91] neg_lo:[0,0,1] neg_hi:[0,0,1]
	v_pk_fma_f32 v[2:3], v[42:43], v[2:3], v[90:91] op_sel_hi:[1,0,1]
	s_add_i32 s2, s2, -1
	v_mov_b32_e32 v5, v3
	v_pk_add_f32 v[0:1], v[0:1], v[4:5]
	v_pk_mul_f32 v[2:3], v[52:53], v[12:13] op_sel:[1,1] op_sel_hi:[0,1]
	v_mov_b32_e32 v4, v15
	v_pk_mul_f32 v[4:5], v[50:51], v[4:5] op_sel:[1,0] op_sel_hi:[0,0]
	v_pk_fma_f32 v[6:7], v[52:53], v[12:13], v[2:3] neg_lo:[0,0,1] neg_hi:[0,0,1]
	v_pk_fma_f32 v[2:3], v[52:53], v[12:13], v[2:3] op_sel_hi:[1,0,1]
	s_add_i32 s44, s44, s3
	v_mov_b32_e32 v7, v3
	v_pk_fma_f32 v[2:3], v[50:51], v[14:15], v[4:5] neg_lo:[0,0,1] neg_hi:[0,0,1]
	v_pk_fma_f32 v[4:5], v[50:51], v[14:15], v[4:5] op_sel_hi:[1,0,1]
	v_pk_add_f32 v[0:1], v[0:1], v[6:7]
	v_mov_b32_e32 v3, v5
	v_pk_add_f32 v[0:1], v[0:1], v[2:3]
	v_pk_mul_f32 v[2:3], v[54:55], v[8:9] op_sel:[1,1] op_sel_hi:[0,1]
	v_pk_fma_f32 v[4:5], v[54:55], v[8:9], v[2:3] neg_lo:[0,0,1] neg_hi:[0,0,1]
	v_pk_fma_f32 v[2:3], v[54:55], v[8:9], v[2:3] op_sel_hi:[1,0,1]
	v_mov_b32_e32 v8, v23
	v_mov_b32_e32 v2, v11
	;; [unrolled: 1-line block ×3, first 2 shown]
	v_pk_mul_f32 v[2:3], v[56:57], v[2:3] op_sel:[1,0] op_sel_hi:[0,0]
	v_pk_fma_f32 v[6:7], v[56:57], v[10:11], v[2:3] neg_lo:[0,0,1] neg_hi:[0,0,1]
	v_pk_fma_f32 v[2:3], v[56:57], v[10:11], v[2:3] op_sel_hi:[1,0,1]
	v_pk_add_f32 v[0:1], v[0:1], v[4:5]
	v_mov_b32_e32 v7, v3
	v_pk_mul_f32 v[2:3], v[64:65], v[16:17] op_sel:[1,1] op_sel_hi:[0,1]
	v_mov_b32_e32 v4, v19
	v_pk_mul_f32 v[4:5], v[62:63], v[4:5] op_sel:[1,0] op_sel_hi:[0,0]
	v_pk_fma_f32 v[10:11], v[64:65], v[16:17], v[2:3] neg_lo:[0,0,1] neg_hi:[0,0,1]
	v_pk_fma_f32 v[2:3], v[64:65], v[16:17], v[2:3] op_sel_hi:[1,0,1]
	v_pk_add_f32 v[0:1], v[0:1], v[6:7]
	v_mov_b32_e32 v11, v3
	v_pk_fma_f32 v[2:3], v[62:63], v[18:19], v[4:5] neg_lo:[0,0,1] neg_hi:[0,0,1]
	v_pk_fma_f32 v[4:5], v[62:63], v[18:19], v[4:5] op_sel_hi:[1,0,1]
	v_pk_mul_f32 v[6:7], v[60:61], v[20:21] op_sel:[1,1] op_sel_hi:[0,1]
	v_pk_add_f32 v[0:1], v[0:1], v[10:11]
	v_mov_b32_e32 v3, v5
	v_pk_add_f32 v[0:1], v[0:1], v[2:3]
	v_pk_fma_f32 v[2:3], v[60:61], v[20:21], v[6:7] neg_lo:[0,0,1] neg_hi:[0,0,1]
	v_pk_fma_f32 v[4:5], v[60:61], v[20:21], v[6:7] op_sel_hi:[1,0,1]
	v_pk_mul_f32 v[8:9], v[58:59], v[8:9] op_sel:[1,0] op_sel_hi:[0,0]
	v_mov_b32_e32 v3, v5
	v_pk_add_f32 v[0:1], v[0:1], v[2:3]
	v_pk_fma_f32 v[2:3], v[58:59], v[22:23], v[8:9] neg_lo:[0,0,1] neg_hi:[0,0,1]
	v_pk_fma_f32 v[4:5], v[58:59], v[22:23], v[8:9] op_sel_hi:[1,0,1]
	v_pk_mul_f32 v[6:7], v[68:69], v[28:29] op_sel:[1,1] op_sel_hi:[0,1]
	v_mov_b32_e32 v3, v5
	v_pk_add_f32 v[0:1], v[0:1], v[2:3]
	v_pk_mul_f32 v[2:3], v[72:73], v[24:25] op_sel:[1,1] op_sel_hi:[0,1]
	v_mov_b32_e32 v4, v27
	v_pk_mul_f32 v[4:5], v[70:71], v[4:5] op_sel:[1,0] op_sel_hi:[0,0]
	v_pk_fma_f32 v[10:11], v[72:73], v[24:25], v[2:3] neg_lo:[0,0,1] neg_hi:[0,0,1]
	v_pk_fma_f32 v[2:3], v[72:73], v[24:25], v[2:3] op_sel_hi:[1,0,1]
	v_mov_b32_e32 v8, v31
	v_mov_b32_e32 v11, v3
	v_pk_fma_f32 v[2:3], v[70:71], v[26:27], v[4:5] neg_lo:[0,0,1] neg_hi:[0,0,1]
	v_pk_fma_f32 v[4:5], v[70:71], v[26:27], v[4:5] op_sel_hi:[1,0,1]
	v_pk_mul_f32 v[8:9], v[66:67], v[8:9] op_sel:[1,0] op_sel_hi:[0,0]
	v_mov_b32_e32 v3, v5
	v_pk_fma_f32 v[4:5], v[68:69], v[28:29], v[6:7] neg_lo:[0,0,1] neg_hi:[0,0,1]
	v_pk_fma_f32 v[6:7], v[68:69], v[28:29], v[6:7] op_sel_hi:[1,0,1]
	v_pk_add_f32 v[0:1], v[0:1], v[10:11]
	v_mov_b32_e32 v5, v7
	v_pk_fma_f32 v[6:7], v[66:67], v[30:31], v[8:9] neg_lo:[0,0,1] neg_hi:[0,0,1]
	v_pk_fma_f32 v[8:9], v[66:67], v[30:31], v[8:9] op_sel_hi:[1,0,1]
	v_pk_add_f32 v[0:1], v[0:1], v[2:3]
	v_mov_b32_e32 v7, v9
	v_pk_add_f32 v[0:1], v[0:1], v[4:5]
	v_lshl_add_u64 v[40:41], v[40:41], 0, s[10:11]
	v_pk_add_f32 v[36:37], v[0:1], v[6:7]
	s_cmp_eq_u32 s2, 0
	v_add_u32_e32 v34, 64, v34
	s_barrier
	s_cbranch_scc1 .LBB14_143
.LBB14_139:                             ; =>This Inner Loop Header: Depth=1
	s_and_saveexec_b64 s[46:47], s[18:19]
	s_cbranch_execz .LBB14_141
; %bb.140:                              ;   in Loop: Header=BB14_139 Depth=1
	s_ashr_i32 s45, s44, 31
	v_lshl_add_u64 v[0:1], s[44:45], 3, v[38:39]
	global_load_dwordx2 v[0:1], v[0:1], off
	s_waitcnt vmcnt(0)
	ds_write_b64 v75, v[0:1]
.LBB14_141:                             ;   in Loop: Header=BB14_139 Depth=1
	s_or_b64 exec, exec, s[46:47]
	v_lshl_add_u64 v[0:1], v[40:41], 0, s[8:9]
	s_waitcnt lgkmcnt(0)
	s_barrier
	global_load_dwordx2 v[48:49], v[40:41], off
	global_load_dwordx2 v[46:47], v[0:1], off
	v_lshl_add_u64 v[0:1], v[40:41], 0, s[12:13]
	global_load_dwordx2 v[44:45], v[0:1], off
	v_lshl_add_u64 v[0:1], v[40:41], 0, s[14:15]
	global_load_dwordx2 v[42:43], v[0:1], off
	ds_read_b64 v[8:9], v77
	ds_read_b128 v[4:7], v76
	ds_read_b128 v[0:3], v76 offset:16
	v_lshl_add_u64 v[10:11], v[40:41], 0, s[22:23]
	v_lshl_add_u64 v[68:69], v[40:41], 0, s[36:37]
	s_waitcnt vmcnt(3) lgkmcnt(2)
	v_mul_f32_e32 v12, v49, v9
	v_mul_f32_e32 v13, v49, v8
	s_waitcnt vmcnt(2)
	v_mul_f32_e32 v14, v47, v9
	v_mul_f32_e32 v15, v47, v8
	s_waitcnt vmcnt(1)
	;; [unrolled: 3-line block ×3, first 2 shown]
	v_mul_f32_e32 v18, v43, v9
	v_mul_f32_e32 v19, v43, v8
	v_fmac_f32_e32 v12, v48, v8
	v_fma_f32 v13, v48, v9, -v13
	v_fmac_f32_e32 v14, v46, v8
	v_fma_f32 v15, v46, v9, -v15
	;; [unrolled: 2-line block ×4, first 2 shown]
	v_lshl_add_u64 v[8:9], v[40:41], 0, s[42:43]
	ds_write2_b64 v78, v[12:13], v[14:15] offset1:67
	ds_write2_b64 v78, v[16:17], v[18:19] offset0:134 offset1:201
	s_waitcnt lgkmcnt(0)
	s_barrier
	ds_read2_b64 v[24:27], v79 offset1:1
	ds_read2_b64 v[28:31], v79 offset0:2 offset1:3
	s_waitcnt lgkmcnt(0)
	s_barrier
	global_load_dwordx2 v[52:53], v[10:11], off
	global_load_dwordx2 v[50:51], v[8:9], off
	v_lshl_add_u64 v[8:9], v[40:41], 0, s[16:17]
	global_load_dwordx2 v[54:55], v[8:9], off
	v_lshl_add_u64 v[8:9], v[40:41], 0, s[20:21]
	global_load_dwordx2 v[56:57], v[8:9], off
	ds_read_b64 v[16:17], v77
	v_lshl_add_u64 v[18:19], v[40:41], 0, s[40:41]
	ds_read_b128 v[12:15], v76 offset:128
	ds_read_b128 v[8:11], v76 offset:144
	v_pk_add_f32 v[24:25], v[24:25], 0 op_sel_hi:[1,0]
	s_waitcnt vmcnt(3) lgkmcnt(2)
	v_mul_f32_e32 v20, v53, v17
	v_mul_f32_e32 v21, v53, v16
	s_waitcnt vmcnt(2)
	v_mul_f32_e32 v22, v51, v17
	v_mul_f32_e32 v23, v51, v16
	s_waitcnt vmcnt(1)
	;; [unrolled: 3-line block ×3, first 2 shown]
	v_mul_f32_e32 v60, v57, v17
	v_mul_f32_e32 v61, v57, v16
	v_fma_f32 v21, v52, v17, -v21
	v_fmac_f32_e32 v20, v52, v16
	v_fmac_f32_e32 v22, v50, v16
	v_fma_f32 v23, v50, v17, -v23
	v_fmac_f32_e32 v58, v54, v16
	v_fma_f32 v59, v54, v17, -v59
	;; [unrolled: 2-line block ×3, first 2 shown]
	v_lshl_add_u64 v[16:17], v[40:41], 0, s[38:39]
	ds_write2_b64 v78, v[20:21], v[22:23] offset1:67
	ds_write2_b64 v78, v[58:59], v[60:61] offset0:134 offset1:201
	s_waitcnt lgkmcnt(0)
	s_barrier
	ds_read2_b64 v[84:87], v79 offset1:1
	ds_read2_b64 v[88:91], v79 offset0:2 offset1:3
	s_waitcnt lgkmcnt(0)
	s_barrier
	global_load_dwordx2 v[64:65], v[18:19], off
	global_load_dwordx2 v[62:63], v[16:17], off
	v_lshl_add_u64 v[16:17], v[40:41], 0, s[24:25]
	global_load_dwordx2 v[60:61], v[16:17], off
	v_lshl_add_u64 v[16:17], v[40:41], 0, s[26:27]
	global_load_dwordx2 v[58:59], v[16:17], off
	ds_read_b64 v[66:67], v77
	ds_read_b128 v[16:19], v76 offset:256
	ds_read_b128 v[20:23], v76 offset:272
	v_pk_add_f32 v[24:25], v[24:25], v[26:27]
	s_waitcnt vmcnt(3) lgkmcnt(2)
	v_mul_f32_e32 v70, v65, v67
	v_mul_f32_e32 v71, v65, v66
	s_waitcnt vmcnt(2)
	v_mul_f32_e32 v72, v63, v67
	v_mul_f32_e32 v73, v63, v66
	s_waitcnt vmcnt(1)
	;; [unrolled: 3-line block ×3, first 2 shown]
	v_mul_f32_e32 v95, v59, v66
	v_mul_f32_e32 v94, v59, v67
	v_fma_f32 v71, v64, v67, -v71
	v_fma_f32 v73, v62, v67, -v73
	;; [unrolled: 1-line block ×4, first 2 shown]
	v_fmac_f32_e32 v70, v64, v66
	v_fmac_f32_e32 v72, v62, v66
	;; [unrolled: 1-line block ×4, first 2 shown]
	v_lshl_add_u64 v[66:67], v[40:41], 0, s[34:35]
	ds_write2_b64 v78, v[70:71], v[72:73] offset1:67
	ds_write2_b64 v78, v[92:93], v[94:95] offset0:134 offset1:201
	s_waitcnt lgkmcnt(0)
	s_barrier
	ds_read2_b64 v[92:95], v79 offset1:1
	ds_read2_b64 v[96:99], v79 offset0:2 offset1:3
	s_waitcnt lgkmcnt(0)
	s_barrier
	global_load_dwordx2 v[72:73], v[68:69], off
	global_load_dwordx2 v[70:71], v[66:67], off
	v_lshl_add_u64 v[66:67], v[40:41], 0, s[28:29]
	global_load_dwordx2 v[68:69], v[66:67], off
	v_lshl_add_u64 v[66:67], v[40:41], 0, s[30:31]
	global_load_dwordx2 v[66:67], v[66:67], off
	v_pk_add_f32 v[24:25], v[24:25], v[28:29]
	s_nop 0
	v_pk_add_f32 v[100:101], v[24:25], v[30:31]
	v_pk_add_f32 v[24:25], v[84:85], 0 op_sel_hi:[1,0]
	s_nop 0
	v_pk_add_f32 v[24:25], v[24:25], v[86:87]
	v_pk_add_f32 v[86:87], v[92:93], 0 op_sel_hi:[1,0]
	v_pk_add_f32 v[24:25], v[24:25], v[88:89]
	v_pk_add_f32 v[86:87], v[86:87], v[94:95]
	;; [unrolled: 1-line block ×3, first 2 shown]
	ds_read_b64 v[84:85], v77
	ds_read_b128 v[24:27], v76 offset:384
	ds_read_b128 v[28:31], v76 offset:400
	v_pk_add_f32 v[86:87], v[86:87], v[96:97]
	s_waitcnt vmcnt(3) lgkmcnt(2)
	v_mul_f32_e32 v83, v73, v84
	v_pk_add_f32 v[92:93], v[86:87], v[98:99]
	v_mul_f32_e32 v86, v73, v85
	s_waitcnt vmcnt(2)
	v_mul_f32_e32 v89, v71, v84
	v_mul_f32_e32 v88, v71, v85
	s_waitcnt vmcnt(1)
	v_mul_f32_e32 v91, v69, v84
	;; [unrolled: 3-line block ×3, first 2 shown]
	v_mul_f32_e32 v94, v67, v85
	v_fma_f32 v87, v72, v85, -v83
	v_fma_f32 v89, v70, v85, -v89
	v_fmac_f32_e32 v86, v72, v84
	v_fmac_f32_e32 v88, v70, v84
	v_fma_f32 v91, v68, v85, -v91
	v_fmac_f32_e32 v90, v68, v84
	v_fma_f32 v95, v66, v85, -v95
	v_fmac_f32_e32 v94, v66, v84
	ds_write2_b64 v78, v[86:87], v[88:89] offset1:67
	ds_write2_b64 v78, v[90:91], v[94:95] offset0:134 offset1:201
	s_waitcnt lgkmcnt(0)
	s_barrier
	ds_read2_b64 v[84:87], v79 offset1:1
	ds_read2_b64 v[88:91], v79 offset0:2 offset1:3
	s_waitcnt lgkmcnt(0)
	s_barrier
	v_pk_add_f32 v[84:85], v[84:85], 0 op_sel_hi:[1,0]
	ds_write2_b64 v82, v[100:101], v[102:103] offset1:16
	v_pk_add_f32 v[84:85], v[84:85], v[86:87]
	s_nop 0
	v_pk_add_f32 v[84:85], v[84:85], v[88:89]
	s_nop 0
	v_pk_add_f32 v[84:85], v[84:85], v[90:91]
	ds_write2_b64 v82, v[92:93], v[84:85] offset0:32 offset1:48
	s_waitcnt lgkmcnt(0)
	s_barrier
	s_and_saveexec_b64 s[46:47], s[0:1]
	s_cbranch_execz .LBB14_138
; %bb.142:                              ;   in Loop: Header=BB14_139 Depth=1
	ds_read_b64 v[92:93], v80
	ds_read2_b64 v[84:87], v80 offset0:1 offset1:2
	ds_read2_b64 v[88:91], v80 offset0:3 offset1:4
	v_lshl_add_u64 v[96:97], v[34:35], 3, s[6:7]
	s_waitcnt lgkmcnt(1)
	v_add_f32_e32 v83, v84, v92
	v_add_f32_e32 v84, v85, v93
	;; [unrolled: 1-line block ×4, first 2 shown]
	ds_read2_b64 v[84:87], v80 offset0:5 offset1:6
	s_waitcnt lgkmcnt(1)
	v_add_f32_e32 v83, v83, v88
	v_add_f32_e32 v88, v92, v89
	;; [unrolled: 1-line block ×4, first 2 shown]
	ds_read2_b64 v[88:91], v80 offset0:7 offset1:8
	s_waitcnt lgkmcnt(1)
	v_pk_add_f32 v[84:85], v[92:93], v[84:85]
	ds_read2_b64 v[92:95], v80 offset0:9 offset1:10
	v_pk_add_f32 v[84:85], v[84:85], v[86:87]
	s_waitcnt lgkmcnt(1)
	v_pk_add_f32 v[84:85], v[84:85], v[88:89]
	s_nop 0
	v_pk_add_f32 v[88:89], v[84:85], v[90:91]
	ds_read2_b64 v[84:87], v80 offset0:11 offset1:12
	s_waitcnt lgkmcnt(1)
	v_pk_add_f32 v[92:93], v[88:89], v[92:93]
	ds_read2_b64 v[88:91], v80 offset0:13 offset1:14
	v_pk_add_f32 v[92:93], v[92:93], v[94:95]
	ds_read_b64 v[94:95], v81
	s_waitcnt lgkmcnt(2)
	v_pk_add_f32 v[84:85], v[92:93], v[84:85]
	s_nop 0
	v_pk_add_f32 v[84:85], v[84:85], v[86:87]
	s_waitcnt lgkmcnt(1)
	v_pk_add_f32 v[84:85], v[84:85], v[88:89]
	s_nop 0
	v_pk_add_f32 v[84:85], v[84:85], v[90:91]
	s_waitcnt lgkmcnt(0)
	v_pk_add_f32 v[84:85], v[84:85], v[94:95]
	global_store_dwordx2 v[96:97], v[84:85], off
	s_branch .LBB14_138
.LBB14_143:
	s_movk_i32 s0, 0x218
	v_mad_u32_u24 v0, v33, s0, v74
	s_nor_b64 s[0:1], s[4:5], vcc
	ds_write_b64 v0, v[36:37]
	s_waitcnt lgkmcnt(0)
	s_barrier
	s_and_saveexec_b64 s[2:3], s[0:1]
	s_cbranch_execz .LBB14_145
; %bb.144:
	ds_read2_b64 v[0:3], v74 offset1:67
	ds_read2_b64 v[4:7], v74 offset0:134 offset1:201
	v_ashrrev_i32_e32 v33, 31, v32
	v_lshl_add_u64 v[8:9], v[32:33], 3, s[6:7]
	s_waitcnt lgkmcnt(1)
	v_pk_add_f32 v[0:1], v[2:3], v[0:1]
	s_waitcnt lgkmcnt(0)
	v_pk_add_f32 v[0:1], v[4:5], v[0:1]
	s_nop 0
	v_pk_add_f32 v[0:1], v[0:1], v[6:7]
	global_store_dwordx2 v[8:9], v[0:1], off
.LBB14_145:
	s_endpgm
	.section	.rodata,"a",@progbits
	.p2align	6, 0x0
	.amdhsa_kernel _ZL26rocblas_hemvn_kernel_lowerILb1ELi64ELi4ELi33ELi32ELi16Ei19rocblas_complex_numIfEPKS1_PS1_EviT6_lT7_lT5_lS6_lS7_lS5_lT8_i
		.amdhsa_group_segment_fixed_size 9600
		.amdhsa_private_segment_fixed_size 0
		.amdhsa_kernarg_size 376
		.amdhsa_user_sgpr_count 2
		.amdhsa_user_sgpr_dispatch_ptr 0
		.amdhsa_user_sgpr_queue_ptr 0
		.amdhsa_user_sgpr_kernarg_segment_ptr 1
		.amdhsa_user_sgpr_dispatch_id 0
		.amdhsa_user_sgpr_kernarg_preload_length 0
		.amdhsa_user_sgpr_kernarg_preload_offset 0
		.amdhsa_user_sgpr_private_segment_size 0
		.amdhsa_uses_dynamic_stack 0
		.amdhsa_enable_private_segment 0
		.amdhsa_system_sgpr_workgroup_id_x 1
		.amdhsa_system_sgpr_workgroup_id_y 0
		.amdhsa_system_sgpr_workgroup_id_z 1
		.amdhsa_system_sgpr_workgroup_info 0
		.amdhsa_system_vgpr_workitem_id 1
		.amdhsa_next_free_vgpr 104
		.amdhsa_next_free_sgpr 48
		.amdhsa_accum_offset 104
		.amdhsa_reserve_vcc 1
		.amdhsa_float_round_mode_32 0
		.amdhsa_float_round_mode_16_64 0
		.amdhsa_float_denorm_mode_32 3
		.amdhsa_float_denorm_mode_16_64 3
		.amdhsa_dx10_clamp 1
		.amdhsa_ieee_mode 1
		.amdhsa_fp16_overflow 0
		.amdhsa_tg_split 0
		.amdhsa_exception_fp_ieee_invalid_op 0
		.amdhsa_exception_fp_denorm_src 0
		.amdhsa_exception_fp_ieee_div_zero 0
		.amdhsa_exception_fp_ieee_overflow 0
		.amdhsa_exception_fp_ieee_underflow 0
		.amdhsa_exception_fp_ieee_inexact 0
		.amdhsa_exception_int_div_zero 0
	.end_amdhsa_kernel
	.section	.text._ZL26rocblas_hemvn_kernel_lowerILb1ELi64ELi4ELi33ELi32ELi16Ei19rocblas_complex_numIfEPKS1_PS1_EviT6_lT7_lT5_lS6_lS7_lS5_lT8_i,"axG",@progbits,_ZL26rocblas_hemvn_kernel_lowerILb1ELi64ELi4ELi33ELi32ELi16Ei19rocblas_complex_numIfEPKS1_PS1_EviT6_lT7_lT5_lS6_lS7_lS5_lT8_i,comdat
.Lfunc_end14:
	.size	_ZL26rocblas_hemvn_kernel_lowerILb1ELi64ELi4ELi33ELi32ELi16Ei19rocblas_complex_numIfEPKS1_PS1_EviT6_lT7_lT5_lS6_lS7_lS5_lT8_i, .Lfunc_end14-_ZL26rocblas_hemvn_kernel_lowerILb1ELi64ELi4ELi33ELi32ELi16Ei19rocblas_complex_numIfEPKS1_PS1_EviT6_lT7_lT5_lS6_lS7_lS5_lT8_i
                                        ; -- End function
	.set _ZL26rocblas_hemvn_kernel_lowerILb1ELi64ELi4ELi33ELi32ELi16Ei19rocblas_complex_numIfEPKS1_PS1_EviT6_lT7_lT5_lS6_lS7_lS5_lT8_i.num_vgpr, 104
	.set _ZL26rocblas_hemvn_kernel_lowerILb1ELi64ELi4ELi33ELi32ELi16Ei19rocblas_complex_numIfEPKS1_PS1_EviT6_lT7_lT5_lS6_lS7_lS5_lT8_i.num_agpr, 0
	.set _ZL26rocblas_hemvn_kernel_lowerILb1ELi64ELi4ELi33ELi32ELi16Ei19rocblas_complex_numIfEPKS1_PS1_EviT6_lT7_lT5_lS6_lS7_lS5_lT8_i.numbered_sgpr, 48
	.set _ZL26rocblas_hemvn_kernel_lowerILb1ELi64ELi4ELi33ELi32ELi16Ei19rocblas_complex_numIfEPKS1_PS1_EviT6_lT7_lT5_lS6_lS7_lS5_lT8_i.num_named_barrier, 0
	.set _ZL26rocblas_hemvn_kernel_lowerILb1ELi64ELi4ELi33ELi32ELi16Ei19rocblas_complex_numIfEPKS1_PS1_EviT6_lT7_lT5_lS6_lS7_lS5_lT8_i.private_seg_size, 0
	.set _ZL26rocblas_hemvn_kernel_lowerILb1ELi64ELi4ELi33ELi32ELi16Ei19rocblas_complex_numIfEPKS1_PS1_EviT6_lT7_lT5_lS6_lS7_lS5_lT8_i.uses_vcc, 1
	.set _ZL26rocblas_hemvn_kernel_lowerILb1ELi64ELi4ELi33ELi32ELi16Ei19rocblas_complex_numIfEPKS1_PS1_EviT6_lT7_lT5_lS6_lS7_lS5_lT8_i.uses_flat_scratch, 0
	.set _ZL26rocblas_hemvn_kernel_lowerILb1ELi64ELi4ELi33ELi32ELi16Ei19rocblas_complex_numIfEPKS1_PS1_EviT6_lT7_lT5_lS6_lS7_lS5_lT8_i.has_dyn_sized_stack, 0
	.set _ZL26rocblas_hemvn_kernel_lowerILb1ELi64ELi4ELi33ELi32ELi16Ei19rocblas_complex_numIfEPKS1_PS1_EviT6_lT7_lT5_lS6_lS7_lS5_lT8_i.has_recursion, 0
	.set _ZL26rocblas_hemvn_kernel_lowerILb1ELi64ELi4ELi33ELi32ELi16Ei19rocblas_complex_numIfEPKS1_PS1_EviT6_lT7_lT5_lS6_lS7_lS5_lT8_i.has_indirect_call, 0
	.section	.AMDGPU.csdata,"",@progbits
; Kernel info:
; codeLenInByte = 8200
; TotalNumSgprs: 54
; NumVgprs: 104
; NumAgprs: 0
; TotalNumVgprs: 104
; ScratchSize: 0
; MemoryBound: 1
; FloatMode: 240
; IeeeMode: 1
; LDSByteSize: 9600 bytes/workgroup (compile time only)
; SGPRBlocks: 6
; VGPRBlocks: 12
; NumSGPRsForWavesPerEU: 54
; NumVGPRsForWavesPerEU: 104
; AccumOffset: 104
; Occupancy: 4
; WaveLimiterHint : 1
; COMPUTE_PGM_RSRC2:SCRATCH_EN: 0
; COMPUTE_PGM_RSRC2:USER_SGPR: 2
; COMPUTE_PGM_RSRC2:TRAP_HANDLER: 0
; COMPUTE_PGM_RSRC2:TGID_X_EN: 1
; COMPUTE_PGM_RSRC2:TGID_Y_EN: 0
; COMPUTE_PGM_RSRC2:TGID_Z_EN: 1
; COMPUTE_PGM_RSRC2:TIDIG_COMP_CNT: 1
; COMPUTE_PGM_RSRC3_GFX90A:ACCUM_OFFSET: 25
; COMPUTE_PGM_RSRC3_GFX90A:TG_SPLIT: 0
	.section	.text._ZL36rocblas_hemvn_kernel_lower_block_sumILi64Ei19rocblas_complex_numIfEPS1_S1_EviT1_lS3_lT2_lT0_lPT3_i,"axG",@progbits,_ZL36rocblas_hemvn_kernel_lower_block_sumILi64Ei19rocblas_complex_numIfEPS1_S1_EviT1_lS3_lT2_lT0_lPT3_i,comdat
	.globl	_ZL36rocblas_hemvn_kernel_lower_block_sumILi64Ei19rocblas_complex_numIfEPS1_S1_EviT1_lS3_lT2_lT0_lPT3_i ; -- Begin function _ZL36rocblas_hemvn_kernel_lower_block_sumILi64Ei19rocblas_complex_numIfEPS1_S1_EviT1_lS3_lT2_lT0_lPT3_i
	.p2align	8
	.type	_ZL36rocblas_hemvn_kernel_lower_block_sumILi64Ei19rocblas_complex_numIfEPS1_S1_EviT1_lS3_lT2_lT0_lPT3_i,@function
_ZL36rocblas_hemvn_kernel_lower_block_sumILi64Ei19rocblas_complex_numIfEPS1_S1_EviT1_lS3_lT2_lT0_lPT3_i: ; @_ZL36rocblas_hemvn_kernel_lower_block_sumILi64Ei19rocblas_complex_numIfEPS1_S1_EviT1_lS3_lT2_lT0_lPT3_i
; %bb.0:
	s_load_dwordx4 s[8:11], s[0:1], 0x0
	s_load_dwordx2 s[6:7], s[0:1], 0x18
	s_waitcnt lgkmcnt(0)
	s_or_b32 s4, s9, s10
	s_bitset0_b32 s4, 31
	s_mov_b32 s13, s10
	s_cmp_eq_u32 s4, 0
	v_cmp_eq_f32_e64 s[10:11], s6, 1.0
	v_cmp_eq_f32_e64 s[14:15], s7, 0
	s_cselect_b64 s[4:5], -1, 0
	s_and_b64 s[10:11], s[10:11], s[14:15]
	s_and_b64 s[10:11], s[4:5], s[10:11]
	s_and_b64 vcc, exec, s[10:11]
	s_cbranch_vccnz .LBB15_17
; %bb.1:
	s_load_dwordx2 s[10:11], s[0:1], 0x40
	s_load_dwordx4 s[20:23], s[0:1], 0x28
	s_load_dword s16, s[0:1], 0x38
	s_mov_b32 s12, s9
	v_lshl_or_b32 v4, s2, 6, v0
	s_waitcnt lgkmcnt(0)
	s_mul_i32 s9, s11, s3
	s_mul_hi_u32 s11, s10, s3
	s_mul_i32 s10, s10, s3
	s_add_i32 s11, s11, s9
	s_lshl_b64 s[10:11], s[10:11], 3
	s_add_u32 s9, s20, s10
	s_addc_u32 s14, s21, s11
	s_lshl_b64 s[10:11], s[22:23], 3
	s_add_u32 s10, s9, s10
	s_addc_u32 s11, s14, s11
	s_mov_b64 s[14:15], -1
	s_andn2_b64 vcc, exec, s[4:5]
	v_cmp_gt_i32_e64 s[4:5], s8, v4
	s_cbranch_vccnz .LBB15_7
; %bb.2:
	s_and_saveexec_b64 s[14:15], s[4:5]
	s_cbranch_execz .LBB15_6
; %bb.3:
	v_cmp_neq_f32_e64 s[4:5], s6, 0
	v_cmp_neq_f32_e64 s[18:19], s7, 0
	v_mul_lo_u32 v2, s16, v4
	v_ashrrev_i32_e32 v3, 31, v2
	s_or_b64 s[4:5], s[4:5], s[18:19]
	v_mov_b32_e32 v0, 0
	s_andn2_b64 vcc, exec, s[4:5]
	v_lshl_add_u64 v[2:3], v[2:3], 3, s[10:11]
	v_mov_b32_e32 v1, 0
	s_cbranch_vccnz .LBB15_5
; %bb.4:
	global_load_dwordx2 v[6:7], v[2:3], off
	s_waitcnt vmcnt(0)
	v_pk_mul_f32 v[8:9], v[6:7], s[6:7] op_sel:[1,1] op_sel_hi:[1,0]
	s_nop 0
	v_pk_fma_f32 v[0:1], v[6:7], s[6:7], v[8:9] neg_lo:[0,0,1] neg_hi:[0,0,1]
	v_pk_fma_f32 v[6:7], v[6:7], s[6:7], v[8:9] op_sel_hi:[0,1,1]
	v_mov_b32_e32 v1, v7
.LBB15_5:
	global_store_dwordx2 v[2:3], v[0:1], off
.LBB15_6:
	s_or_b64 exec, exec, s[14:15]
	s_mov_b64 s[14:15], 0
.LBB15_7:
	s_andn2_b64 vcc, exec, s[14:15]
	s_cbranch_vccnz .LBB15_17
; %bb.8:
	v_cmp_gt_i32_e32 vcc, s8, v4
	s_and_saveexec_b64 s[4:5], vcc
	s_cbranch_execz .LBB15_17
; %bb.9:
	s_load_dword s4, s[0:1], 0x58
	v_mov_b32_e32 v1, 0
	v_mov_b32_e32 v0, v1
	s_waitcnt lgkmcnt(0)
	s_cmp_ge_i32 s2, s4
	s_cbranch_scc1 .LBB15_12
; %bb.10:
	s_ashr_i32 s9, s8, 31
	s_mul_i32 s5, s8, s2
	s_load_dwordx2 s[0:1], s[0:1], 0x48
	v_add_u32_e32 v0, s5, v4
	s_mul_hi_u32 s5, s8, s3
	s_mul_i32 s14, s9, s3
	s_add_i32 s5, s5, s14
	s_mul_i32 s3, s8, s3
	s_mul_i32 s5, s5, s4
	s_mul_hi_u32 s14, s3, s4
	s_add_i32 s15, s14, s5
	s_mul_i32 s14, s3, s4
	s_lshl_b64 s[14:15], s[14:15], 3
	s_waitcnt lgkmcnt(0)
	s_add_u32 s0, s0, s14
	v_ashrrev_i32_e32 v1, 31, v0
	s_addc_u32 s1, s1, s15
	v_lshl_add_u64 v[2:3], v[0:1], 3, s[0:1]
	v_mov_b32_e32 v0, 0
	s_lshl_b64 s[0:1], s[8:9], 3
	v_mov_b32_e32 v1, v0
.LBB15_11:                              ; =>This Inner Loop Header: Depth=1
	global_load_dwordx2 v[6:7], v[2:3], off
	s_add_i32 s2, s2, 1
	v_lshl_add_u64 v[2:3], v[2:3], 0, s[0:1]
	s_cmp_ge_i32 s2, s4
	s_waitcnt vmcnt(0)
	v_pk_add_f32 v[0:1], v[0:1], v[6:7]
	s_cbranch_scc0 .LBB15_11
.LBB15_12:
	v_cmp_neq_f32_e64 s[0:1], s6, 0
	v_cmp_neq_f32_e64 s[2:3], s7, 0
	s_or_b64 s[0:1], s[0:1], s[2:3]
	v_pk_mul_f32 v[6:7], v[0:1], s[12:13] op_sel:[1,1] op_sel_hi:[1,0]
	v_mul_lo_u32 v4, s16, v4
	s_andn2_b64 vcc, exec, s[0:1]
	v_pk_fma_f32 v[2:3], v[0:1], s[12:13], v[6:7] op_sel_hi:[0,1,1]
	v_ashrrev_i32_e32 v5, 31, v4
	s_cbranch_vccz .LBB15_14
; %bb.13:
	v_pk_mul_f32 v[8:9], v[0:1], s[12:13]
	s_nop 0
	v_sub_f32_e32 v2, v8, v6
	s_cbranch_execz .LBB15_15
	s_branch .LBB15_16
.LBB15_14:
.LBB15_15:
	v_lshl_add_u64 v[8:9], v[4:5], 3, s[10:11]
	global_load_dwordx2 v[8:9], v[8:9], off
	v_pk_fma_f32 v[0:1], v[0:1], s[12:13], v[6:7] neg_lo:[0,0,1] neg_hi:[0,0,1]
	s_waitcnt vmcnt(0)
	v_pk_mul_f32 v[6:7], v[8:9], s[6:7] op_sel:[1,1] op_sel_hi:[1,0]
	s_nop 0
	v_pk_fma_f32 v[10:11], v[8:9], s[6:7], v[6:7] neg_lo:[0,0,1] neg_hi:[0,0,1]
	v_pk_fma_f32 v[6:7], v[8:9], s[6:7], v[6:7] op_sel_hi:[0,1,1]
	v_mov_b32_e32 v11, v7
	v_mov_b32_e32 v1, v3
	v_pk_add_f32 v[2:3], v[0:1], v[10:11]
.LBB15_16:
	v_lshl_add_u64 v[0:1], v[4:5], 3, s[10:11]
	global_store_dwordx2 v[0:1], v[2:3], off
.LBB15_17:
	s_endpgm
	.section	.rodata,"a",@progbits
	.p2align	6, 0x0
	.amdhsa_kernel _ZL36rocblas_hemvn_kernel_lower_block_sumILi64Ei19rocblas_complex_numIfEPS1_S1_EviT1_lS3_lT2_lT0_lPT3_i
		.amdhsa_group_segment_fixed_size 0
		.amdhsa_private_segment_fixed_size 0
		.amdhsa_kernarg_size 344
		.amdhsa_user_sgpr_count 2
		.amdhsa_user_sgpr_dispatch_ptr 0
		.amdhsa_user_sgpr_queue_ptr 0
		.amdhsa_user_sgpr_kernarg_segment_ptr 1
		.amdhsa_user_sgpr_dispatch_id 0
		.amdhsa_user_sgpr_kernarg_preload_length 0
		.amdhsa_user_sgpr_kernarg_preload_offset 0
		.amdhsa_user_sgpr_private_segment_size 0
		.amdhsa_uses_dynamic_stack 0
		.amdhsa_enable_private_segment 0
		.amdhsa_system_sgpr_workgroup_id_x 1
		.amdhsa_system_sgpr_workgroup_id_y 0
		.amdhsa_system_sgpr_workgroup_id_z 1
		.amdhsa_system_sgpr_workgroup_info 0
		.amdhsa_system_vgpr_workitem_id 0
		.amdhsa_next_free_vgpr 12
		.amdhsa_next_free_sgpr 24
		.amdhsa_accum_offset 12
		.amdhsa_reserve_vcc 1
		.amdhsa_float_round_mode_32 0
		.amdhsa_float_round_mode_16_64 0
		.amdhsa_float_denorm_mode_32 3
		.amdhsa_float_denorm_mode_16_64 3
		.amdhsa_dx10_clamp 1
		.amdhsa_ieee_mode 1
		.amdhsa_fp16_overflow 0
		.amdhsa_tg_split 0
		.amdhsa_exception_fp_ieee_invalid_op 0
		.amdhsa_exception_fp_denorm_src 0
		.amdhsa_exception_fp_ieee_div_zero 0
		.amdhsa_exception_fp_ieee_overflow 0
		.amdhsa_exception_fp_ieee_underflow 0
		.amdhsa_exception_fp_ieee_inexact 0
		.amdhsa_exception_int_div_zero 0
	.end_amdhsa_kernel
	.section	.text._ZL36rocblas_hemvn_kernel_lower_block_sumILi64Ei19rocblas_complex_numIfEPS1_S1_EviT1_lS3_lT2_lT0_lPT3_i,"axG",@progbits,_ZL36rocblas_hemvn_kernel_lower_block_sumILi64Ei19rocblas_complex_numIfEPS1_S1_EviT1_lS3_lT2_lT0_lPT3_i,comdat
.Lfunc_end15:
	.size	_ZL36rocblas_hemvn_kernel_lower_block_sumILi64Ei19rocblas_complex_numIfEPS1_S1_EviT1_lS3_lT2_lT0_lPT3_i, .Lfunc_end15-_ZL36rocblas_hemvn_kernel_lower_block_sumILi64Ei19rocblas_complex_numIfEPS1_S1_EviT1_lS3_lT2_lT0_lPT3_i
                                        ; -- End function
	.set _ZL36rocblas_hemvn_kernel_lower_block_sumILi64Ei19rocblas_complex_numIfEPS1_S1_EviT1_lS3_lT2_lT0_lPT3_i.num_vgpr, 12
	.set _ZL36rocblas_hemvn_kernel_lower_block_sumILi64Ei19rocblas_complex_numIfEPS1_S1_EviT1_lS3_lT2_lT0_lPT3_i.num_agpr, 0
	.set _ZL36rocblas_hemvn_kernel_lower_block_sumILi64Ei19rocblas_complex_numIfEPS1_S1_EviT1_lS3_lT2_lT0_lPT3_i.numbered_sgpr, 24
	.set _ZL36rocblas_hemvn_kernel_lower_block_sumILi64Ei19rocblas_complex_numIfEPS1_S1_EviT1_lS3_lT2_lT0_lPT3_i.num_named_barrier, 0
	.set _ZL36rocblas_hemvn_kernel_lower_block_sumILi64Ei19rocblas_complex_numIfEPS1_S1_EviT1_lS3_lT2_lT0_lPT3_i.private_seg_size, 0
	.set _ZL36rocblas_hemvn_kernel_lower_block_sumILi64Ei19rocblas_complex_numIfEPS1_S1_EviT1_lS3_lT2_lT0_lPT3_i.uses_vcc, 1
	.set _ZL36rocblas_hemvn_kernel_lower_block_sumILi64Ei19rocblas_complex_numIfEPS1_S1_EviT1_lS3_lT2_lT0_lPT3_i.uses_flat_scratch, 0
	.set _ZL36rocblas_hemvn_kernel_lower_block_sumILi64Ei19rocblas_complex_numIfEPS1_S1_EviT1_lS3_lT2_lT0_lPT3_i.has_dyn_sized_stack, 0
	.set _ZL36rocblas_hemvn_kernel_lower_block_sumILi64Ei19rocblas_complex_numIfEPS1_S1_EviT1_lS3_lT2_lT0_lPT3_i.has_recursion, 0
	.set _ZL36rocblas_hemvn_kernel_lower_block_sumILi64Ei19rocblas_complex_numIfEPS1_S1_EviT1_lS3_lT2_lT0_lPT3_i.has_indirect_call, 0
	.section	.AMDGPU.csdata,"",@progbits
; Kernel info:
; codeLenInByte = 648
; TotalNumSgprs: 30
; NumVgprs: 12
; NumAgprs: 0
; TotalNumVgprs: 12
; ScratchSize: 0
; MemoryBound: 0
; FloatMode: 240
; IeeeMode: 1
; LDSByteSize: 0 bytes/workgroup (compile time only)
; SGPRBlocks: 3
; VGPRBlocks: 1
; NumSGPRsForWavesPerEU: 30
; NumVGPRsForWavesPerEU: 12
; AccumOffset: 12
; Occupancy: 8
; WaveLimiterHint : 0
; COMPUTE_PGM_RSRC2:SCRATCH_EN: 0
; COMPUTE_PGM_RSRC2:USER_SGPR: 2
; COMPUTE_PGM_RSRC2:TRAP_HANDLER: 0
; COMPUTE_PGM_RSRC2:TGID_X_EN: 1
; COMPUTE_PGM_RSRC2:TGID_Y_EN: 0
; COMPUTE_PGM_RSRC2:TGID_Z_EN: 1
; COMPUTE_PGM_RSRC2:TIDIG_COMP_CNT: 0
; COMPUTE_PGM_RSRC3_GFX90A:ACCUM_OFFSET: 2
; COMPUTE_PGM_RSRC3_GFX90A:TG_SPLIT: 0
	.section	.text._ZL26rocblas_hemvn_kernel_upperILb1ELi64ELi4ELi33ELi32ELi16ElPK19rocblas_complex_numIdES3_PS1_EviT6_lT7_lT5_lS6_lS7_lS5_lT8_i,"axG",@progbits,_ZL26rocblas_hemvn_kernel_upperILb1ELi64ELi4ELi33ELi32ELi16ElPK19rocblas_complex_numIdES3_PS1_EviT6_lT7_lT5_lS6_lS7_lS5_lT8_i,comdat
	.globl	_ZL26rocblas_hemvn_kernel_upperILb1ELi64ELi4ELi33ELi32ELi16ElPK19rocblas_complex_numIdES3_PS1_EviT6_lT7_lT5_lS6_lS7_lS5_lT8_i ; -- Begin function _ZL26rocblas_hemvn_kernel_upperILb1ELi64ELi4ELi33ELi32ELi16ElPK19rocblas_complex_numIdES3_PS1_EviT6_lT7_lT5_lS6_lS7_lS5_lT8_i
	.p2align	8
	.type	_ZL26rocblas_hemvn_kernel_upperILb1ELi64ELi4ELi33ELi32ELi16ElPK19rocblas_complex_numIdES3_PS1_EviT6_lT7_lT5_lS6_lS7_lS5_lT8_i,@function
_ZL26rocblas_hemvn_kernel_upperILb1ELi64ELi4ELi33ELi32ELi16ElPK19rocblas_complex_numIdES3_PS1_EviT6_lT7_lT5_lS6_lS7_lS5_lT8_i: ; @_ZL26rocblas_hemvn_kernel_upperILb1ELi64ELi4ELi33ELi32ELi16ElPK19rocblas_complex_numIdES3_PS1_EviT6_lT7_lT5_lS6_lS7_lS5_lT8_i
; %bb.0:
	s_load_dwordx2 s[6:7], s[0:1], 0x84
	s_add_u32 s4, s0, 0x78
	s_addc_u32 s5, s1, 0
	s_waitcnt lgkmcnt(0)
	s_lshr_b32 s8, s6, 16
	s_and_b32 s6, s6, 0xffff
	s_and_b32 s7, s7, 0xffff
	s_mul_i32 s6, s8, s6
	s_mul_i32 s6, s6, s7
	s_cmpk_lg_i32 s6, 0x100
	s_cbranch_scc1 .LBB16_202
; %bb.1:
	s_load_dwordx16 s[8:23], s[0:1], 0x8
	s_waitcnt lgkmcnt(0)
	s_mul_i32 s7, s11, s3
	s_mul_hi_u32 s11, s10, s3
	s_mul_i32 s6, s10, s3
	s_add_i32 s7, s11, s7
	s_lshl_b64 s[6:7], s[6:7], 4
	s_add_u32 s6, s8, s6
	s_addc_u32 s7, s9, s7
	s_load_dwordx4 s[8:11], s[6:7], 0x0
	s_load_dwordx2 s[34:35], s[0:1], 0x68
	s_load_dwordx8 s[24:31], s[0:1], 0x48
	s_waitcnt lgkmcnt(0)
	v_cmp_neq_f64_e64 s[6:7], s[8:9], 0
	v_cmp_neq_f64_e64 s[8:9], s[10:11], 0
	s_or_b64 s[6:7], s[6:7], s[8:9]
	s_mov_b64 s[8:9], -1
	s_and_b64 vcc, exec, s[6:7]
	s_cbranch_vccnz .LBB16_3
; %bb.2:
	s_mul_i32 s8, s31, s3
	s_mul_hi_u32 s9, s30, s3
	s_add_i32 s9, s9, s8
	s_mul_i32 s8, s30, s3
	s_lshl_b64 s[8:9], s[8:9], 4
	s_add_u32 s28, s28, s8
	s_addc_u32 s29, s29, s9
	s_load_dwordx4 s[8:11], s[28:29], 0x0
	s_waitcnt lgkmcnt(0)
	v_cmp_neq_f64_e64 s[8:9], s[8:9], 1.0
	v_cmp_neq_f64_e64 s[10:11], s[10:11], 0
	s_or_b64 s[8:9], s[8:9], s[10:11]
.LBB16_3:
	s_andn2_b64 vcc, exec, s[8:9]
	s_cbranch_vccnz .LBB16_202
; %bb.4:
	s_andn2_b64 vcc, exec, s[6:7]
	s_cbranch_vccnz .LBB16_202
; %bb.5:
	s_load_dword s30, s[4:5], 0x0
	s_load_dword s33, s[0:1], 0x0
	s_mul_i32 s0, s27, s3
	s_mul_hi_u32 s1, s26, s3
	s_add_i32 s1, s1, s0
	s_mul_i32 s0, s26, s3
	s_lshl_b64 s[0:1], s[0:1], 4
	s_add_u32 s4, s20, s0
	s_addc_u32 s5, s21, s1
	s_lshl_b64 s[0:1], s[22:23], 4
	s_add_u32 s0, s4, s0
	s_addc_u32 s1, s5, s1
	s_waitcnt lgkmcnt(0)
	s_ashr_i32 s36, s33, 31
	s_lshr_b32 s5, s36, 26
	v_and_b32_e32 v202, 0x3ff, v0
	s_lshl_b32 s22, s2, 6
	s_add_i32 s5, s33, s5
	s_andn2_b32 s5, s5, 63
	v_add_u32_e32 v164, s22, v202
	s_add_i32 s4, s30, -1
	s_sub_i32 s31, s33, s5
	v_ashrrev_i32_e32 v165, 31, v164
	v_bfe_u32 v203, v0, 10, 10
	s_cmp_eq_u32 s2, s4
	v_mul_lo_u32 v2, s24, v165
	v_mul_lo_u32 v3, s25, v164
	v_mad_u64_u32 v[0:1], s[4:5], s24, v164, 0
	v_add3_u32 v1, v1, v2, v3
	s_cselect_b32 s20, s31, 0
	v_lshl_add_u64 v[36:37], v[0:1], 4, s[0:1]
	v_cmp_eq_u32_e64 s[0:1], 0, v203
	s_and_saveexec_b64 s[4:5], s[0:1]
	s_cbranch_execz .LBB16_10
; %bb.6:
	s_cmp_lg_u32 s20, 0
	s_cselect_b64 s[6:7], -1, 0
	v_cmp_le_i32_e32 vcc, s20, v202
	v_mov_b32_e32 v0, 0x4700
	s_and_b64 s[6:7], s[6:7], vcc
	v_lshl_add_u32 v0, v202, 4, v0
	s_and_saveexec_b64 s[8:9], s[6:7]
	s_xor_b64 s[6:7], exec, s[8:9]
; %bb.7:
	v_mov_b32_e32 v2, 0
	v_mov_b32_e32 v3, v2
	;; [unrolled: 1-line block ×4, first 2 shown]
	ds_write_b128 v0, v[2:5]
                                        ; implicit-def: $vgpr0
; %bb.8:
	s_andn2_saveexec_b64 s[6:7], s[6:7]
	s_cbranch_execz .LBB16_10
; %bb.9:
	global_load_dwordx4 v[2:5], v[36:37], off
	s_waitcnt vmcnt(0)
	ds_write2_b64 v0, v[2:3], v[4:5] offset1:1
.LBB16_10:
	s_or_b64 exec, exec, s[4:5]
	s_mul_i32 s4, s19, s3
	s_mul_hi_u32 s5, s18, s3
	s_add_i32 s5, s5, s4
	s_mul_i32 s4, s18, s3
	s_lshl_b64 s[4:5], s[4:5], 4
	s_add_u32 s6, s12, s4
	s_addc_u32 s7, s13, s5
	s_lshl_b64 s[4:5], s[14:15], 4
	s_add_u32 s6, s6, s4
	s_addc_u32 s7, s7, s5
	s_ashr_i32 s23, s22, 31
	v_lshl_add_u32 v42, v203, 6, v202
	s_lshl_b64 s[4:5], s[22:23], 4
	v_and_b32_e32 v10, 31, v202
	v_lshrrev_b32_e32 v14, 5, v42
	s_add_u32 s4, s6, s4
	v_mov_b32_e32 v11, 0
	s_addc_u32 s5, s7, s5
	v_mad_u64_u32 v[38:39], s[6:7], s16, v14, v[10:11]
	v_mov_b32_e32 v0, v39
	v_mad_u64_u32 v[0:1], s[6:7], s17, v14, v[0:1]
	v_mov_b32_e32 v39, v0
	v_lshl_add_u64 v[0:1], v[38:39], 4, s[4:5]
	s_mul_hi_u32 s4, s16, s22
	s_mul_i32 s5, s16, s23
	s_add_i32 s4, s4, s5
	s_mul_i32 s5, s17, s22
	s_add_i32 s5, s4, s5
	s_cmp_eq_u32 s20, 0
	s_cselect_b64 s[18:19], -1, 0
	s_cmp_lg_u32 s20, 0
	s_mul_i32 s4, s16, s22
	s_cselect_b64 s[26:27], -1, 0
	v_lshl_add_u64 v[0:1], s[4:5], 4, v[0:1]
	s_and_b64 vcc, exec, s[26:27]
	v_cmp_gt_i32_e64 s[4:5], s20, v10
	v_lshlrev_b32_e32 v8, 4, v10
	v_lshlrev_b32_e32 v11, 4, v10
	s_cbranch_vccz .LBB16_28
; %bb.11:
	v_sub_co_u32_e32 v2, vcc, v0, v8
	s_ashr_i32 s21, s20, 31
	s_nop 0
	v_subbrev_co_u32_e32 v3, vcc, 0, v1, vcc
	v_lshl_add_u64 v[2:3], s[20:21], 4, v[2:3]
	v_lshl_add_u64 v[2:3], v[2:3], 0, -16
	s_movk_i32 s6, 0x210
	v_cndmask_b32_e64 v3, v3, v1, s[4:5]
	v_cndmask_b32_e64 v2, v2, v0, s[4:5]
	v_cmp_le_i32_e32 vcc, s20, v14
	v_mad_u32_u24 v5, v14, s6, v11
	s_and_saveexec_b64 s[6:7], vcc
	s_xor_b64 s[6:7], exec, s[6:7]
; %bb.12:
	v_mov_b32_e32 v16, 0
	v_mov_b32_e32 v17, v16
	;; [unrolled: 1-line block ×4, first 2 shown]
	ds_write_b128 v5, v[16:19]
                                        ; implicit-def: $vgpr5
; %bb.13:
	s_or_saveexec_b64 s[6:7], s[6:7]
	v_mul_u32_u24_e32 v4, 0x210, v14
	s_xor_b64 exec, exec, s[6:7]
	s_cbranch_execz .LBB16_15
; %bb.14:
	global_load_dwordx4 v[16:19], v[2:3], off
	s_waitcnt vmcnt(0)
	ds_write2_b64 v5, v[16:17], v[18:19] offset1:1
.LBB16_15:
	s_or_b64 exec, exec, s[6:7]
	v_add_u32_e32 v5, 8, v14
	v_cmp_le_i32_e32 vcc, s20, v5
	v_add_u32_e32 v5, v4, v11
	s_and_saveexec_b64 s[6:7], vcc
	s_xor_b64 s[6:7], exec, s[6:7]
; %bb.16:
	v_mov_b32_e32 v16, 0
	v_mov_b32_e32 v17, v16
	;; [unrolled: 1-line block ×4, first 2 shown]
	ds_write_b128 v5, v[16:19] offset:4224
; %bb.17:
	s_andn2_saveexec_b64 s[6:7], s[6:7]
	s_cbranch_execz .LBB16_19
; %bb.18:
	s_lshl_b64 s[8:9], s[16:17], 7
	v_lshl_add_u64 v[6:7], v[2:3], 0, s[8:9]
	global_load_dwordx4 v[16:19], v[6:7], off
	s_movk_i32 s8, 0x1080
	v_add3_u32 v6, v4, v11, s8
	s_waitcnt vmcnt(0)
	ds_write2_b64 v6, v[16:17], v[18:19] offset1:1
.LBB16_19:
	s_or_b64 exec, exec, s[6:7]
	v_add_u32_e32 v6, 16, v14
	v_cmp_le_i32_e32 vcc, s20, v6
	s_and_saveexec_b64 s[6:7], vcc
	s_xor_b64 s[6:7], exec, s[6:7]
; %bb.20:
	v_mov_b32_e32 v16, 0
	v_mov_b32_e32 v17, v16
	;; [unrolled: 1-line block ×4, first 2 shown]
	ds_write_b128 v5, v[16:19] offset:8448
; %bb.21:
	s_andn2_saveexec_b64 s[6:7], s[6:7]
	s_cbranch_execz .LBB16_23
; %bb.22:
	s_lshl_b64 s[8:9], s[16:17], 8
	v_lshl_add_u64 v[6:7], v[2:3], 0, s[8:9]
	global_load_dwordx4 v[16:19], v[6:7], off
	s_movk_i32 s8, 0x2100
	v_add3_u32 v6, v4, v11, s8
	s_waitcnt vmcnt(0)
	ds_write2_b64 v6, v[16:17], v[18:19] offset1:1
.LBB16_23:
	s_or_b64 exec, exec, s[6:7]
	v_add_u32_e32 v6, 24, v14
	v_cmp_le_i32_e32 vcc, s20, v6
	s_and_saveexec_b64 s[6:7], vcc
	s_xor_b64 s[6:7], exec, s[6:7]
; %bb.24:
	v_mov_b32_e32 v16, 0
	v_mov_b32_e32 v17, v16
	;; [unrolled: 1-line block ×4, first 2 shown]
	ds_write_b128 v5, v[16:19] offset:12672
                                        ; implicit-def: $vgpr4
; %bb.25:
	s_andn2_saveexec_b64 s[6:7], s[6:7]
	s_cbranch_execz .LBB16_27
; %bb.26:
	v_mov_b32_e32 v5, 0x180
	v_mad_u64_u32 v[6:7], s[8:9], s16, v5, v[2:3]
	s_mul_i32 s8, s17, 0x180
	s_nop 0
	v_add_u32_e32 v7, s8, v7
	global_load_dwordx4 v[16:19], v[6:7], off
	s_movk_i32 s8, 0x3180
	v_add3_u32 v4, v4, v11, s8
	s_waitcnt vmcnt(0)
	ds_write2_b64 v4, v[16:17], v[18:19] offset1:1
.LBB16_27:
	s_or_b64 exec, exec, s[6:7]
	v_mov_b32_e32 v9, 0
	v_lshl_add_u64 v[2:3], v[2:3], 0, v[8:9]
	s_lshl_b64 s[6:7], s[20:21], 4
	v_mov_b32_e32 v4, s7
	v_subrev_co_u32_e32 v2, vcc, s6, v2
	s_nop 1
	v_subb_co_u32_e32 v3, vcc, v3, v4, vcc
	v_lshl_add_u64 v[2:3], v[2:3], 0, 16
	v_cndmask_b32_e64 v5, v3, v1, s[4:5]
	v_cndmask_b32_e64 v4, v2, v0, s[4:5]
	s_branch .LBB16_30
.LBB16_28:
                                        ; implicit-def: $vgpr4_vgpr5
	s_cbranch_execz .LBB16_30
; %bb.29:
	s_lshl_b64 s[4:5], s[16:17], 7
	v_lshl_add_u64 v[6:7], v[0:1], 0, s[4:5]
	global_load_dwordx4 v[2:5], v[0:1], off
	global_load_dwordx4 v[16:19], v[6:7], off
	v_lshl_add_u64 v[6:7], v[6:7], 0, s[4:5]
	v_lshl_add_u64 v[12:13], v[6:7], 0, s[4:5]
	global_load_dwordx4 v[20:23], v[6:7], off
	global_load_dwordx4 v[24:27], v[12:13], off
	v_mul_u32_u24_e32 v6, 0x210, v14
	v_lshl_add_u32 v6, v10, 4, v6
	v_add_u32_e32 v7, 0x1080, v6
	v_add_u32_e32 v9, 0x2100, v6
	;; [unrolled: 1-line block ×3, first 2 shown]
	s_waitcnt vmcnt(3)
	ds_write2_b64 v6, v[2:3], v[4:5] offset1:1
	s_waitcnt vmcnt(2)
	ds_write2_b64 v7, v[16:17], v[18:19] offset1:1
	;; [unrolled: 2-line block ×4, first 2 shown]
	v_mov_b64_e32 v[4:5], v[0:1]
.LBB16_30:
	v_lshlrev_b32_e32 v17, 2, v14
	v_mul_u32_u24_e32 v15, 0x210, v10
	v_cmp_le_u32_e64 s[4:5], v17, v10
	s_mov_b64 s[6:7], 0
	s_waitcnt lgkmcnt(0)
	s_barrier
                                        ; implicit-def: $vgpr0
	s_and_saveexec_b64 s[8:9], s[4:5]
	s_xor_b64 s[8:9], exec, s[8:9]
	s_cbranch_execz .LBB16_34
; %bb.31:
	v_cmp_eq_u32_e32 vcc, v17, v10
                                        ; implicit-def: $vgpr0
	s_and_saveexec_b64 s[10:11], vcc
	s_xor_b64 s[10:11], exec, s[10:11]
; %bb.32:
	s_mov_b64 s[6:7], exec
	v_add_u32_e32 v0, v11, v15
; %bb.33:
	s_or_b64 exec, exec, s[10:11]
	s_and_b64 s[6:7], s[6:7], exec
.LBB16_34:
	s_or_saveexec_b64 s[8:9], s[8:9]
	v_lshl_or_b32 v1, v10, 9, v11
	v_mov_b64_e32 v[2:3], 0
	v_lshl_add_u32 v6, v17, 4, v1
	s_xor_b64 exec, exec, s[8:9]
	s_cbranch_execz .LBB16_36
; %bb.35:
	s_movk_i32 s10, 0x840
	v_mad_u32_u24 v0, v14, s10, v11
	ds_read_b128 v[0:3], v0
	s_or_b64 s[6:7], s[6:7], exec
	s_waitcnt lgkmcnt(0)
	v_xor_b32_e32 v3, 0x80000000, v3
	ds_write_b64 v6, v[0:1]
	v_mov_b32_e32 v0, v6
.LBB16_36:
	s_or_b64 exec, exec, s[8:9]
	s_and_saveexec_b64 s[8:9], s[6:7]
; %bb.37:
	ds_write_b64 v0, v[2:3] offset:8
; %bb.38:
	s_or_b64 exec, exec, s[8:9]
	v_or_b32_e32 v18, 1, v17
	v_cmp_ge_u32_e64 s[6:7], v17, v10
	s_mov_b64 s[8:9], 0
                                        ; implicit-def: $vgpr2_vgpr3
                                        ; implicit-def: $vgpr7
	s_and_saveexec_b64 s[10:11], s[6:7]
	s_xor_b64 s[10:11], exec, s[10:11]
	s_cbranch_execnz .LBB16_70
; %bb.39:
	s_andn2_saveexec_b64 s[10:11], s[10:11]
	s_cbranch_execnz .LBB16_71
.LBB16_40:
	s_or_b64 exec, exec, s[10:11]
	s_and_saveexec_b64 s[10:11], s[8:9]
.LBB16_41:
	ds_write_b64 v7, v[2:3] offset:8
.LBB16_42:
	s_or_b64 exec, exec, s[10:11]
	v_or_b32_e32 v19, 2, v17
	v_cmp_le_u32_e64 s[8:9], v19, v10
	s_mov_b64 s[10:11], 0
                                        ; implicit-def: $vgpr7
	s_and_saveexec_b64 s[12:13], s[8:9]
	s_xor_b64 s[12:13], exec, s[12:13]
	s_cbranch_execnz .LBB16_74
; %bb.43:
	s_or_saveexec_b64 s[12:13], s[12:13]
	v_mov_b64_e32 v[2:3], 0
	s_xor_b64 exec, exec, s[12:13]
	s_cbranch_execnz .LBB16_77
.LBB16_44:
	s_or_b64 exec, exec, s[12:13]
	s_and_saveexec_b64 s[12:13], s[10:11]
.LBB16_45:
	ds_write_b64 v7, v[2:3] offset:8
.LBB16_46:
	s_or_b64 exec, exec, s[12:13]
	v_or_b32_e32 v20, 3, v17
	v_cmp_le_u32_e64 s[10:11], v20, v10
	s_mov_b64 s[12:13], 0
                                        ; implicit-def: $vgpr7
	s_and_saveexec_b64 s[14:15], s[10:11]
	s_xor_b64 s[14:15], exec, s[14:15]
	s_cbranch_execnz .LBB16_78
; %bb.47:
	s_or_saveexec_b64 s[14:15], s[14:15]
	v_mov_b64_e32 v[2:3], 0
	s_xor_b64 exec, exec, s[14:15]
	s_cbranch_execnz .LBB16_81
.LBB16_48:
	s_or_b64 exec, exec, s[14:15]
	s_and_saveexec_b64 s[14:15], s[12:13]
.LBB16_49:
	ds_write_b64 v7, v[2:3] offset:8
.LBB16_50:
	s_or_b64 exec, exec, s[14:15]
	s_movk_i32 s12, 0x840
	v_lshlrev_b32_e32 v21, 4, v17
	s_waitcnt lgkmcnt(0)
	s_barrier
	v_mad_u32_u24 v6, v14, s12, v11
	ds_read_b128 v[0:3], v21 offset:18176
	ds_read_b128 v[22:25], v6
	ds_read_b128 v[26:29], v21 offset:18192
	ds_read_b128 v[30:33], v21 offset:18208
	s_movk_i32 s21, 0x210
	v_mad_u32_u24 v9, v18, s21, v11
	s_waitcnt lgkmcnt(2)
	v_mul_f64 v[6:7], v[2:3], v[24:25]
	v_mul_f64 v[12:13], v[0:1], v[24:25]
	v_fma_f64 v[6:7], v[0:1], v[22:23], -v[6:7]
	v_fmac_f64_e32 v[12:13], v[2:3], v[22:23]
	ds_read_b128 v[22:25], v21 offset:18224
	ds_read_b128 v[44:47], v9
	v_add_f64 v[2:3], v[6:7], 0
	v_add_f64 v[6:7], v[12:13], 0
	v_mov_b64_e32 v[0:1], 0
	v_cmp_gt_u32_e64 s[12:13], 32, v42
	s_waitcnt lgkmcnt(0)
	v_mul_f64 v[12:13], v[28:29], v[46:47]
	v_fma_f64 v[12:13], v[26:27], v[44:45], -v[12:13]
	v_mul_f64 v[26:27], v[26:27], v[46:47]
	ds_read_b128 v[46:49], v9 offset:528
	v_fmac_f64_e32 v[26:27], v[28:29], v[44:45]
	v_add_f64 v[6:7], v[6:7], v[26:27]
	ds_read_b128 v[26:29], v9 offset:1056
	v_add_f64 v[2:3], v[2:3], v[12:13]
	s_waitcnt lgkmcnt(1)
	v_mul_f64 v[12:13], v[32:33], v[48:49]
	v_fma_f64 v[12:13], v[30:31], v[46:47], -v[12:13]
	v_add_f64 v[2:3], v[2:3], v[12:13]
	s_waitcnt lgkmcnt(0)
	v_mul_f64 v[12:13], v[24:25], v[28:29]
	v_mul_f64 v[30:31], v[30:31], v[48:49]
	v_fma_f64 v[12:13], v[22:23], v[26:27], -v[12:13]
	v_fmac_f64_e32 v[30:31], v[32:33], v[46:47]
	v_mul_f64 v[28:29], v[22:23], v[28:29]
	v_add_f64 v[22:23], v[2:3], v[12:13]
	v_mul_u32_u24_e32 v2, 33, v10
	v_add_f64 v[6:7], v[6:7], v[30:31]
	v_fmac_f64_e32 v[28:29], v[24:25], v[26:27]
	v_lshlrev_b32_e32 v43, 4, v2
	v_add_f64 v[24:25], v[6:7], v[28:29]
	v_lshl_add_u32 v44, v14, 4, v43
	v_mov_b64_e32 v[2:3], 0
	s_barrier
	ds_write_b128 v44, v[22:25]
	s_waitcnt lgkmcnt(0)
	s_barrier
	s_and_saveexec_b64 s[14:15], s[12:13]
	s_cbranch_execz .LBB16_52
; %bb.51:
	ds_read_b128 v[0:3], v43
	ds_read_b128 v[22:25], v43 offset:16
	ds_read_b128 v[26:29], v43 offset:32
	;; [unrolled: 1-line block ×3, first 2 shown]
	s_waitcnt lgkmcnt(2)
	v_add_f64 v[0:1], v[22:23], v[0:1]
	v_add_f64 v[6:7], v[24:25], v[2:3]
	s_waitcnt lgkmcnt(1)
	v_add_f64 v[12:13], v[0:1], v[26:27]
	ds_read_b128 v[0:3], v43 offset:64
	ds_read_b128 v[22:25], v43 offset:80
	v_add_f64 v[6:7], v[6:7], v[28:29]
	s_waitcnt lgkmcnt(2)
	v_add_f64 v[12:13], v[12:13], v[30:31]
	v_add_f64 v[6:7], v[6:7], v[32:33]
	ds_read_b128 v[26:29], v43 offset:96
	s_waitcnt lgkmcnt(2)
	v_add_f64 v[12:13], v[12:13], v[0:1]
	v_add_f64 v[6:7], v[6:7], v[2:3]
	ds_read_b128 v[0:3], v43 offset:112
	s_waitcnt lgkmcnt(2)
	v_add_f64 v[12:13], v[12:13], v[22:23]
	v_add_f64 v[6:7], v[6:7], v[24:25]
	s_waitcnt lgkmcnt(1)
	v_add_f64 v[12:13], v[12:13], v[26:27]
	v_add_f64 v[6:7], v[6:7], v[28:29]
	;; [unrolled: 3-line block ×3, first 2 shown]
.LBB16_52:
	s_or_b64 exec, exec, s[14:15]
	s_lshl_b64 s[14:15], s[16:17], 9
	v_lshl_add_u64 v[6:7], v[4:5], 0, s[14:15]
	s_mov_b64 s[14:15], 0x200
	v_lshl_add_u64 v[4:5], v[6:7], 0, s[14:15]
	v_mad_u32_u24 v16, v14, s21, v11
	s_and_b64 vcc, exec, s[26:27]
	s_barrier
	s_cbranch_vccz .LBB16_82
; %bb.53:
	v_sub_co_u32_e32 v12, vcc, v6, v8
	s_ashr_i32 s21, s20, 31
	s_nop 0
	v_subbrev_co_u32_e32 v13, vcc, 0, v7, vcc
	v_or_b32_e32 v9, 32, v10
	v_lshl_add_u64 v[12:13], s[20:21], 4, v[12:13]
	v_lshl_add_u64 v[12:13], v[12:13], 0, -16
	v_cmp_gt_i32_e32 vcc, s20, v9
	s_sub_i32 s28, s20, 32
	v_cmp_le_i32_e64 s[14:15], s28, v14
	v_cndmask_b32_e32 v13, v13, v5, vcc
	v_cndmask_b32_e32 v12, v12, v4, vcc
	s_and_saveexec_b64 s[38:39], s[14:15]
	s_xor_b64 s[14:15], exec, s[38:39]
; %bb.54:
	v_mov_b32_e32 v22, 0
	v_mov_b32_e32 v23, v22
	;; [unrolled: 1-line block ×4, first 2 shown]
	ds_write_b128 v16, v[22:25]
; %bb.55:
	s_andn2_saveexec_b64 s[14:15], s[14:15]
	s_cbranch_execz .LBB16_57
; %bb.56:
	global_load_dwordx4 v[22:25], v[12:13], off
	s_waitcnt vmcnt(0)
	ds_write2_b64 v16, v[22:23], v[24:25] offset1:1
.LBB16_57:
	s_or_b64 exec, exec, s[14:15]
	v_add_u32_e32 v9, 8, v14
	v_cmp_le_i32_e64 s[14:15], s28, v9
	s_and_saveexec_b64 s[38:39], s[14:15]
	s_xor_b64 s[14:15], exec, s[38:39]
	s_cbranch_execz .LBB16_59
; %bb.58:
	s_movk_i32 s29, 0x210
	v_mov_b32_e32 v22, 0
	v_mad_u32_u24 v9, v9, s29, v11
	v_mov_b32_e32 v23, v22
	v_mov_b32_e32 v24, v22
	;; [unrolled: 1-line block ×3, first 2 shown]
	ds_write_b128 v9, v[22:25]
                                        ; implicit-def: $vgpr9
.LBB16_59:
	s_andn2_saveexec_b64 s[14:15], s[14:15]
	s_cbranch_execz .LBB16_61
; %bb.60:
	s_lshl_b64 s[38:39], s[16:17], 7
	v_lshl_add_u64 v[22:23], v[12:13], 0, s[38:39]
	global_load_dwordx4 v[22:25], v[22:23], off
	s_movk_i32 s29, 0x210
	v_mad_u32_u24 v9, v9, s29, v11
	s_waitcnt vmcnt(0)
	ds_write2_b64 v9, v[22:23], v[24:25] offset1:1
.LBB16_61:
	s_or_b64 exec, exec, s[14:15]
	v_add_u32_e32 v9, 16, v14
	v_cmp_le_i32_e64 s[14:15], s28, v9
	s_and_saveexec_b64 s[38:39], s[14:15]
	s_xor_b64 s[14:15], exec, s[38:39]
	s_cbranch_execz .LBB16_63
; %bb.62:
	s_movk_i32 s29, 0x210
	v_mov_b32_e32 v22, 0
	v_mad_u32_u24 v9, v9, s29, v11
	v_mov_b32_e32 v23, v22
	v_mov_b32_e32 v24, v22
	;; [unrolled: 1-line block ×3, first 2 shown]
	ds_write_b128 v9, v[22:25]
                                        ; implicit-def: $vgpr9
.LBB16_63:
	s_andn2_saveexec_b64 s[14:15], s[14:15]
	s_cbranch_execz .LBB16_65
; %bb.64:
	s_lshl_b64 s[38:39], s[16:17], 8
	v_lshl_add_u64 v[22:23], v[12:13], 0, s[38:39]
	global_load_dwordx4 v[22:25], v[22:23], off
	s_movk_i32 s29, 0x210
	v_mad_u32_u24 v9, v9, s29, v11
	s_waitcnt vmcnt(0)
	ds_write2_b64 v9, v[22:23], v[24:25] offset1:1
.LBB16_65:
	s_or_b64 exec, exec, s[14:15]
	v_add_u32_e32 v9, 24, v14
	v_cmp_le_i32_e64 s[14:15], s28, v9
	s_and_saveexec_b64 s[28:29], s[14:15]
	s_xor_b64 s[14:15], exec, s[28:29]
	s_cbranch_execz .LBB16_67
; %bb.66:
	s_movk_i32 s28, 0x210
	v_mov_b32_e32 v22, 0
	v_mad_u32_u24 v9, v9, s28, v11
	v_mov_b32_e32 v23, v22
	v_mov_b32_e32 v24, v22
	;; [unrolled: 1-line block ×3, first 2 shown]
	ds_write_b128 v9, v[22:25]
                                        ; implicit-def: $vgpr9
.LBB16_67:
	s_andn2_saveexec_b64 s[14:15], s[14:15]
	s_cbranch_execz .LBB16_69
; %bb.68:
	v_mov_b32_e32 v22, 0x180
	v_mad_u64_u32 v[22:23], s[28:29], s16, v22, v[12:13]
	s_mul_i32 s28, s17, 0x180
	s_nop 0
	v_add_u32_e32 v23, s28, v23
	global_load_dwordx4 v[22:25], v[22:23], off
	s_movk_i32 s28, 0x210
	v_mad_u32_u24 v9, v9, s28, v11
	s_waitcnt vmcnt(0)
	ds_write2_b64 v9, v[22:23], v[24:25] offset1:1
.LBB16_69:
	s_or_b64 exec, exec, s[14:15]
	v_mov_b32_e32 v9, 0
	v_lshl_add_u64 v[12:13], v[12:13], 0, v[8:9]
	s_lshl_b64 s[14:15], s[20:21], 4
	v_mov_b32_e32 v9, s15
	v_subrev_co_u32_e64 v12, s[14:15], s14, v12
	s_nop 1
	v_subb_co_u32_e64 v13, s[14:15], v13, v9, s[14:15]
	s_mov_b64 s[14:15], 0x210
	s_nop 0
	v_lshl_add_u64 v[12:13], v[12:13], 0, s[14:15]
	v_cndmask_b32_e32 v13, v13, v5, vcc
	v_cndmask_b32_e32 v12, v12, v4, vcc
	s_branch .LBB16_84
.LBB16_70:
	s_movk_i32 s12, 0x210
	v_mad_u32_u24 v0, v18, s12, v11
	ds_read_b128 v[0:3], v0
	s_mov_b64 s[8:9], exec
	v_add_u32_e32 v7, 16, v6
	s_waitcnt lgkmcnt(0)
	v_xor_b32_e32 v3, 0x80000000, v3
	ds_write_b64 v6, v[0:1] offset:16
	s_andn2_saveexec_b64 s[10:11], s[10:11]
	s_cbranch_execz .LBB16_40
.LBB16_71:
	v_cmp_eq_u32_e32 vcc, v18, v10
	s_mov_b64 s[12:13], s[8:9]
                                        ; implicit-def: $vgpr7
	s_and_saveexec_b64 s[14:15], vcc
; %bb.72:
	v_add_u32_e32 v7, v11, v15
	s_or_b64 s[12:13], s[8:9], exec
; %bb.73:
	s_or_b64 exec, exec, s[14:15]
	s_andn2_b64 s[8:9], s[8:9], exec
	s_and_b64 s[12:13], s[12:13], exec
	v_mov_b64_e32 v[2:3], 0
	s_or_b64 s[8:9], s[8:9], s[12:13]
	s_or_b64 exec, exec, s[10:11]
	s_and_saveexec_b64 s[10:11], s[8:9]
	s_cbranch_execnz .LBB16_41
	s_branch .LBB16_42
.LBB16_74:
	v_cmp_eq_u32_e32 vcc, v19, v10
                                        ; implicit-def: $vgpr7
	s_and_saveexec_b64 s[14:15], vcc
; %bb.75:
	s_mov_b64 s[10:11], exec
	v_add_u32_e32 v7, v11, v15
; %bb.76:
	s_or_b64 exec, exec, s[14:15]
	s_and_b64 s[10:11], s[10:11], exec
	s_or_saveexec_b64 s[12:13], s[12:13]
	v_mov_b64_e32 v[2:3], 0
	s_xor_b64 exec, exec, s[12:13]
	s_cbranch_execz .LBB16_44
.LBB16_77:
	s_movk_i32 s14, 0x210
	v_mad_u32_u24 v0, v19, s14, v11
	ds_read_b128 v[0:3], v0
	v_add_u32_e32 v7, 32, v6
	s_or_b64 s[10:11], s[10:11], exec
	s_waitcnt lgkmcnt(0)
	v_xor_b32_e32 v3, 0x80000000, v3
	ds_write_b64 v6, v[0:1] offset:32
	s_or_b64 exec, exec, s[12:13]
	s_and_saveexec_b64 s[12:13], s[10:11]
	s_cbranch_execnz .LBB16_45
	s_branch .LBB16_46
.LBB16_78:
	v_cmp_eq_u32_e32 vcc, v20, v10
                                        ; implicit-def: $vgpr7
	s_and_saveexec_b64 s[28:29], vcc
; %bb.79:
	s_mov_b64 s[12:13], exec
	v_add_u32_e32 v7, v11, v15
; %bb.80:
	s_or_b64 exec, exec, s[28:29]
	s_and_b64 s[12:13], s[12:13], exec
                                        ; implicit-def: $vgpr6
	s_or_saveexec_b64 s[14:15], s[14:15]
	v_mov_b64_e32 v[2:3], 0
	s_xor_b64 exec, exec, s[14:15]
	s_cbranch_execz .LBB16_48
.LBB16_81:
	s_movk_i32 s21, 0x210
	v_mad_u32_u24 v0, v20, s21, v11
	ds_read_b128 v[0:3], v0
	v_add_u32_e32 v7, 48, v6
	s_or_b64 s[12:13], s[12:13], exec
	s_waitcnt lgkmcnt(0)
	v_xor_b32_e32 v3, 0x80000000, v3
	ds_write_b64 v6, v[0:1] offset:48
	s_or_b64 exec, exec, s[14:15]
	s_and_saveexec_b64 s[14:15], s[12:13]
	s_cbranch_execnz .LBB16_49
	s_branch .LBB16_50
.LBB16_82:
                                        ; implicit-def: $vgpr12_vgpr13
	s_cbranch_execz .LBB16_84
; %bb.83:
	s_lshl_b64 s[14:15], s[16:17], 7
	v_lshl_add_u64 v[6:7], v[6:7], 0, s[14:15]
	global_load_dwordx4 v[22:25], v[4:5], off
	global_load_dwordx4 v[26:29], v[6:7], off offset:512
	v_lshl_add_u64 v[6:7], v[6:7], 0, s[14:15]
	v_lshl_add_u64 v[12:13], v[6:7], 0, s[14:15]
	global_load_dwordx4 v[30:33], v[6:7], off offset:512
	global_load_dwordx4 v[46:49], v[12:13], off offset:512
	v_mov_b64_e32 v[12:13], v[4:5]
	v_add_u32_e32 v6, 0x1080, v16
	v_add_u32_e32 v7, 0x2100, v16
	;; [unrolled: 1-line block ×3, first 2 shown]
	s_waitcnt vmcnt(3)
	ds_write2_b64 v16, v[22:23], v[24:25] offset1:1
	s_waitcnt vmcnt(2)
	ds_write2_b64 v6, v[26:27], v[28:29] offset1:1
	;; [unrolled: 2-line block ×4, first 2 shown]
.LBB16_84:
	v_mul_u32_u24_e32 v5, 0x840, v14
	s_mov_b64 s[14:15], 0
	s_waitcnt lgkmcnt(0)
	s_barrier
                                        ; implicit-def: $vgpr4
	s_and_saveexec_b64 s[28:29], s[4:5]
	s_xor_b64 s[4:5], exec, s[28:29]
	s_cbranch_execz .LBB16_88
; %bb.85:
	v_cmp_eq_u32_e32 vcc, v17, v10
                                        ; implicit-def: $vgpr4
	s_and_saveexec_b64 s[28:29], vcc
	s_xor_b64 s[28:29], exec, s[28:29]
; %bb.86:
	s_mov_b64 s[14:15], exec
	v_add_u32_e32 v4, v11, v15
; %bb.87:
	s_or_b64 exec, exec, s[28:29]
	s_and_b64 s[14:15], s[14:15], exec
.LBB16_88:
	s_or_saveexec_b64 s[4:5], s[4:5]
	v_mov_b64_e32 v[6:7], 0
	v_add_u32_e32 v32, v11, v5
	v_lshl_add_u32 v9, v17, 4, v43
	s_xor_b64 exec, exec, s[4:5]
	s_cbranch_execz .LBB16_90
; %bb.89:
	ds_read_b128 v[4:7], v32
	s_or_b64 s[14:15], s[14:15], exec
	s_waitcnt lgkmcnt(0)
	v_xor_b32_e32 v7, 0x80000000, v7
	ds_write_b64 v9, v[4:5]
	v_mov_b32_e32 v4, v9
.LBB16_90:
	s_or_b64 exec, exec, s[4:5]
	v_mul_u32_u24_e32 v5, 0x210, v18
	s_and_saveexec_b64 s[4:5], s[14:15]
; %bb.91:
	ds_write_b64 v4, v[6:7] offset:8
; %bb.92:
	s_or_b64 exec, exec, s[4:5]
	s_mov_b64 s[4:5], 0
	v_add_u32_e32 v45, v11, v5
                                        ; implicit-def: $vgpr6_vgpr7
                                        ; implicit-def: $vgpr17
	s_and_saveexec_b64 s[14:15], s[6:7]
	s_xor_b64 s[6:7], exec, s[14:15]
	s_cbranch_execnz .LBB16_124
; %bb.93:
	s_andn2_saveexec_b64 s[6:7], s[6:7]
	s_cbranch_execnz .LBB16_125
.LBB16_94:
	s_or_b64 exec, exec, s[6:7]
	s_and_saveexec_b64 s[6:7], s[4:5]
.LBB16_95:
	ds_write_b64 v17, v[6:7] offset:8
.LBB16_96:
	s_or_b64 exec, exec, s[6:7]
	s_mov_b64 s[4:5], 0
                                        ; implicit-def: $vgpr17
	s_and_saveexec_b64 s[6:7], s[8:9]
	s_xor_b64 s[6:7], exec, s[6:7]
	s_cbranch_execnz .LBB16_128
; %bb.97:
	s_or_saveexec_b64 s[6:7], s[6:7]
	v_mov_b64_e32 v[6:7], 0
	s_xor_b64 exec, exec, s[6:7]
	s_cbranch_execnz .LBB16_131
.LBB16_98:
	s_or_b64 exec, exec, s[6:7]
	s_and_saveexec_b64 s[6:7], s[4:5]
.LBB16_99:
	ds_write_b64 v17, v[6:7] offset:8
.LBB16_100:
	s_or_b64 exec, exec, s[6:7]
	s_mov_b64 s[4:5], 0
                                        ; implicit-def: $vgpr18
	s_and_saveexec_b64 s[6:7], s[10:11]
	s_xor_b64 s[6:7], exec, s[6:7]
	s_cbranch_execnz .LBB16_132
; %bb.101:
	s_or_saveexec_b64 s[6:7], s[6:7]
	v_mov_b64_e32 v[6:7], 0
	s_xor_b64 exec, exec, s[6:7]
	s_cbranch_execnz .LBB16_135
.LBB16_102:
	s_or_b64 exec, exec, s[6:7]
	v_add_u32_e32 v17, 0x4700, v21
	s_and_saveexec_b64 s[6:7], s[4:5]
.LBB16_103:
	ds_write_b64 v18, v[6:7] offset:8
.LBB16_104:
	s_or_b64 exec, exec, s[6:7]
	s_waitcnt lgkmcnt(0)
	s_barrier
	ds_read_b128 v[4:7], v32
	ds_read_b128 v[18:21], v17 offset:512
	ds_read_b128 v[22:25], v17 offset:528
	;; [unrolled: 1-line block ×5, first 2 shown]
	ds_read_b128 v[54:57], v45
	s_waitcnt lgkmcnt(5)
	v_mul_f64 v[30:31], v[20:21], v[6:7]
	v_mul_f64 v[6:7], v[18:19], v[6:7]
	v_fmac_f64_e32 v[6:7], v[20:21], v[4:5]
	v_fma_f64 v[30:31], v[18:19], v[4:5], -v[30:31]
	v_add_f64 v[20:21], v[6:7], 0
	ds_read_b128 v[4:7], v45 offset:528
	v_add_f64 v[18:19], v[30:31], 0
	s_waitcnt lgkmcnt(1)
	v_mul_f64 v[30:31], v[24:25], v[56:57]
	v_fma_f64 v[30:31], v[22:23], v[54:55], -v[30:31]
	v_mul_f64 v[22:23], v[22:23], v[56:57]
	v_fmac_f64_e32 v[22:23], v[24:25], v[54:55]
	v_add_f64 v[20:21], v[20:21], v[22:23]
	s_waitcnt lgkmcnt(0)
	v_mul_f64 v[22:23], v[28:29], v[6:7]
	v_mul_f64 v[6:7], v[26:27], v[6:7]
	v_add_f64 v[18:19], v[18:19], v[30:31]
	v_fma_f64 v[22:23], v[26:27], v[4:5], -v[22:23]
	v_fmac_f64_e32 v[6:7], v[28:29], v[4:5]
	v_add_f64 v[4:5], v[18:19], v[22:23]
	v_add_f64 v[6:7], v[20:21], v[6:7]
	v_mul_f64 v[18:19], v[48:49], v[52:53]
	v_mul_f64 v[20:21], v[46:47], v[52:53]
	v_fma_f64 v[18:19], v[46:47], v[50:51], -v[18:19]
	v_fmac_f64_e32 v[20:21], v[48:49], v[50:51]
	v_add_f64 v[4:5], v[4:5], v[18:19]
	v_add_f64 v[6:7], v[6:7], v[20:21]
	v_cmp_eq_u32_e64 s[4:5], 1, v14
	s_barrier
	ds_write_b128 v44, v[4:7]
	s_waitcnt lgkmcnt(0)
	s_barrier
	s_and_saveexec_b64 s[6:7], s[4:5]
	s_cbranch_execz .LBB16_106
; %bb.105:
	ds_read_b128 v[0:3], v43
	ds_read_b128 v[4:7], v43 offset:16
	ds_read_b128 v[18:21], v43 offset:32
	;; [unrolled: 1-line block ×3, first 2 shown]
	s_waitcnt lgkmcnt(2)
	v_add_f64 v[0:1], v[4:5], v[0:1]
	v_add_f64 v[4:5], v[6:7], v[2:3]
	s_waitcnt lgkmcnt(1)
	v_add_f64 v[6:7], v[0:1], v[18:19]
	ds_read_b128 v[0:3], v43 offset:64
	v_add_f64 v[4:5], v[4:5], v[20:21]
	s_waitcnt lgkmcnt(1)
	v_add_f64 v[18:19], v[6:7], v[22:23]
	v_add_f64 v[22:23], v[4:5], v[24:25]
	ds_read_b128 v[4:7], v43 offset:80
	s_waitcnt lgkmcnt(1)
	v_add_f64 v[24:25], v[18:19], v[0:1]
	ds_read_b128 v[18:21], v43 offset:96
	v_add_f64 v[22:23], v[22:23], v[2:3]
	ds_read_b128 v[0:3], v43 offset:112
	s_waitcnt lgkmcnt(2)
	v_add_f64 v[4:5], v[24:25], v[4:5]
	v_add_f64 v[6:7], v[22:23], v[6:7]
	s_waitcnt lgkmcnt(1)
	v_add_f64 v[4:5], v[4:5], v[18:19]
	v_add_f64 v[6:7], v[6:7], v[20:21]
	;; [unrolled: 3-line block ×3, first 2 shown]
.LBB16_106:
	s_or_b64 exec, exec, s[6:7]
	s_movk_i32 s6, 0xfe00
	s_mov_b32 s7, -1
	v_lshl_add_u64 v[4:5], v[12:13], 0, s[6:7]
	s_and_b64 vcc, exec, s[26:27]
	s_barrier
	s_cbranch_vccz .LBB16_136
; %bb.107:
	v_sub_co_u32_e32 v6, vcc, v12, v8
	s_ashr_i32 s21, s20, 31
	s_nop 0
	v_subbrev_co_u32_e32 v7, vcc, 0, v13, vcc
	s_movk_i32 s6, 0xfdf0
	v_lshl_add_u64 v[6:7], s[20:21], 4, v[6:7]
	s_mov_b32 s7, -1
	v_lshl_add_u64 v[6:7], v[6:7], 0, s[6:7]
	v_cmp_gt_i32_e32 vcc, s20, v10
	s_sub_i32 s8, s20, 32
	v_cmp_le_i32_e64 s[6:7], s8, v14
	v_cndmask_b32_e32 v7, v7, v5, vcc
	v_cndmask_b32_e32 v6, v6, v4, vcc
	s_and_saveexec_b64 s[10:11], s[6:7]
	s_xor_b64 s[6:7], exec, s[10:11]
; %bb.108:
	v_mov_b32_e32 v18, 0
	v_mov_b32_e32 v19, v18
	;; [unrolled: 1-line block ×4, first 2 shown]
	ds_write_b128 v16, v[18:21]
; %bb.109:
	s_andn2_saveexec_b64 s[6:7], s[6:7]
	s_cbranch_execz .LBB16_111
; %bb.110:
	global_load_dwordx4 v[18:21], v[6:7], off
	s_waitcnt vmcnt(0)
	ds_write2_b64 v16, v[18:19], v[20:21] offset1:1
.LBB16_111:
	s_or_b64 exec, exec, s[6:7]
	v_add_u32_e32 v10, 8, v14
	v_cmp_le_i32_e64 s[6:7], s8, v10
	s_and_saveexec_b64 s[10:11], s[6:7]
	s_xor_b64 s[6:7], exec, s[10:11]
	s_cbranch_execz .LBB16_113
; %bb.112:
	s_movk_i32 s9, 0x210
	v_mov_b32_e32 v18, 0
	v_mad_u32_u24 v9, v10, s9, v11
	v_mov_b32_e32 v19, v18
	v_mov_b32_e32 v20, v18
	;; [unrolled: 1-line block ×3, first 2 shown]
	ds_write_b128 v9, v[18:21]
.LBB16_113:
	s_andn2_saveexec_b64 s[6:7], s[6:7]
	s_cbranch_execz .LBB16_115
; %bb.114:
	s_lshl_b64 s[10:11], s[16:17], 7
	v_lshl_add_u64 v[18:19], v[6:7], 0, s[10:11]
	global_load_dwordx4 v[18:21], v[18:19], off
	s_movk_i32 s9, 0x210
	v_mad_u32_u24 v9, v10, s9, v11
	s_waitcnt vmcnt(0)
	ds_write2_b64 v9, v[18:19], v[20:21] offset1:1
.LBB16_115:
	s_or_b64 exec, exec, s[6:7]
	v_add_u32_e32 v15, 16, v14
	v_cmp_le_i32_e64 s[6:7], s8, v15
	s_and_saveexec_b64 s[10:11], s[6:7]
	s_xor_b64 s[6:7], exec, s[10:11]
	s_cbranch_execz .LBB16_117
; %bb.116:
	s_movk_i32 s9, 0x210
	v_mov_b32_e32 v18, 0
	v_mad_u32_u24 v9, v15, s9, v11
	v_mov_b32_e32 v19, v18
	v_mov_b32_e32 v20, v18
	;; [unrolled: 1-line block ×3, first 2 shown]
	ds_write_b128 v9, v[18:21]
.LBB16_117:
	s_andn2_saveexec_b64 s[6:7], s[6:7]
	s_cbranch_execz .LBB16_119
; %bb.118:
	s_lshl_b64 s[10:11], s[16:17], 8
	v_lshl_add_u64 v[18:19], v[6:7], 0, s[10:11]
	global_load_dwordx4 v[18:21], v[18:19], off
	s_movk_i32 s9, 0x210
	v_mad_u32_u24 v9, v15, s9, v11
	s_waitcnt vmcnt(0)
	ds_write2_b64 v9, v[18:19], v[20:21] offset1:1
.LBB16_119:
	s_or_b64 exec, exec, s[6:7]
	v_add_u32_e32 v18, 24, v14
	v_cmp_le_i32_e64 s[6:7], s8, v18
	s_and_saveexec_b64 s[8:9], s[6:7]
	s_xor_b64 s[6:7], exec, s[8:9]
	s_cbranch_execz .LBB16_121
; %bb.120:
	s_movk_i32 s8, 0x210
	v_mov_b32_e32 v20, 0
	v_mad_u32_u24 v9, v18, s8, v11
	v_mov_b32_e32 v21, v20
	v_mov_b32_e32 v22, v20
	;; [unrolled: 1-line block ×3, first 2 shown]
	ds_write_b128 v9, v[20:23]
.LBB16_121:
	s_andn2_saveexec_b64 s[6:7], s[6:7]
	s_cbranch_execz .LBB16_123
; %bb.122:
	v_mov_b32_e32 v9, 0x180
	v_mad_u64_u32 v[20:21], s[8:9], s16, v9, v[6:7]
	s_mul_i32 s8, s17, 0x180
	s_nop 0
	v_add_u32_e32 v21, s8, v21
	global_load_dwordx4 v[20:23], v[20:21], off
	s_movk_i32 s8, 0x210
	v_mad_u32_u24 v9, v18, s8, v11
	s_waitcnt vmcnt(0)
	ds_write2_b64 v9, v[20:21], v[22:23] offset1:1
.LBB16_123:
	s_or_b64 exec, exec, s[6:7]
	v_mov_b32_e32 v9, 0
	v_lshl_add_u64 v[6:7], v[6:7], 0, v[8:9]
	s_lshl_b64 s[6:7], s[20:21], 4
	v_mov_b32_e32 v8, s7
	v_subrev_co_u32_e64 v6, s[6:7], s6, v6
	s_nop 1
	v_subb_co_u32_e64 v7, s[6:7], v7, v8, s[6:7]
	v_lshl_add_u64 v[6:7], v[6:7], 0, 16
	v_cndmask_b32_e32 v41, v7, v5, vcc
	v_cndmask_b32_e32 v40, v6, v4, vcc
	s_branch .LBB16_138
.LBB16_124:
	ds_read_b128 v[4:7], v45
	s_mov_b64 s[4:5], exec
	v_add_u32_e32 v17, 16, v9
                                        ; implicit-def: $vgpr18
	s_waitcnt lgkmcnt(0)
	v_xor_b32_e32 v7, 0x80000000, v7
	ds_write_b64 v9, v[4:5] offset:16
	s_andn2_saveexec_b64 s[6:7], s[6:7]
	s_cbranch_execz .LBB16_94
.LBB16_125:
	v_cmp_eq_u32_e32 vcc, v18, v10
	s_mov_b64 s[14:15], s[4:5]
                                        ; implicit-def: $vgpr17
	s_and_saveexec_b64 s[28:29], vcc
; %bb.126:
	v_add_u32_e32 v17, v11, v15
	s_or_b64 s[14:15], s[4:5], exec
; %bb.127:
	s_or_b64 exec, exec, s[28:29]
	s_andn2_b64 s[4:5], s[4:5], exec
	s_and_b64 s[14:15], s[14:15], exec
	v_mov_b64_e32 v[6:7], 0
	s_or_b64 s[4:5], s[4:5], s[14:15]
	s_or_b64 exec, exec, s[6:7]
	s_and_saveexec_b64 s[6:7], s[4:5]
	s_cbranch_execnz .LBB16_95
	s_branch .LBB16_96
.LBB16_128:
	v_cmp_eq_u32_e32 vcc, v19, v10
                                        ; implicit-def: $vgpr17
	s_and_saveexec_b64 s[8:9], vcc
; %bb.129:
	s_mov_b64 s[4:5], exec
	v_add_u32_e32 v17, v11, v15
; %bb.130:
	s_or_b64 exec, exec, s[8:9]
	s_and_b64 s[4:5], s[4:5], exec
	s_or_saveexec_b64 s[6:7], s[6:7]
	v_mov_b64_e32 v[6:7], 0
	s_xor_b64 exec, exec, s[6:7]
	s_cbranch_execz .LBB16_98
.LBB16_131:
	ds_read_b128 v[4:7], v45 offset:528
	v_add_u32_e32 v17, 32, v9
	s_or_b64 s[4:5], s[4:5], exec
	s_waitcnt lgkmcnt(0)
	v_xor_b32_e32 v7, 0x80000000, v7
	ds_write_b64 v9, v[4:5] offset:32
	s_or_b64 exec, exec, s[6:7]
	s_and_saveexec_b64 s[6:7], s[4:5]
	s_cbranch_execnz .LBB16_99
	s_branch .LBB16_100
.LBB16_132:
	v_cmp_eq_u32_e32 vcc, v20, v10
                                        ; implicit-def: $vgpr18
	s_and_saveexec_b64 s[8:9], vcc
; %bb.133:
	s_mov_b64 s[4:5], exec
	v_add_u32_e32 v18, v11, v15
; %bb.134:
	s_or_b64 exec, exec, s[8:9]
	s_and_b64 s[4:5], s[4:5], exec
                                        ; implicit-def: $vgpr9
	s_or_saveexec_b64 s[6:7], s[6:7]
	v_mov_b64_e32 v[6:7], 0
	s_xor_b64 exec, exec, s[6:7]
	s_cbranch_execz .LBB16_102
.LBB16_135:
	ds_read_b128 v[4:7], v45 offset:1056
	v_add_u32_e32 v18, 48, v9
	s_or_b64 s[4:5], s[4:5], exec
	s_waitcnt lgkmcnt(0)
	v_xor_b32_e32 v7, 0x80000000, v7
	ds_write_b64 v9, v[4:5] offset:48
	s_or_b64 exec, exec, s[6:7]
	v_add_u32_e32 v17, 0x4700, v21
	s_and_saveexec_b64 s[6:7], s[4:5]
	s_cbranch_execnz .LBB16_103
	s_branch .LBB16_104
.LBB16_136:
                                        ; implicit-def: $vgpr40_vgpr41
                                        ; implicit-def: $vgpr10
                                        ; implicit-def: $vgpr15
                                        ; implicit-def: $vgpr18
	s_cbranch_execz .LBB16_138
; %bb.137:
	s_lshl_b64 s[6:7], s[16:17], 7
	v_lshl_add_u64 v[12:13], v[12:13], 0, s[6:7]
	global_load_dwordx4 v[6:9], v[4:5], off
	global_load_dwordx4 v[20:23], v[12:13], off offset:-512
	v_lshl_add_u64 v[12:13], v[12:13], 0, s[6:7]
	v_lshl_add_u64 v[18:19], v[12:13], 0, s[6:7]
	global_load_dwordx4 v[24:27], v[12:13], off offset:-512
	global_load_dwordx4 v[28:31], v[18:19], off offset:-512
	v_add_u32_e32 v10, 8, v14
	s_movk_i32 s6, 0x210
	v_add_u32_e32 v15, 16, v14
	v_add_u32_e32 v18, 24, v14
	v_mad_u32_u24 v11, v10, s6, v11
	v_mov_b64_e32 v[40:41], v[4:5]
	v_add_u32_e32 v12, 0x1080, v11
	v_add_u32_e32 v13, 0x2100, v11
	s_waitcnt vmcnt(3)
	ds_write2_b64 v16, v[6:7], v[8:9] offset1:1
	s_waitcnt vmcnt(2)
	ds_write2_b64 v11, v[20:21], v[22:23] offset1:1
	;; [unrolled: 2-line block ×4, first 2 shown]
.LBB16_138:
	v_lshlrev_b32_e32 v8, 4, v14
	v_add_u32_e32 v4, v43, v8
	v_lshlrev_b32_e32 v12, 4, v10
	s_waitcnt lgkmcnt(0)
	s_barrier
	ds_read_b128 v[4:7], v4
	ds_read_b128 v[22:25], v8 offset:18176
	v_add_u32_e32 v8, v43, v12
	v_lshlrev_b32_e32 v14, 4, v15
	ds_read_b128 v[8:11], v8
	ds_read_b128 v[46:49], v12 offset:18176
	v_add_u32_e32 v15, v43, v14
	ds_read_b128 v[50:53], v15
	ds_read_b128 v[54:57], v14 offset:18176
	v_lshlrev_b32_e32 v14, 4, v18
	v_add_u32_e32 v15, v43, v14
	ds_read_b128 v[58:61], v15
	ds_read_b128 v[62:65], v14 offset:18176
	s_waitcnt lgkmcnt(6)
	v_mul_f64 v[12:13], v[6:7], v[24:25]
	v_fmac_f64_e32 v[12:13], v[4:5], v[22:23]
	s_waitcnt lgkmcnt(4)
	v_mul_f64 v[20:21], v[10:11], v[48:49]
	v_add_f64 v[12:13], v[12:13], 0
	v_fmac_f64_e32 v[20:21], v[8:9], v[46:47]
	s_waitcnt lgkmcnt(2)
	v_mul_f64 v[14:15], v[52:53], v[56:57]
	v_mul_f64 v[6:7], v[6:7], v[22:23]
	v_add_f64 v[12:13], v[12:13], v[20:21]
	v_fmac_f64_e32 v[14:15], v[50:51], v[54:55]
	v_mul_f64 v[10:11], v[10:11], v[46:47]
	v_add_f64 v[12:13], v[12:13], v[14:15]
	s_waitcnt lgkmcnt(0)
	v_mul_f64 v[14:15], v[60:61], v[64:65]
	v_fma_f64 v[34:35], v[4:5], v[24:25], -v[6:7]
	v_fmac_f64_e32 v[14:15], v[58:59], v[62:63]
	v_fma_f64 v[8:9], v[8:9], v[48:49], -v[10:11]
	v_add_f64 v[10:11], v[34:35], 0
	v_add_f64 v[46:47], v[12:13], v[14:15]
	ds_read_b128 v[28:31], v17 offset:512
	ds_read_b128 v[20:23], v17 offset:528
	;; [unrolled: 1-line block ×4, first 2 shown]
	ds_read_b128 v[24:27], v45
	ds_read_b128 v[16:19], v45 offset:528
	v_add_f64 v[48:49], v[10:11], v[8:9]
	ds_read_b128 v[32:35], v32
	ds_read_b128 v[8:11], v45 offset:1056
	v_mul_f64 v[52:53], v[52:53], v[54:55]
	v_mul_f64 v[54:55], v[60:61], v[62:63]
	v_fma_f64 v[50:51], v[50:51], v[56:57], -v[52:53]
	v_add_f64 v[48:49], v[48:49], v[50:51]
	v_fma_f64 v[50:51], v[58:59], v[64:65], -v[54:55]
	v_add_f64 v[48:49], v[48:49], v[50:51]
	s_waitcnt lgkmcnt(0)
	s_barrier
	ds_write_b128 v44, v[46:49]
	s_waitcnt lgkmcnt(0)
	s_barrier
	s_and_saveexec_b64 s[6:7], s[4:5]
	s_cbranch_execz .LBB16_140
; %bb.139:
	ds_read_b128 v[46:49], v43
	ds_read_b128 v[50:53], v43 offset:16
	ds_read_b128 v[54:57], v43 offset:32
	;; [unrolled: 1-line block ×3, first 2 shown]
	s_waitcnt lgkmcnt(3)
	v_add_f64 v[0:1], v[0:1], v[46:47]
	v_add_f64 v[2:3], v[2:3], v[48:49]
	s_waitcnt lgkmcnt(2)
	v_add_f64 v[0:1], v[0:1], v[50:51]
	v_add_f64 v[46:47], v[2:3], v[52:53]
	s_waitcnt lgkmcnt(1)
	v_add_f64 v[48:49], v[0:1], v[54:55]
	ds_read_b128 v[0:3], v43 offset:64
	v_add_f64 v[46:47], v[46:47], v[56:57]
	s_waitcnt lgkmcnt(1)
	v_add_f64 v[50:51], v[48:49], v[58:59]
	v_add_f64 v[54:55], v[46:47], v[60:61]
	ds_read_b128 v[46:49], v43 offset:80
	s_waitcnt lgkmcnt(1)
	v_add_f64 v[56:57], v[50:51], v[0:1]
	ds_read_b128 v[50:53], v43 offset:96
	v_add_f64 v[54:55], v[54:55], v[2:3]
	ds_read_b128 v[0:3], v43 offset:112
	s_waitcnt lgkmcnt(2)
	v_add_f64 v[46:47], v[56:57], v[46:47]
	v_add_f64 v[48:49], v[54:55], v[48:49]
	s_waitcnt lgkmcnt(1)
	v_add_f64 v[46:47], v[46:47], v[50:51]
	v_add_f64 v[48:49], v[48:49], v[52:53]
	;; [unrolled: 3-line block ×3, first 2 shown]
.LBB16_140:
	s_or_b64 exec, exec, s[6:7]
	v_mul_f64 v[46:47], v[30:31], v[34:35]
	v_fma_f64 v[46:47], v[28:29], v[32:33], -v[46:47]
	v_mul_f64 v[28:29], v[28:29], v[34:35]
	v_fmac_f64_e32 v[28:29], v[30:31], v[32:33]
	v_mul_f64 v[32:33], v[22:23], v[26:27]
	v_fma_f64 v[32:33], v[20:21], v[24:25], -v[32:33]
	v_mul_f64 v[20:21], v[20:21], v[26:27]
	v_fmac_f64_e32 v[20:21], v[22:23], v[24:25]
	v_mul_f64 v[24:25], v[14:15], v[18:19]
	v_add_f64 v[30:31], v[46:47], 0
	v_add_f64 v[28:29], v[28:29], 0
	v_fma_f64 v[24:25], v[12:13], v[16:17], -v[24:25]
	v_mul_f64 v[12:13], v[12:13], v[18:19]
	v_add_f64 v[22:23], v[30:31], v[32:33]
	v_add_f64 v[20:21], v[28:29], v[20:21]
	v_fmac_f64_e32 v[12:13], v[14:15], v[16:17]
	v_mul_f64 v[16:17], v[6:7], v[10:11]
	v_mul_f64 v[10:11], v[4:5], v[10:11]
	v_add_f64 v[14:15], v[22:23], v[24:25]
	v_add_f64 v[12:13], v[20:21], v[12:13]
	v_fma_f64 v[16:17], v[4:5], v[8:9], -v[16:17]
	v_fmac_f64_e32 v[10:11], v[6:7], v[8:9]
	v_add_f64 v[4:5], v[14:15], v[16:17]
	v_add_f64 v[6:7], v[12:13], v[10:11]
	s_barrier
	ds_write_b128 v44, v[4:7]
	s_waitcnt lgkmcnt(0)
	s_barrier
	s_and_saveexec_b64 s[4:5], s[12:13]
	s_cbranch_execz .LBB16_142
; %bb.141:
	ds_read_b128 v[4:7], v43
	ds_read_b128 v[8:11], v43 offset:16
	ds_read_b128 v[12:15], v43 offset:32
	;; [unrolled: 1-line block ×3, first 2 shown]
	s_waitcnt lgkmcnt(3)
	v_add_f64 v[0:1], v[0:1], v[4:5]
	v_add_f64 v[2:3], v[2:3], v[6:7]
	s_waitcnt lgkmcnt(2)
	v_add_f64 v[0:1], v[0:1], v[8:9]
	v_add_f64 v[4:5], v[2:3], v[10:11]
	s_waitcnt lgkmcnt(1)
	v_add_f64 v[6:7], v[0:1], v[12:13]
	ds_read_b128 v[0:3], v43 offset:64
	v_add_f64 v[4:5], v[4:5], v[14:15]
	s_waitcnt lgkmcnt(1)
	v_add_f64 v[8:9], v[6:7], v[16:17]
	v_add_f64 v[12:13], v[4:5], v[18:19]
	ds_read_b128 v[4:7], v43 offset:80
	s_waitcnt lgkmcnt(1)
	v_add_f64 v[14:15], v[8:9], v[0:1]
	ds_read_b128 v[8:11], v43 offset:96
	v_add_f64 v[12:13], v[12:13], v[2:3]
	ds_read_b128 v[0:3], v43 offset:112
	s_waitcnt lgkmcnt(2)
	v_add_f64 v[4:5], v[14:15], v[4:5]
	v_add_f64 v[6:7], v[12:13], v[6:7]
	s_waitcnt lgkmcnt(1)
	v_add_f64 v[4:5], v[4:5], v[8:9]
	v_add_f64 v[6:7], v[6:7], v[10:11]
	;; [unrolled: 3-line block ×3, first 2 shown]
.LBB16_142:
	s_or_b64 exec, exec, s[4:5]
	s_mul_hi_u32 s4, s33, s3
	s_mul_i32 s36, s36, s3
	s_add_i32 s4, s4, s36
	s_mul_i32 s3, s33, s3
	s_mul_i32 s4, s4, s30
	s_mul_hi_u32 s5, s3, s30
	s_add_i32 s5, s5, s4
	s_mul_i32 s4, s3, s30
	s_lshl_b64 s[4:5], s[4:5], 4
	s_add_u32 s3, s34, s4
	s_addc_u32 s6, s35, s5
	s_mul_hi_i32 s5, s33, s2
	s_mul_i32 s4, s33, s2
	s_lshl_b64 s[4:5], s[4:5], 4
	s_add_u32 s8, s3, s4
	s_addc_u32 s9, s6, s5
	s_add_i32 s3, s2, 1
	s_cmp_ge_u32 s3, s30
	v_lshlrev_b32_e32 v166, 4, v202
	s_barrier
	s_cbranch_scc1 .LBB16_200
; %bb.143:
	s_mul_i32 s3, s24, s23
	s_mul_hi_u32 s4, s24, s22
	s_add_i32 s3, s4, s3
	s_mul_i32 s4, s25, s22
	s_add_i32 s5, s3, s4
	s_mul_i32 s4, s24, s22
	s_lshl_b64 s[4:5], s[4:5], 4
	v_mov_b32_e32 v4, s5
	v_subrev_co_u32_e32 v168, vcc, s4, v36
	s_movk_i32 s4, 0x10c0
	s_nop 0
	v_subb_co_u32_e32 v169, vcc, v37, v4, vcc
	v_lshrrev_b32_e32 v4, 4, v42
	v_lshlrev_b32_e32 v6, 6, v4
	v_mul_i32_i24_e32 v44, 0xffffffd0, v4
	v_and_b32_e32 v4, 48, v202
	v_and_b32_e32 v5, 15, v202
	v_lshlrev_b32_e32 v43, 6, v203
	v_mad_u32_u24 v208, v203, s4, v166
	s_movk_i32 s4, 0x430
	v_lshlrev_b32_e32 v4, 4, v4
	v_mad_u32_u24 v210, v5, s4, v4
	v_or_b32_e32 v4, 0xf0, v166
	v_add_u32_e32 v7, 0x200, v43
	v_mad_u32_u24 v209, v5, s4, v6
	v_mad_u32_u24 v211, v5, s4, v4
	v_mad_u64_u32 v[4:5], s[4:5], s16, v7, 0
	v_mov_b32_e32 v6, v5
	v_lshlrev_b64 v[8:9], 4, v[38:39]
	v_mad_u64_u32 v[6:7], s[4:5], s17, v7, v[6:7]
	v_sub_co_u32_e32 v4, vcc, v4, v8
	v_add_u32_e32 v11, 0x530, v43
	s_nop 0
	v_subb_co_u32_e32 v5, vcc, v6, v9, vcc
	v_mad_u64_u32 v[6:7], s[4:5], s16, v11, 0
	v_mov_b32_e32 v10, v7
	v_mad_u64_u32 v[10:11], s[4:5], s17, v11, v[10:11]
	v_sub_co_u32_e32 v6, vcc, v6, v8
	v_add_u32_e32 v13, 0x220, v43
	s_nop 0
	v_subb_co_u32_e32 v7, vcc, v10, v9, vcc
	v_mad_u64_u32 v[10:11], s[4:5], s16, v13, 0
	v_mov_b32_e32 v12, v11
	;; [unrolled: 7-line block ×14, first 2 shown]
	v_mad_u64_u32 v[36:37], s[4:5], s17, v37, v[36:37]
	v_sub_co_u32_e32 v34, vcc, v34, v8
	v_add_u32_e32 v39, 0x400, v43
	s_nop 0
	v_subb_co_u32_e32 v35, vcc, v36, v9, vcc
	v_mad_u64_u32 v[36:37], s[4:5], s16, v39, 0
	v_or_b32_e32 v4, 8, v4
	v_mov_b32_e32 v38, v37
	v_mad_u64_u32 v[38:39], s[4:5], s17, v39, v[38:39]
	v_lshl_add_u64 v[170:171], v[40:41], 0, v[4:5]
	v_sub_co_u32_e32 v4, vcc, v36, v8
	v_lshlrev_b32_e32 v204, 2, v203
	v_or_b32_e32 v14, 8, v14
	v_or_b32_e32 v18, 8, v18
	;; [unrolled: 1-line block ×6, first 2 shown]
	v_mov_b32_e32 v167, 0
	v_subb_co_u32_e32 v5, vcc, v38, v9, vcc
	v_or_b32_e32 v4, 8, v4
	s_add_i32 s3, s30, -2
	v_add_u32_e32 v205, 0x4300, v166
	v_add_u32_e32 v206, 0x4300, v43
	;; [unrolled: 1-line block ×3, first 2 shown]
	v_cmp_gt_u32_e64 s[6:7], 64, v42
	v_or_b32_e32 v212, 1, v204
	v_or_b32_e32 v213, 2, v204
	;; [unrolled: 1-line block ×3, first 2 shown]
	v_add_u32_e32 v215, 16, v204
	v_add_u32_e32 v216, 17, v204
	;; [unrolled: 1-line block ×12, first 2 shown]
	s_add_i32 s21, s22, 64
	s_lshl_b64 s[10:11], s[16:17], 10
	v_lshl_add_u64 v[172:173], v[40:41], 0, v[6:7]
	v_lshl_add_u64 v[174:175], v[40:41], 0, v[10:11]
	;; [unrolled: 1-line block ×15, first 2 shown]
	v_add_u32_e32 v227, v209, v44
	v_mov_b32_e32 v228, v167
	v_mov_b32_e32 v229, v167
	;; [unrolled: 1-line block ×4, first 2 shown]
	s_cmp_eq_u32 s3, s2
	s_cselect_b32 s22, s31, 0
	s_and_saveexec_b64 s[4:5], s[0:1]
	s_cbranch_execz .LBB16_148
.LBB16_144:
	s_cmp_lg_u32 s22, 0
	s_cselect_b64 s[12:13], -1, 0
	v_cmp_le_i32_e32 vcc, s22, v202
	s_and_b64 s[12:13], s[12:13], vcc
	s_and_saveexec_b64 s[14:15], s[12:13]
	s_xor_b64 s[12:13], exec, s[14:15]
; %bb.145:
	ds_write_b128 v205, v[228:231]
; %bb.146:
	s_andn2_saveexec_b64 s[12:13], s[12:13]
	s_cbranch_execz .LBB16_148
; %bb.147:
	s_ashr_i32 s12, s21, 31
	s_mul_hi_u32 s13, s24, s21
	s_mul_i32 s12, s24, s12
	s_add_i32 s12, s13, s12
	s_mul_i32 s13, s25, s21
	s_add_i32 s13, s12, s13
	s_mul_i32 s12, s24, s21
	v_lshl_add_u64 v[4:5], s[12:13], 4, v[168:169]
	global_load_dwordx4 v[4:7], v[4:5], off
	s_waitcnt vmcnt(0)
	ds_write2_b64 v205, v[4:5], v[6:7] offset1:1
.LBB16_148:                             ; =>This Inner Loop Header: Depth=1
	s_or_b64 exec, exec, s[4:5]
	s_cmp_eq_u32 s22, 0
	s_cselect_b64 s[12:13], -1, 0
	s_cmp_lg_u32 s22, 0
	s_cselect_b64 s[14:15], -1, 0
	v_lshl_add_u64 v[16:17], v[170:171], 0, v[166:167]
	s_and_b64 vcc, exec, s[14:15]
	s_waitcnt lgkmcnt(0)
	s_barrier
	s_cbranch_vccz .LBB16_156
; %bb.149:                              ;   in Loop: Header=BB16_148 Depth=1
	v_cmp_gt_i32_e32 vcc, s22, v204
	v_mov_b64_e32 v[8:9], 0
	v_mov_b64_e32 v[4:5], 0
	;; [unrolled: 1-line block ×3, first 2 shown]
	s_and_saveexec_b64 s[4:5], vcc
	s_cbranch_execz .LBB16_151
; %bb.150:                              ;   in Loop: Header=BB16_148 Depth=1
	global_load_dwordx4 v[4:7], v[16:17], off offset:-8
.LBB16_151:                             ;   in Loop: Header=BB16_148 Depth=1
	s_or_b64 exec, exec, s[4:5]
	v_cmp_gt_i32_e32 vcc, s22, v212
	v_mov_b64_e32 v[10:11], 0
	s_and_saveexec_b64 s[4:5], vcc
	s_cbranch_execz .LBB16_153
; %bb.152:                              ;   in Loop: Header=BB16_148 Depth=1
	v_lshl_add_u64 v[8:9], v[178:179], 0, v[166:167]
	global_load_dwordx4 v[8:11], v[8:9], off offset:-8
.LBB16_153:                             ;   in Loop: Header=BB16_148 Depth=1
	s_or_b64 exec, exec, s[4:5]
	v_cmp_gt_i32_e32 vcc, s22, v213
	v_mov_b64_e32 v[12:13], 0
	v_mov_b64_e32 v[14:15], 0
	s_and_saveexec_b64 s[4:5], vcc
	s_cbranch_execz .LBB16_155
; %bb.154:                              ;   in Loop: Header=BB16_148 Depth=1
	v_lshl_add_u64 v[12:13], v[174:175], 0, v[166:167]
	global_load_dwordx4 v[12:15], v[12:13], off
.LBB16_155:                             ;   in Loop: Header=BB16_148 Depth=1
	s_or_b64 exec, exec, s[4:5]
	v_cmp_gt_i32_e64 s[4:5], s22, v214
	s_branch .LBB16_158
.LBB16_156:                             ;   in Loop: Header=BB16_148 Depth=1
	s_mov_b64 s[4:5], 0
                                        ; implicit-def: $vgpr14_vgpr15
                                        ; implicit-def: $vgpr10_vgpr11
                                        ; implicit-def: $vgpr6_vgpr7
	s_cbranch_execz .LBB16_158
; %bb.157:                              ;   in Loop: Header=BB16_148 Depth=1
	s_waitcnt vmcnt(0)
	v_lshl_add_u64 v[8:9], v[178:179], 0, v[166:167]
	v_lshl_add_u64 v[12:13], v[174:175], 0, v[166:167]
	global_load_dwordx4 v[4:7], v[16:17], off offset:-8
	s_or_b64 s[4:5], s[4:5], exec
	global_load_dwordx4 v[8:11], v[8:9], off offset:-8
	s_nop 0
	global_load_dwordx4 v[12:15], v[12:13], off
.LBB16_158:                             ;   in Loop: Header=BB16_148 Depth=1
	v_mov_b64_e32 v[16:17], 0
	v_mov_b64_e32 v[18:19], 0
	s_and_saveexec_b64 s[16:17], s[4:5]
	s_cbranch_execz .LBB16_160
; %bb.159:                              ;   in Loop: Header=BB16_148 Depth=1
	v_lshl_add_u64 v[16:17], v[182:183], 0, v[166:167]
	global_load_dwordx4 v[16:19], v[16:17], off offset:-8
.LBB16_160:                             ;   in Loop: Header=BB16_148 Depth=1
	s_or_b64 exec, exec, s[16:17]
	ds_read_b128 v[36:39], v207
	ds_read_b128 v[32:35], v206
	ds_read_b128 v[28:31], v206 offset:16
	ds_read_b128 v[24:27], v206 offset:32
	;; [unrolled: 1-line block ×3, first 2 shown]
	s_waitcnt vmcnt(0) lgkmcnt(4)
	v_mul_f64 v[40:41], v[6:7], v[38:39]
	v_mul_f64 v[42:43], v[6:7], v[36:37]
	v_fmac_f64_e32 v[40:41], v[4:5], v[36:37]
	v_fma_f64 v[42:43], v[4:5], v[38:39], -v[42:43]
	ds_write_b128 v208, v[40:43]
	v_mul_f64 v[40:41], v[10:11], v[38:39]
	v_mul_f64 v[42:43], v[10:11], v[36:37]
	v_fmac_f64_e32 v[40:41], v[8:9], v[36:37]
	v_fma_f64 v[42:43], v[8:9], v[38:39], -v[42:43]
	ds_write_b128 v208, v[40:43] offset:1072
	v_mul_f64 v[40:41], v[14:15], v[38:39]
	v_mul_f64 v[42:43], v[14:15], v[36:37]
	v_fmac_f64_e32 v[40:41], v[12:13], v[36:37]
	v_fma_f64 v[42:43], v[12:13], v[38:39], -v[42:43]
	ds_write_b128 v208, v[40:43] offset:2144
	v_mul_f64 v[40:41], v[18:19], v[38:39]
	v_fmac_f64_e32 v[40:41], v[16:17], v[36:37]
	v_mul_f64 v[36:37], v[18:19], v[36:37]
	v_fma_f64 v[42:43], v[16:17], v[38:39], -v[36:37]
	ds_write_b128 v208, v[40:43] offset:3216
	s_waitcnt lgkmcnt(0)
	s_barrier
	ds_read_b128 v[92:95], v209
	ds_read_b128 v[88:91], v209 offset:16
	ds_read_b128 v[84:87], v209 offset:32
	ds_read_b128 v[80:83], v209 offset:48
	v_cndmask_b32_e64 v36, 0, 1, s[14:15]
	v_cmp_ne_u32_e64 s[4:5], 1, v36
	s_andn2_b64 vcc, exec, s[14:15]
	v_lshl_add_u64 v[48:49], v[186:187], 0, v[166:167]
	s_waitcnt lgkmcnt(0)
	s_barrier
	s_cbranch_vccnz .LBB16_168
; %bb.161:                              ;   in Loop: Header=BB16_148 Depth=1
	v_cmp_gt_i32_e32 vcc, s22, v215
	v_mov_b64_e32 v[40:41], 0
	v_mov_b64_e32 v[36:37], 0
	v_mov_b64_e32 v[38:39], 0
	s_and_saveexec_b64 s[14:15], vcc
	s_cbranch_execz .LBB16_163
; %bb.162:                              ;   in Loop: Header=BB16_148 Depth=1
	global_load_dwordx4 v[36:39], v[48:49], off offset:-8
.LBB16_163:                             ;   in Loop: Header=BB16_148 Depth=1
	s_or_b64 exec, exec, s[14:15]
	v_cmp_gt_i32_e32 vcc, s22, v216
	v_mov_b64_e32 v[42:43], 0
	s_and_saveexec_b64 s[14:15], vcc
	s_cbranch_execz .LBB16_165
; %bb.164:                              ;   in Loop: Header=BB16_148 Depth=1
	v_lshl_add_u64 v[40:41], v[190:191], 0, v[166:167]
	global_load_dwordx4 v[40:43], v[40:41], off offset:-8
.LBB16_165:                             ;   in Loop: Header=BB16_148 Depth=1
	s_or_b64 exec, exec, s[14:15]
	v_cmp_gt_i32_e32 vcc, s22, v217
	v_mov_b64_e32 v[44:45], 0
	v_mov_b64_e32 v[46:47], 0
	s_and_saveexec_b64 s[14:15], vcc
	s_cbranch_execz .LBB16_167
; %bb.166:                              ;   in Loop: Header=BB16_148 Depth=1
	v_lshl_add_u64 v[44:45], v[194:195], 0, v[166:167]
	global_load_dwordx4 v[44:47], v[44:45], off offset:-8
.LBB16_167:                             ;   in Loop: Header=BB16_148 Depth=1
	s_or_b64 exec, exec, s[14:15]
	v_cmp_gt_i32_e64 s[14:15], s22, v218
	s_branch .LBB16_170
.LBB16_168:                             ;   in Loop: Header=BB16_148 Depth=1
	s_mov_b64 s[14:15], 0
                                        ; implicit-def: $vgpr46_vgpr47
                                        ; implicit-def: $vgpr42_vgpr43
                                        ; implicit-def: $vgpr38_vgpr39
	s_cbranch_execz .LBB16_170
; %bb.169:                              ;   in Loop: Header=BB16_148 Depth=1
	s_waitcnt vmcnt(0)
	v_lshl_add_u64 v[40:41], v[190:191], 0, v[166:167]
	v_lshl_add_u64 v[44:45], v[194:195], 0, v[166:167]
	global_load_dwordx4 v[36:39], v[48:49], off offset:-8
	s_or_b64 s[14:15], s[14:15], exec
	global_load_dwordx4 v[40:43], v[40:41], off offset:-8
	s_nop 0
	global_load_dwordx4 v[44:47], v[44:45], off offset:-8
.LBB16_170:                             ;   in Loop: Header=BB16_148 Depth=1
	v_mov_b64_e32 v[48:49], 0
	v_mov_b64_e32 v[50:51], 0
	s_and_saveexec_b64 s[16:17], s[14:15]
	s_cbranch_execz .LBB16_172
; %bb.171:                              ;   in Loop: Header=BB16_148 Depth=1
	v_lshl_add_u64 v[48:49], v[198:199], 0, v[166:167]
	global_load_dwordx4 v[48:51], v[48:49], off offset:-8
.LBB16_172:                             ;   in Loop: Header=BB16_148 Depth=1
	s_or_b64 exec, exec, s[16:17]
	ds_read_b128 v[68:71], v207
	ds_read_b128 v[64:67], v206 offset:256
	ds_read_b128 v[60:63], v206 offset:272
	;; [unrolled: 1-line block ×4, first 2 shown]
	s_waitcnt vmcnt(0) lgkmcnt(4)
	v_mul_f64 v[72:73], v[38:39], v[70:71]
	v_mul_f64 v[74:75], v[38:39], v[68:69]
	v_fmac_f64_e32 v[72:73], v[36:37], v[68:69]
	v_fma_f64 v[74:75], v[36:37], v[70:71], -v[74:75]
	ds_write_b128 v208, v[72:75]
	v_mul_f64 v[72:73], v[42:43], v[70:71]
	v_mul_f64 v[74:75], v[42:43], v[68:69]
	v_fmac_f64_e32 v[72:73], v[40:41], v[68:69]
	v_fma_f64 v[74:75], v[40:41], v[70:71], -v[74:75]
	ds_write_b128 v208, v[72:75] offset:1072
	v_mul_f64 v[72:73], v[46:47], v[70:71]
	v_mul_f64 v[74:75], v[46:47], v[68:69]
	v_fmac_f64_e32 v[72:73], v[44:45], v[68:69]
	v_fma_f64 v[74:75], v[44:45], v[70:71], -v[74:75]
	ds_write_b128 v208, v[72:75] offset:2144
	v_mul_f64 v[72:73], v[50:51], v[70:71]
	v_fmac_f64_e32 v[72:73], v[48:49], v[68:69]
	v_mul_f64 v[68:69], v[50:51], v[68:69]
	v_fma_f64 v[74:75], v[48:49], v[70:71], -v[68:69]
	ds_write_b128 v208, v[72:75] offset:3216
	s_waitcnt lgkmcnt(0)
	s_barrier
	ds_read_b128 v[144:147], v209
	ds_read_b128 v[140:143], v209 offset:16
	ds_read_b128 v[136:139], v209 offset:32
	;; [unrolled: 1-line block ×3, first 2 shown]
	s_and_b64 vcc, exec, s[4:5]
	v_lshl_add_u64 v[96:97], v[200:201], 0, v[166:167]
	s_waitcnt lgkmcnt(0)
	s_barrier
	s_cbranch_vccnz .LBB16_180
; %bb.173:                              ;   in Loop: Header=BB16_148 Depth=1
	v_cmp_gt_i32_e32 vcc, s22, v219
	v_mov_b64_e32 v[72:73], 0
	v_mov_b64_e32 v[68:69], 0
	;; [unrolled: 1-line block ×3, first 2 shown]
	s_and_saveexec_b64 s[14:15], vcc
	s_cbranch_execz .LBB16_175
; %bb.174:                              ;   in Loop: Header=BB16_148 Depth=1
	global_load_dwordx4 v[68:71], v[96:97], off offset:-8
.LBB16_175:                             ;   in Loop: Header=BB16_148 Depth=1
	s_or_b64 exec, exec, s[14:15]
	v_cmp_gt_i32_e32 vcc, s22, v220
	v_mov_b64_e32 v[74:75], 0
	s_and_saveexec_b64 s[14:15], vcc
	s_cbranch_execz .LBB16_177
; %bb.176:                              ;   in Loop: Header=BB16_148 Depth=1
	v_lshl_add_u64 v[72:73], v[196:197], 0, v[166:167]
	global_load_dwordx4 v[72:75], v[72:73], off
.LBB16_177:                             ;   in Loop: Header=BB16_148 Depth=1
	s_or_b64 exec, exec, s[14:15]
	v_cmp_gt_i32_e32 vcc, s22, v221
	v_mov_b64_e32 v[76:77], 0
	v_mov_b64_e32 v[78:79], 0
	s_and_saveexec_b64 s[14:15], vcc
	s_cbranch_execz .LBB16_179
; %bb.178:                              ;   in Loop: Header=BB16_148 Depth=1
	v_lshl_add_u64 v[76:77], v[192:193], 0, v[166:167]
	global_load_dwordx4 v[76:79], v[76:77], off
.LBB16_179:                             ;   in Loop: Header=BB16_148 Depth=1
	s_or_b64 exec, exec, s[14:15]
	v_cmp_gt_i32_e64 s[14:15], s22, v222
	s_branch .LBB16_182
.LBB16_180:                             ;   in Loop: Header=BB16_148 Depth=1
	s_mov_b64 s[14:15], 0
                                        ; implicit-def: $vgpr78_vgpr79
                                        ; implicit-def: $vgpr74_vgpr75
                                        ; implicit-def: $vgpr70_vgpr71
	s_cbranch_execz .LBB16_182
; %bb.181:                              ;   in Loop: Header=BB16_148 Depth=1
	s_waitcnt vmcnt(0)
	v_lshl_add_u64 v[72:73], v[196:197], 0, v[166:167]
	v_lshl_add_u64 v[76:77], v[192:193], 0, v[166:167]
	global_load_dwordx4 v[68:71], v[96:97], off offset:-8
	s_or_b64 s[14:15], s[14:15], exec
	global_load_dwordx4 v[72:75], v[72:73], off
	s_nop 0
	global_load_dwordx4 v[76:79], v[76:77], off
.LBB16_182:                             ;   in Loop: Header=BB16_148 Depth=1
	v_mov_b64_e32 v[96:97], 0
	v_mov_b64_e32 v[98:99], 0
	s_and_saveexec_b64 s[16:17], s[14:15]
	s_cbranch_execz .LBB16_184
; %bb.183:                              ;   in Loop: Header=BB16_148 Depth=1
	v_lshl_add_u64 v[96:97], v[188:189], 0, v[166:167]
	global_load_dwordx4 v[96:99], v[96:97], off
.LBB16_184:                             ;   in Loop: Header=BB16_148 Depth=1
	s_or_b64 exec, exec, s[16:17]
	ds_read_b128 v[116:119], v207
	ds_read_b128 v[112:115], v206 offset:512
	ds_read_b128 v[108:111], v206 offset:528
	;; [unrolled: 1-line block ×4, first 2 shown]
	s_waitcnt vmcnt(0) lgkmcnt(4)
	v_mul_f64 v[120:121], v[70:71], v[118:119]
	v_mul_f64 v[122:123], v[70:71], v[116:117]
	v_fmac_f64_e32 v[120:121], v[68:69], v[116:117]
	v_fma_f64 v[122:123], v[68:69], v[118:119], -v[122:123]
	ds_write_b128 v208, v[120:123]
	v_mul_f64 v[120:121], v[74:75], v[118:119]
	v_mul_f64 v[122:123], v[74:75], v[116:117]
	v_fmac_f64_e32 v[120:121], v[72:73], v[116:117]
	v_fma_f64 v[122:123], v[72:73], v[118:119], -v[122:123]
	ds_write_b128 v208, v[120:123] offset:1072
	v_mul_f64 v[120:121], v[78:79], v[118:119]
	v_mul_f64 v[122:123], v[78:79], v[116:117]
	v_fmac_f64_e32 v[120:121], v[76:77], v[116:117]
	v_fma_f64 v[122:123], v[76:77], v[118:119], -v[122:123]
	ds_write_b128 v208, v[120:123] offset:2144
	v_mul_f64 v[120:121], v[98:99], v[118:119]
	v_fmac_f64_e32 v[120:121], v[96:97], v[116:117]
	v_mul_f64 v[116:117], v[98:99], v[116:117]
	v_fma_f64 v[122:123], v[96:97], v[118:119], -v[116:117]
	ds_write_b128 v208, v[120:123] offset:3216
	s_waitcnt lgkmcnt(0)
	s_barrier
	ds_read_b128 v[160:163], v209
	ds_read_b128 v[156:159], v209 offset:16
	ds_read_b128 v[152:155], v209 offset:32
	;; [unrolled: 1-line block ×3, first 2 shown]
	s_and_b64 vcc, exec, s[4:5]
	v_lshl_add_u64 v[128:129], v[184:185], 0, v[166:167]
	s_waitcnt lgkmcnt(0)
	s_barrier
	s_cbranch_vccnz .LBB16_192
; %bb.185:                              ;   in Loop: Header=BB16_148 Depth=1
	v_cmp_gt_i32_e32 vcc, s22, v223
	v_mov_b64_e32 v[120:121], 0
	v_mov_b64_e32 v[116:117], 0
	;; [unrolled: 1-line block ×3, first 2 shown]
	s_and_saveexec_b64 s[4:5], vcc
	s_cbranch_execz .LBB16_187
; %bb.186:                              ;   in Loop: Header=BB16_148 Depth=1
	global_load_dwordx4 v[116:119], v[128:129], off
.LBB16_187:                             ;   in Loop: Header=BB16_148 Depth=1
	s_or_b64 exec, exec, s[4:5]
	v_cmp_gt_i32_e32 vcc, s22, v224
	v_mov_b64_e32 v[122:123], 0
	s_and_saveexec_b64 s[4:5], vcc
	s_cbranch_execz .LBB16_189
; %bb.188:                              ;   in Loop: Header=BB16_148 Depth=1
	v_lshl_add_u64 v[120:121], v[180:181], 0, v[166:167]
	global_load_dwordx4 v[120:123], v[120:121], off
.LBB16_189:                             ;   in Loop: Header=BB16_148 Depth=1
	s_or_b64 exec, exec, s[4:5]
	v_cmp_gt_i32_e32 vcc, s22, v225
	v_mov_b64_e32 v[124:125], 0
	v_mov_b64_e32 v[126:127], 0
	s_and_saveexec_b64 s[4:5], vcc
	s_cbranch_execz .LBB16_191
; %bb.190:                              ;   in Loop: Header=BB16_148 Depth=1
	v_lshl_add_u64 v[124:125], v[176:177], 0, v[166:167]
	global_load_dwordx4 v[124:127], v[124:125], off
.LBB16_191:                             ;   in Loop: Header=BB16_148 Depth=1
	s_or_b64 exec, exec, s[4:5]
	v_cmp_gt_i32_e64 s[4:5], s22, v226
	s_branch .LBB16_194
.LBB16_192:                             ;   in Loop: Header=BB16_148 Depth=1
	s_mov_b64 s[4:5], 0
                                        ; implicit-def: $vgpr126_vgpr127
                                        ; implicit-def: $vgpr122_vgpr123
                                        ; implicit-def: $vgpr118_vgpr119
	s_cbranch_execz .LBB16_194
; %bb.193:                              ;   in Loop: Header=BB16_148 Depth=1
	s_waitcnt vmcnt(0)
	v_lshl_add_u64 v[120:121], v[180:181], 0, v[166:167]
	v_lshl_add_u64 v[124:125], v[176:177], 0, v[166:167]
	global_load_dwordx4 v[116:119], v[128:129], off
	s_or_b64 s[4:5], s[4:5], exec
	global_load_dwordx4 v[120:123], v[120:121], off
	s_nop 0
	global_load_dwordx4 v[124:127], v[124:125], off
.LBB16_194:                             ;   in Loop: Header=BB16_148 Depth=1
	v_mov_b64_e32 v[128:129], 0
	v_mov_b64_e32 v[130:131], 0
	s_and_saveexec_b64 s[14:15], s[4:5]
	s_cbranch_execz .LBB16_196
; %bb.195:                              ;   in Loop: Header=BB16_148 Depth=1
	v_lshl_add_u64 v[128:129], v[172:173], 0, v[166:167]
	global_load_dwordx4 v[128:131], v[128:129], off
.LBB16_196:                             ;   in Loop: Header=BB16_148 Depth=1
	s_or_b64 exec, exec, s[14:15]
	v_add_f64 v[160:161], v[160:161], 0
	v_add_f64 v[144:145], v[144:145], 0
	;; [unrolled: 1-line block ×19, first 2 shown]
	ds_read_b128 v[140:143], v207
	ds_read_b128 v[132:135], v206 offset:768
	ds_read_b128 v[92:95], v206 offset:784
	;; [unrolled: 1-line block ×4, first 2 shown]
	s_waitcnt vmcnt(0) lgkmcnt(4)
	v_mul_f64 v[144:145], v[118:119], v[142:143]
	v_mul_f64 v[146:147], v[118:119], v[140:141]
	v_fmac_f64_e32 v[144:145], v[116:117], v[140:141]
	v_fma_f64 v[146:147], v[116:117], v[142:143], -v[146:147]
	ds_write_b128 v208, v[144:147]
	v_mul_f64 v[144:145], v[122:123], v[142:143]
	v_mul_f64 v[146:147], v[122:123], v[140:141]
	v_fmac_f64_e32 v[144:145], v[120:121], v[140:141]
	v_fma_f64 v[146:147], v[120:121], v[142:143], -v[146:147]
	ds_write_b128 v208, v[144:147] offset:1072
	v_mul_f64 v[144:145], v[126:127], v[142:143]
	v_mul_f64 v[146:147], v[126:127], v[140:141]
	v_fmac_f64_e32 v[144:145], v[124:125], v[140:141]
	v_fma_f64 v[146:147], v[124:125], v[142:143], -v[146:147]
	ds_write_b128 v208, v[144:147] offset:2144
	v_mul_f64 v[144:145], v[130:131], v[142:143]
	v_fmac_f64_e32 v[144:145], v[128:129], v[140:141]
	v_mul_f64 v[140:141], v[130:131], v[140:141]
	v_fma_f64 v[146:147], v[128:129], v[142:143], -v[140:141]
	v_add_f64 v[162:163], v[162:163], 0
	ds_write_b128 v208, v[144:147] offset:3216
	s_waitcnt lgkmcnt(0)
	s_barrier
	ds_read_b128 v[140:143], v209
	v_add_f64 v[158:159], v[162:163], v[158:159]
	v_add_f64 v[154:155], v[158:159], v[154:155]
	;; [unrolled: 1-line block ×4, first 2 shown]
	ds_read_b128 v[144:147], v209 offset:16
	ds_read_b128 v[152:155], v209 offset:32
	;; [unrolled: 1-line block ×3, first 2 shown]
	s_waitcnt lgkmcnt(3)
	v_add_f64 v[140:141], v[140:141], 0
	v_add_f64 v[142:143], v[142:143], 0
	v_cmp_gt_i32_e32 vcc, s22, v202
	s_waitcnt lgkmcnt(2)
	v_add_f64 v[140:141], v[140:141], v[144:145]
	v_add_f64 v[142:143], v[142:143], v[146:147]
	s_or_b64 s[4:5], s[12:13], vcc
	s_waitcnt lgkmcnt(1)
	v_add_f64 v[140:141], v[140:141], v[152:153]
	v_add_f64 v[142:143], v[142:143], v[154:155]
	s_and_b64 s[12:13], s[6:7], s[4:5]
	s_waitcnt lgkmcnt(0)
	v_add_f64 v[140:141], v[140:141], v[156:157]
	v_add_f64 v[142:143], v[142:143], v[158:159]
	s_barrier
	ds_write_b128 v227, v[80:83]
	ds_write_b128 v227, v[136:139] offset:256
	ds_write_b128 v227, v[148:151] offset:512
	;; [unrolled: 1-line block ×3, first 2 shown]
	s_waitcnt lgkmcnt(0)
	s_barrier
	s_and_saveexec_b64 s[4:5], s[12:13]
	s_cbranch_execz .LBB16_198
; %bb.197:                              ;   in Loop: Header=BB16_148 Depth=1
	ds_read_b128 v[80:83], v210
	ds_read_b128 v[136:139], v210 offset:16
	ds_read_b128 v[140:143], v210 offset:32
	;; [unrolled: 1-line block ×3, first 2 shown]
	s_waitcnt lgkmcnt(2)
	v_add_f64 v[80:81], v[136:137], v[80:81]
	v_add_f64 v[136:137], v[138:139], v[82:83]
	s_waitcnt lgkmcnt(1)
	v_add_f64 v[138:139], v[80:81], v[140:141]
	ds_read_b128 v[80:83], v210 offset:64
	v_add_f64 v[140:141], v[136:137], v[142:143]
	s_waitcnt lgkmcnt(1)
	v_add_f64 v[142:143], v[138:139], v[144:145]
	ds_read_b128 v[136:139], v210 offset:80
	;; [unrolled: 4-line block ×9, first 2 shown]
	v_add_f64 v[82:83], v[144:145], v[82:83]
	s_waitcnt lgkmcnt(1)
	v_add_f64 v[136:137], v[80:81], v[136:137]
	v_add_f64 v[144:145], v[82:83], v[138:139]
	ds_read_b128 v[80:83], v210 offset:208
	s_waitcnt lgkmcnt(1)
	v_add_f64 v[146:147], v[136:137], v[140:141]
	ds_read_b128 v[136:139], v210 offset:224
	v_add_f64 v[144:145], v[144:145], v[142:143]
	ds_read_b128 v[140:143], v211
	s_waitcnt lgkmcnt(2)
	v_add_f64 v[80:81], v[146:147], v[80:81]
	v_add_f64 v[82:83], v[144:145], v[82:83]
	s_waitcnt lgkmcnt(1)
	v_add_f64 v[80:81], v[80:81], v[136:137]
	v_add_u32_e32 v136, s21, v202
	v_add_f64 v[82:83], v[82:83], v[138:139]
	v_ashrrev_i32_e32 v137, 31, v136
	s_waitcnt lgkmcnt(0)
	v_add_f64 v[80:81], v[80:81], v[140:141]
	v_add_f64 v[82:83], v[82:83], v[142:143]
	v_lshl_add_u64 v[136:137], v[136:137], 4, s[8:9]
	global_store_dwordx4 v[136:137], v[80:83], off
.LBB16_198:                             ;   in Loop: Header=BB16_148 Depth=1
	s_or_b64 exec, exec, s[4:5]
	s_nop 0
	v_mul_f64 v[80:81], v[6:7], v[34:35]
	v_fma_f64 v[80:81], v[4:5], v[32:33], -v[80:81]
	v_mul_f64 v[4:5], v[4:5], v[34:35]
	v_mul_f64 v[34:35], v[10:11], v[30:31]
	v_add_f64 v[0:1], v[0:1], v[80:81]
	v_fma_f64 v[34:35], v[8:9], v[28:29], -v[34:35]
	v_mul_f64 v[8:9], v[8:9], v[30:31]
	v_mul_f64 v[30:31], v[14:15], v[26:27]
	v_add_f64 v[0:1], v[0:1], v[34:35]
	v_fma_f64 v[30:31], v[12:13], v[24:25], -v[30:31]
	v_mul_f64 v[12:13], v[12:13], v[26:27]
	v_mul_f64 v[26:27], v[18:19], v[22:23]
	v_fmac_f64_e32 v[4:5], v[6:7], v[32:33]
	v_add_f64 v[0:1], v[0:1], v[30:31]
	v_fma_f64 v[26:27], v[16:17], v[20:21], -v[26:27]
	v_add_f64 v[2:3], v[2:3], v[4:5]
	v_mul_f64 v[4:5], v[38:39], v[66:67]
	v_add_f64 v[0:1], v[0:1], v[26:27]
	v_fma_f64 v[4:5], v[36:37], v[64:65], -v[4:5]
	v_add_f64 v[0:1], v[0:1], v[4:5]
	v_mul_f64 v[4:5], v[42:43], v[62:63]
	v_fma_f64 v[4:5], v[40:41], v[60:61], -v[4:5]
	v_add_f64 v[0:1], v[0:1], v[4:5]
	v_mul_f64 v[4:5], v[46:47], v[58:59]
	;; [unrolled: 3-line block ×4, first 2 shown]
	v_fmac_f64_e32 v[8:9], v[10:11], v[28:29]
	v_fma_f64 v[4:5], v[68:69], v[112:113], -v[4:5]
	v_mul_f64 v[16:17], v[16:17], v[22:23]
	v_add_f64 v[2:3], v[2:3], v[8:9]
	v_fmac_f64_e32 v[12:13], v[14:15], v[24:25]
	v_add_f64 v[0:1], v[0:1], v[4:5]
	v_mul_f64 v[4:5], v[74:75], v[110:111]
	v_add_f64 v[2:3], v[2:3], v[12:13]
	v_fmac_f64_e32 v[16:17], v[18:19], v[20:21]
	v_mul_f64 v[6:7], v[36:37], v[66:67]
	v_fma_f64 v[4:5], v[72:73], v[108:109], -v[4:5]
	v_add_f64 v[2:3], v[2:3], v[16:17]
	v_mul_f64 v[8:9], v[40:41], v[62:63]
	v_fmac_f64_e32 v[6:7], v[38:39], v[64:65]
	v_add_f64 v[0:1], v[0:1], v[4:5]
	v_mul_f64 v[4:5], v[78:79], v[106:107]
	v_mul_f64 v[10:11], v[44:45], v[58:59]
	v_add_f64 v[2:3], v[2:3], v[6:7]
	v_fmac_f64_e32 v[8:9], v[42:43], v[60:61]
	v_fma_f64 v[4:5], v[76:77], v[104:105], -v[4:5]
	v_mul_f64 v[12:13], v[48:49], v[54:55]
	v_add_f64 v[2:3], v[2:3], v[8:9]
	v_fmac_f64_e32 v[10:11], v[46:47], v[56:57]
	v_add_f64 v[0:1], v[0:1], v[4:5]
	v_mul_f64 v[4:5], v[98:99], v[102:103]
	v_add_f64 v[2:3], v[2:3], v[10:11]
	v_fmac_f64_e32 v[12:13], v[50:51], v[52:53]
	v_mul_f64 v[6:7], v[68:69], v[114:115]
	v_fma_f64 v[4:5], v[96:97], v[100:101], -v[4:5]
	v_add_f64 v[2:3], v[2:3], v[12:13]
	v_mul_f64 v[8:9], v[72:73], v[110:111]
	v_add_f64 v[0:1], v[0:1], v[4:5]
	v_fmac_f64_e32 v[6:7], v[70:71], v[112:113]
	v_mul_f64 v[4:5], v[118:119], v[134:135]
	v_mul_f64 v[10:11], v[76:77], v[106:107]
	v_add_f64 v[2:3], v[2:3], v[6:7]
	v_fmac_f64_e32 v[8:9], v[74:75], v[108:109]
	v_fma_f64 v[4:5], v[116:117], v[132:133], -v[4:5]
	v_mul_f64 v[12:13], v[96:97], v[102:103]
	v_add_f64 v[2:3], v[2:3], v[8:9]
	v_fmac_f64_e32 v[10:11], v[78:79], v[104:105]
	v_add_f64 v[0:1], v[0:1], v[4:5]
	v_mul_f64 v[4:5], v[122:123], v[94:95]
	v_add_f64 v[2:3], v[2:3], v[10:11]
	v_fmac_f64_e32 v[12:13], v[98:99], v[100:101]
	v_mul_f64 v[6:7], v[116:117], v[134:135]
	v_fma_f64 v[4:5], v[120:121], v[92:93], -v[4:5]
	v_add_f64 v[2:3], v[2:3], v[12:13]
	v_mul_f64 v[8:9], v[120:121], v[94:95]
	v_add_f64 v[0:1], v[0:1], v[4:5]
	v_mul_f64 v[4:5], v[126:127], v[90:91]
	v_fmac_f64_e32 v[6:7], v[118:119], v[132:133]
	v_fma_f64 v[4:5], v[124:125], v[88:89], -v[4:5]
	v_mul_f64 v[10:11], v[124:125], v[90:91]
	v_fmac_f64_e32 v[8:9], v[122:123], v[92:93]
	v_add_f64 v[2:3], v[2:3], v[6:7]
	v_add_f64 v[0:1], v[0:1], v[4:5]
	v_mul_f64 v[4:5], v[130:131], v[86:87]
	v_mul_f64 v[12:13], v[128:129], v[86:87]
	v_fmac_f64_e32 v[10:11], v[126:127], v[88:89]
	v_add_f64 v[2:3], v[2:3], v[8:9]
	v_fma_f64 v[4:5], v[128:129], v[84:85], -v[4:5]
	v_fmac_f64_e32 v[12:13], v[130:131], v[84:85]
	v_add_f64 v[2:3], v[2:3], v[10:11]
	s_add_i32 s4, s2, 1
	s_add_i32 s21, s21, 64
	;; [unrolled: 1-line block ×3, first 2 shown]
	v_add_f64 v[0:1], v[0:1], v[4:5]
	v_add_f64 v[2:3], v[2:3], v[12:13]
	v_lshl_add_u64 v[170:171], v[170:171], 0, s[10:11]
	v_lshl_add_u64 v[172:173], v[172:173], 0, s[10:11]
	;; [unrolled: 1-line block ×15, first 2 shown]
	s_cmp_ge_u32 s2, s30
	v_lshl_add_u64 v[200:201], v[200:201], 0, s[10:11]
	s_barrier
	s_cbranch_scc1 .LBB16_200
; %bb.199:                              ;   in Loop: Header=BB16_148 Depth=1
	s_mov_b32 s2, s4
	s_cmp_eq_u32 s3, s2
	s_cselect_b32 s22, s31, 0
	s_and_saveexec_b64 s[4:5], s[0:1]
	s_cbranch_execnz .LBB16_144
	s_branch .LBB16_148
.LBB16_200:
	s_movk_i32 s2, 0x430
	v_cmp_gt_i32_e32 vcc, s20, v202
	v_mad_u32_u24 v4, v203, s2, v166
	s_or_b64 s[2:3], s[18:19], vcc
	s_and_b64 s[0:1], s[0:1], s[2:3]
	ds_write_b128 v4, v[0:3]
	s_waitcnt lgkmcnt(0)
	s_barrier
	s_and_saveexec_b64 s[2:3], s[0:1]
	s_cbranch_execz .LBB16_202
; %bb.201:
	ds_read_b128 v[0:3], v166 offset:1072
	ds_read_b128 v[4:7], v166
	ds_read_b128 v[8:11], v166 offset:2144
	ds_read_b128 v[12:15], v166 offset:3216
	s_waitcnt lgkmcnt(2)
	v_add_f64 v[0:1], v[0:1], v[4:5]
	v_add_f64 v[2:3], v[2:3], v[6:7]
	s_waitcnt lgkmcnt(1)
	v_add_f64 v[0:1], v[0:1], v[8:9]
	v_add_f64 v[2:3], v[2:3], v[10:11]
	;; [unrolled: 3-line block ×3, first 2 shown]
	v_lshl_add_u64 v[4:5], v[164:165], 4, s[8:9]
	global_store_dwordx4 v[4:5], v[0:3], off
.LBB16_202:
	s_endpgm
	.section	.rodata,"a",@progbits
	.p2align	6, 0x0
	.amdhsa_kernel _ZL26rocblas_hemvn_kernel_upperILb1ELi64ELi4ELi33ELi32ELi16ElPK19rocblas_complex_numIdES3_PS1_EviT6_lT7_lT5_lS6_lS7_lS5_lT8_i
		.amdhsa_group_segment_fixed_size 19200
		.amdhsa_private_segment_fixed_size 0
		.amdhsa_kernarg_size 376
		.amdhsa_user_sgpr_count 2
		.amdhsa_user_sgpr_dispatch_ptr 0
		.amdhsa_user_sgpr_queue_ptr 0
		.amdhsa_user_sgpr_kernarg_segment_ptr 1
		.amdhsa_user_sgpr_dispatch_id 0
		.amdhsa_user_sgpr_kernarg_preload_length 0
		.amdhsa_user_sgpr_kernarg_preload_offset 0
		.amdhsa_user_sgpr_private_segment_size 0
		.amdhsa_uses_dynamic_stack 0
		.amdhsa_enable_private_segment 0
		.amdhsa_system_sgpr_workgroup_id_x 1
		.amdhsa_system_sgpr_workgroup_id_y 0
		.amdhsa_system_sgpr_workgroup_id_z 1
		.amdhsa_system_sgpr_workgroup_info 0
		.amdhsa_system_vgpr_workitem_id 1
		.amdhsa_next_free_vgpr 232
		.amdhsa_next_free_sgpr 40
		.amdhsa_accum_offset 232
		.amdhsa_reserve_vcc 1
		.amdhsa_float_round_mode_32 0
		.amdhsa_float_round_mode_16_64 0
		.amdhsa_float_denorm_mode_32 3
		.amdhsa_float_denorm_mode_16_64 3
		.amdhsa_dx10_clamp 1
		.amdhsa_ieee_mode 1
		.amdhsa_fp16_overflow 0
		.amdhsa_tg_split 0
		.amdhsa_exception_fp_ieee_invalid_op 0
		.amdhsa_exception_fp_denorm_src 0
		.amdhsa_exception_fp_ieee_div_zero 0
		.amdhsa_exception_fp_ieee_overflow 0
		.amdhsa_exception_fp_ieee_underflow 0
		.amdhsa_exception_fp_ieee_inexact 0
		.amdhsa_exception_int_div_zero 0
	.end_amdhsa_kernel
	.section	.text._ZL26rocblas_hemvn_kernel_upperILb1ELi64ELi4ELi33ELi32ELi16ElPK19rocblas_complex_numIdES3_PS1_EviT6_lT7_lT5_lS6_lS7_lS5_lT8_i,"axG",@progbits,_ZL26rocblas_hemvn_kernel_upperILb1ELi64ELi4ELi33ELi32ELi16ElPK19rocblas_complex_numIdES3_PS1_EviT6_lT7_lT5_lS6_lS7_lS5_lT8_i,comdat
.Lfunc_end16:
	.size	_ZL26rocblas_hemvn_kernel_upperILb1ELi64ELi4ELi33ELi32ELi16ElPK19rocblas_complex_numIdES3_PS1_EviT6_lT7_lT5_lS6_lS7_lS5_lT8_i, .Lfunc_end16-_ZL26rocblas_hemvn_kernel_upperILb1ELi64ELi4ELi33ELi32ELi16ElPK19rocblas_complex_numIdES3_PS1_EviT6_lT7_lT5_lS6_lS7_lS5_lT8_i
                                        ; -- End function
	.set _ZL26rocblas_hemvn_kernel_upperILb1ELi64ELi4ELi33ELi32ELi16ElPK19rocblas_complex_numIdES3_PS1_EviT6_lT7_lT5_lS6_lS7_lS5_lT8_i.num_vgpr, 232
	.set _ZL26rocblas_hemvn_kernel_upperILb1ELi64ELi4ELi33ELi32ELi16ElPK19rocblas_complex_numIdES3_PS1_EviT6_lT7_lT5_lS6_lS7_lS5_lT8_i.num_agpr, 0
	.set _ZL26rocblas_hemvn_kernel_upperILb1ELi64ELi4ELi33ELi32ELi16ElPK19rocblas_complex_numIdES3_PS1_EviT6_lT7_lT5_lS6_lS7_lS5_lT8_i.numbered_sgpr, 40
	.set _ZL26rocblas_hemvn_kernel_upperILb1ELi64ELi4ELi33ELi32ELi16ElPK19rocblas_complex_numIdES3_PS1_EviT6_lT7_lT5_lS6_lS7_lS5_lT8_i.num_named_barrier, 0
	.set _ZL26rocblas_hemvn_kernel_upperILb1ELi64ELi4ELi33ELi32ELi16ElPK19rocblas_complex_numIdES3_PS1_EviT6_lT7_lT5_lS6_lS7_lS5_lT8_i.private_seg_size, 0
	.set _ZL26rocblas_hemvn_kernel_upperILb1ELi64ELi4ELi33ELi32ELi16ElPK19rocblas_complex_numIdES3_PS1_EviT6_lT7_lT5_lS6_lS7_lS5_lT8_i.uses_vcc, 1
	.set _ZL26rocblas_hemvn_kernel_upperILb1ELi64ELi4ELi33ELi32ELi16ElPK19rocblas_complex_numIdES3_PS1_EviT6_lT7_lT5_lS6_lS7_lS5_lT8_i.uses_flat_scratch, 0
	.set _ZL26rocblas_hemvn_kernel_upperILb1ELi64ELi4ELi33ELi32ELi16ElPK19rocblas_complex_numIdES3_PS1_EviT6_lT7_lT5_lS6_lS7_lS5_lT8_i.has_dyn_sized_stack, 0
	.set _ZL26rocblas_hemvn_kernel_upperILb1ELi64ELi4ELi33ELi32ELi16ElPK19rocblas_complex_numIdES3_PS1_EviT6_lT7_lT5_lS6_lS7_lS5_lT8_i.has_recursion, 0
	.set _ZL26rocblas_hemvn_kernel_upperILb1ELi64ELi4ELi33ELi32ELi16ElPK19rocblas_complex_numIdES3_PS1_EviT6_lT7_lT5_lS6_lS7_lS5_lT8_i.has_indirect_call, 0
	.section	.AMDGPU.csdata,"",@progbits
; Kernel info:
; codeLenInByte = 11260
; TotalNumSgprs: 46
; NumVgprs: 232
; NumAgprs: 0
; TotalNumVgprs: 232
; ScratchSize: 0
; MemoryBound: 1
; FloatMode: 240
; IeeeMode: 1
; LDSByteSize: 19200 bytes/workgroup (compile time only)
; SGPRBlocks: 5
; VGPRBlocks: 28
; NumSGPRsForWavesPerEU: 46
; NumVGPRsForWavesPerEU: 232
; AccumOffset: 232
; Occupancy: 2
; WaveLimiterHint : 0
; COMPUTE_PGM_RSRC2:SCRATCH_EN: 0
; COMPUTE_PGM_RSRC2:USER_SGPR: 2
; COMPUTE_PGM_RSRC2:TRAP_HANDLER: 0
; COMPUTE_PGM_RSRC2:TGID_X_EN: 1
; COMPUTE_PGM_RSRC2:TGID_Y_EN: 0
; COMPUTE_PGM_RSRC2:TGID_Z_EN: 1
; COMPUTE_PGM_RSRC2:TIDIG_COMP_CNT: 1
; COMPUTE_PGM_RSRC3_GFX90A:ACCUM_OFFSET: 57
; COMPUTE_PGM_RSRC3_GFX90A:TG_SPLIT: 0
	.section	.text._ZL36rocblas_hemvn_kernel_upper_block_sumILi64ElPK19rocblas_complex_numIdEPS1_S1_EviT1_lS5_lT2_lT0_lPT3_i,"axG",@progbits,_ZL36rocblas_hemvn_kernel_upper_block_sumILi64ElPK19rocblas_complex_numIdEPS1_S1_EviT1_lS5_lT2_lT0_lPT3_i,comdat
	.globl	_ZL36rocblas_hemvn_kernel_upper_block_sumILi64ElPK19rocblas_complex_numIdEPS1_S1_EviT1_lS5_lT2_lT0_lPT3_i ; -- Begin function _ZL36rocblas_hemvn_kernel_upper_block_sumILi64ElPK19rocblas_complex_numIdEPS1_S1_EviT1_lS5_lT2_lT0_lPT3_i
	.p2align	8
	.type	_ZL36rocblas_hemvn_kernel_upper_block_sumILi64ElPK19rocblas_complex_numIdEPS1_S1_EviT1_lS5_lT2_lT0_lPT3_i,@function
_ZL36rocblas_hemvn_kernel_upper_block_sumILi64ElPK19rocblas_complex_numIdEPS1_S1_EviT1_lS5_lT2_lT0_lPT3_i: ; @_ZL36rocblas_hemvn_kernel_upper_block_sumILi64ElPK19rocblas_complex_numIdEPS1_S1_EviT1_lS5_lT2_lT0_lPT3_i
; %bb.0:
	s_load_dwordx8 s[4:11], s[0:1], 0x8
	s_waitcnt lgkmcnt(0)
	s_mul_i32 s7, s7, s3
	s_mul_hi_u32 s12, s6, s3
	s_add_i32 s7, s12, s7
	s_mul_i32 s6, s6, s3
	s_lshl_b64 s[6:7], s[6:7], 4
	s_add_u32 s4, s4, s6
	s_addc_u32 s5, s5, s7
	s_load_dwordx4 s[16:19], s[4:5], 0x0
	s_mul_i32 s4, s11, s3
	s_mul_hi_u32 s5, s10, s3
	s_add_i32 s5, s5, s4
	s_mul_i32 s4, s10, s3
	s_lshl_b64 s[4:5], s[4:5], 4
	s_add_u32 s4, s8, s4
	s_addc_u32 s5, s9, s5
	s_load_dwordx4 s[12:15], s[4:5], 0x0
	s_waitcnt lgkmcnt(0)
	v_cmp_neq_f64_e64 s[4:5], s[16:17], 0
	v_cmp_neq_f64_e64 s[6:7], s[18:19], 0
	s_or_b64 s[20:21], s[4:5], s[6:7]
	s_mov_b64 s[4:5], -1
	s_and_b64 vcc, exec, s[20:21]
	s_cbranch_vccnz .LBB17_2
; %bb.1:
	v_cmp_neq_f64_e64 s[4:5], s[12:13], 1.0
	v_cmp_neq_f64_e64 s[6:7], s[14:15], 0
	s_or_b64 s[4:5], s[4:5], s[6:7]
.LBB17_2:
	s_andn2_b64 vcc, exec, s[4:5]
	s_cbranch_vccnz .LBB17_22
; %bb.3:
	s_load_dwordx8 s[4:11], s[0:1], 0x30
	s_load_dwordx2 s[24:25], s[0:1], 0x28
	s_load_dword s22, s[0:1], 0x0
	s_xor_b64 s[20:21], s[20:21], -1
	v_lshl_or_b32 v4, s2, 6, v0
	s_waitcnt lgkmcnt(0)
	s_mul_i32 s9, s9, s3
	s_mul_hi_u32 s23, s8, s3
	s_add_i32 s9, s23, s9
	s_mul_i32 s8, s8, s3
	s_lshl_b64 s[8:9], s[8:9], 4
	s_add_u32 s8, s24, s8
	s_addc_u32 s9, s25, s9
	s_lshl_b64 s[4:5], s[4:5], 4
	s_add_u32 s8, s8, s4
	s_addc_u32 s9, s9, s5
	s_andn2_b64 vcc, exec, s[20:21]
	v_cmp_gt_i32_e64 s[4:5], s22, v4
	s_cbranch_vccnz .LBB17_8
; %bb.4:
	s_mov_b64 s[24:25], 0
	s_mov_b64 s[20:21], 0
                                        ; implicit-def: $vgpr2_vgpr3
                                        ; implicit-def: $vgpr6_vgpr7
	s_and_saveexec_b64 s[26:27], s[4:5]
	s_cbranch_execz .LBB17_9
; %bb.5:
	v_cmp_neq_f64_e64 s[4:5], s[12:13], 0
	v_cmp_neq_f64_e64 s[20:21], s[14:15], 0
	v_ashrrev_i32_e32 v0, 31, v4
	v_mul_lo_u32 v1, s7, v4
	v_mul_lo_u32 v0, s6, v0
	v_mad_u64_u32 v[6:7], s[28:29], s6, v4, 0
	s_or_b64 s[4:5], s[4:5], s[20:21]
	v_mov_b64_e32 v[2:3], 0
	v_add3_u32 v7, v7, v0, v1
	s_andn2_b64 vcc, exec, s[4:5]
	v_mov_b64_e32 v[0:1], 0
	s_cbranch_vccnz .LBB17_7
; %bb.6:
	v_lshl_add_u64 v[0:1], v[6:7], 4, s[8:9]
	global_load_dwordx4 v[8:11], v[0:1], off
	s_waitcnt vmcnt(0)
	v_mul_f64 v[0:1], s[14:15], v[10:11]
	v_mul_f64 v[2:3], s[12:13], v[10:11]
	v_fma_f64 v[0:1], s[12:13], v[8:9], -v[0:1]
	v_fmac_f64_e32 v[2:3], s[14:15], v[8:9]
.LBB17_7:
	s_mov_b64 s[20:21], exec
	s_or_b64 exec, exec, s[26:27]
	s_and_b64 vcc, exec, s[24:25]
	s_cbranch_vccnz .LBB17_10
	s_branch .LBB17_20
.LBB17_8:
	s_mov_b64 s[20:21], 0
                                        ; implicit-def: $vgpr2_vgpr3
                                        ; implicit-def: $vgpr6_vgpr7
	s_cbranch_execnz .LBB17_10
	s_branch .LBB17_20
.LBB17_9:
	s_or_b64 exec, exec, s[26:27]
	s_and_b64 vcc, exec, s[24:25]
	s_cbranch_vccz .LBB17_20
.LBB17_10:
	v_cmp_gt_i32_e32 vcc, s22, v4
                                        ; implicit-def: $vgpr2_vgpr3
                                        ; implicit-def: $vgpr6_vgpr7
	s_and_saveexec_b64 s[4:5], vcc
	s_cbranch_execz .LBB17_19
; %bb.11:
	v_ashrrev_i32_e32 v5, 31, v4
	v_mov_b64_e32 v[0:1], 0
	s_cmp_lt_i32 s2, 0
	v_mov_b64_e32 v[6:7], 0
	s_cbranch_scc1 .LBB17_14
; %bb.12:
	s_load_dword s0, s[0:1], 0x58
	s_ashr_i32 s23, s22, 31
	s_mul_hi_u32 s1, s22, s3
	s_mul_i32 s24, s23, s3
	s_add_i32 s1, s1, s24
	s_mul_i32 s3, s22, s3
	s_waitcnt lgkmcnt(0)
	s_mul_i32 s1, s1, s0
	s_mul_hi_u32 s24, s3, s0
	s_add_i32 s1, s24, s1
	s_mul_i32 s0, s3, s0
	s_add_i32 s2, s2, 1
	s_lshl_b64 s[0:1], s[0:1], 4
	s_add_u32 s0, s10, s0
	s_addc_u32 s1, s11, s1
	v_lshl_add_u64 v[0:1], v[4:5], 4, s[0:1]
	v_lshl_add_u64 v[2:3], v[0:1], 0, 8
	s_lshl_b64 s[0:1], s[22:23], 4
	v_mov_b64_e32 v[0:1], 0
	v_mov_b64_e32 v[6:7], 0
.LBB17_13:                              ; =>This Inner Loop Header: Depth=1
	global_load_dwordx4 v[8:11], v[2:3], off offset:-8
	s_add_i32 s2, s2, -1
	v_lshl_add_u64 v[2:3], v[2:3], 0, s[0:1]
	s_cmp_eq_u32 s2, 0
	s_waitcnt vmcnt(0)
	v_add_f64 v[6:7], v[6:7], v[8:9]
	v_add_f64 v[0:1], v[0:1], v[10:11]
	s_cbranch_scc0 .LBB17_13
.LBB17_14:
	v_cmp_neq_f64_e64 s[2:3], s[12:13], 0
	v_cmp_neq_f64_e64 s[10:11], s[14:15], 0
	s_or_b64 s[2:3], s[2:3], s[10:11]
	v_mul_f64 v[8:9], s[18:19], v[0:1]
	v_mul_f64 v[2:3], s[16:17], v[0:1]
	s_mov_b64 s[0:1], 0
	s_andn2_b64 vcc, exec, s[2:3]
	v_fma_f64 v[0:1], s[16:17], v[6:7], -v[8:9]
	v_fmac_f64_e32 v[2:3], s[18:19], v[6:7]
	v_mul_lo_u32 v8, s7, v4
	v_mul_lo_u32 v5, s6, v5
	s_cbranch_vccz .LBB17_16
; %bb.15:
	v_mad_u64_u32 v[6:7], s[2:3], s6, v4, 0
	v_add3_u32 v7, v7, v5, v8
	s_andn2_b64 vcc, exec, s[0:1]
	s_cbranch_vccz .LBB17_17
	s_branch .LBB17_18
.LBB17_16:
                                        ; implicit-def: $vgpr6_vgpr7
.LBB17_17:
	v_mad_u64_u32 v[6:7], s[0:1], s6, v4, 0
	v_add3_u32 v7, v7, v5, v8
	v_lshl_add_u64 v[4:5], v[6:7], 4, s[8:9]
	global_load_dwordx4 v[8:11], v[4:5], off
	s_waitcnt vmcnt(0)
	v_mul_f64 v[4:5], s[14:15], v[10:11]
	v_mul_f64 v[10:11], s[12:13], v[10:11]
	v_fma_f64 v[4:5], s[12:13], v[8:9], -v[4:5]
	v_fmac_f64_e32 v[10:11], s[14:15], v[8:9]
	v_add_f64 v[0:1], v[0:1], v[4:5]
	v_add_f64 v[2:3], v[2:3], v[10:11]
.LBB17_18:
	s_or_b64 s[20:21], s[20:21], exec
.LBB17_19:
	s_or_b64 exec, exec, s[4:5]
.LBB17_20:
	s_and_saveexec_b64 s[0:1], s[20:21]
	s_cbranch_execz .LBB17_22
; %bb.21:
	v_lshl_add_u64 v[4:5], v[6:7], 4, s[8:9]
	global_store_dwordx4 v[4:5], v[0:3], off
.LBB17_22:
	s_endpgm
	.section	.rodata,"a",@progbits
	.p2align	6, 0x0
	.amdhsa_kernel _ZL36rocblas_hemvn_kernel_upper_block_sumILi64ElPK19rocblas_complex_numIdEPS1_S1_EviT1_lS5_lT2_lT0_lPT3_i
		.amdhsa_group_segment_fixed_size 0
		.amdhsa_private_segment_fixed_size 0
		.amdhsa_kernarg_size 344
		.amdhsa_user_sgpr_count 2
		.amdhsa_user_sgpr_dispatch_ptr 0
		.amdhsa_user_sgpr_queue_ptr 0
		.amdhsa_user_sgpr_kernarg_segment_ptr 1
		.amdhsa_user_sgpr_dispatch_id 0
		.amdhsa_user_sgpr_kernarg_preload_length 0
		.amdhsa_user_sgpr_kernarg_preload_offset 0
		.amdhsa_user_sgpr_private_segment_size 0
		.amdhsa_uses_dynamic_stack 0
		.amdhsa_enable_private_segment 0
		.amdhsa_system_sgpr_workgroup_id_x 1
		.amdhsa_system_sgpr_workgroup_id_y 0
		.amdhsa_system_sgpr_workgroup_id_z 1
		.amdhsa_system_sgpr_workgroup_info 0
		.amdhsa_system_vgpr_workitem_id 0
		.amdhsa_next_free_vgpr 12
		.amdhsa_next_free_sgpr 30
		.amdhsa_accum_offset 12
		.amdhsa_reserve_vcc 1
		.amdhsa_float_round_mode_32 0
		.amdhsa_float_round_mode_16_64 0
		.amdhsa_float_denorm_mode_32 3
		.amdhsa_float_denorm_mode_16_64 3
		.amdhsa_dx10_clamp 1
		.amdhsa_ieee_mode 1
		.amdhsa_fp16_overflow 0
		.amdhsa_tg_split 0
		.amdhsa_exception_fp_ieee_invalid_op 0
		.amdhsa_exception_fp_denorm_src 0
		.amdhsa_exception_fp_ieee_div_zero 0
		.amdhsa_exception_fp_ieee_overflow 0
		.amdhsa_exception_fp_ieee_underflow 0
		.amdhsa_exception_fp_ieee_inexact 0
		.amdhsa_exception_int_div_zero 0
	.end_amdhsa_kernel
	.section	.text._ZL36rocblas_hemvn_kernel_upper_block_sumILi64ElPK19rocblas_complex_numIdEPS1_S1_EviT1_lS5_lT2_lT0_lPT3_i,"axG",@progbits,_ZL36rocblas_hemvn_kernel_upper_block_sumILi64ElPK19rocblas_complex_numIdEPS1_S1_EviT1_lS5_lT2_lT0_lPT3_i,comdat
.Lfunc_end17:
	.size	_ZL36rocblas_hemvn_kernel_upper_block_sumILi64ElPK19rocblas_complex_numIdEPS1_S1_EviT1_lS5_lT2_lT0_lPT3_i, .Lfunc_end17-_ZL36rocblas_hemvn_kernel_upper_block_sumILi64ElPK19rocblas_complex_numIdEPS1_S1_EviT1_lS5_lT2_lT0_lPT3_i
                                        ; -- End function
	.set _ZL36rocblas_hemvn_kernel_upper_block_sumILi64ElPK19rocblas_complex_numIdEPS1_S1_EviT1_lS5_lT2_lT0_lPT3_i.num_vgpr, 12
	.set _ZL36rocblas_hemvn_kernel_upper_block_sumILi64ElPK19rocblas_complex_numIdEPS1_S1_EviT1_lS5_lT2_lT0_lPT3_i.num_agpr, 0
	.set _ZL36rocblas_hemvn_kernel_upper_block_sumILi64ElPK19rocblas_complex_numIdEPS1_S1_EviT1_lS5_lT2_lT0_lPT3_i.numbered_sgpr, 30
	.set _ZL36rocblas_hemvn_kernel_upper_block_sumILi64ElPK19rocblas_complex_numIdEPS1_S1_EviT1_lS5_lT2_lT0_lPT3_i.num_named_barrier, 0
	.set _ZL36rocblas_hemvn_kernel_upper_block_sumILi64ElPK19rocblas_complex_numIdEPS1_S1_EviT1_lS5_lT2_lT0_lPT3_i.private_seg_size, 0
	.set _ZL36rocblas_hemvn_kernel_upper_block_sumILi64ElPK19rocblas_complex_numIdEPS1_S1_EviT1_lS5_lT2_lT0_lPT3_i.uses_vcc, 1
	.set _ZL36rocblas_hemvn_kernel_upper_block_sumILi64ElPK19rocblas_complex_numIdEPS1_S1_EviT1_lS5_lT2_lT0_lPT3_i.uses_flat_scratch, 0
	.set _ZL36rocblas_hemvn_kernel_upper_block_sumILi64ElPK19rocblas_complex_numIdEPS1_S1_EviT1_lS5_lT2_lT0_lPT3_i.has_dyn_sized_stack, 0
	.set _ZL36rocblas_hemvn_kernel_upper_block_sumILi64ElPK19rocblas_complex_numIdEPS1_S1_EviT1_lS5_lT2_lT0_lPT3_i.has_recursion, 0
	.set _ZL36rocblas_hemvn_kernel_upper_block_sumILi64ElPK19rocblas_complex_numIdEPS1_S1_EviT1_lS5_lT2_lT0_lPT3_i.has_indirect_call, 0
	.section	.AMDGPU.csdata,"",@progbits
; Kernel info:
; codeLenInByte = 816
; TotalNumSgprs: 36
; NumVgprs: 12
; NumAgprs: 0
; TotalNumVgprs: 12
; ScratchSize: 0
; MemoryBound: 0
; FloatMode: 240
; IeeeMode: 1
; LDSByteSize: 0 bytes/workgroup (compile time only)
; SGPRBlocks: 4
; VGPRBlocks: 1
; NumSGPRsForWavesPerEU: 36
; NumVGPRsForWavesPerEU: 12
; AccumOffset: 12
; Occupancy: 8
; WaveLimiterHint : 0
; COMPUTE_PGM_RSRC2:SCRATCH_EN: 0
; COMPUTE_PGM_RSRC2:USER_SGPR: 2
; COMPUTE_PGM_RSRC2:TRAP_HANDLER: 0
; COMPUTE_PGM_RSRC2:TGID_X_EN: 1
; COMPUTE_PGM_RSRC2:TGID_Y_EN: 0
; COMPUTE_PGM_RSRC2:TGID_Z_EN: 1
; COMPUTE_PGM_RSRC2:TIDIG_COMP_CNT: 0
; COMPUTE_PGM_RSRC3_GFX90A:ACCUM_OFFSET: 2
; COMPUTE_PGM_RSRC3_GFX90A:TG_SPLIT: 0
	.section	.text._ZL26rocblas_hemvn_kernel_upperILb1ELi64ELi4ELi33ELi32ELi16EiPK19rocblas_complex_numIdES3_PS1_EviT6_lT7_lT5_lS6_lS7_lS5_lT8_i,"axG",@progbits,_ZL26rocblas_hemvn_kernel_upperILb1ELi64ELi4ELi33ELi32ELi16EiPK19rocblas_complex_numIdES3_PS1_EviT6_lT7_lT5_lS6_lS7_lS5_lT8_i,comdat
	.globl	_ZL26rocblas_hemvn_kernel_upperILb1ELi64ELi4ELi33ELi32ELi16EiPK19rocblas_complex_numIdES3_PS1_EviT6_lT7_lT5_lS6_lS7_lS5_lT8_i ; -- Begin function _ZL26rocblas_hemvn_kernel_upperILb1ELi64ELi4ELi33ELi32ELi16EiPK19rocblas_complex_numIdES3_PS1_EviT6_lT7_lT5_lS6_lS7_lS5_lT8_i
	.p2align	8
	.type	_ZL26rocblas_hemvn_kernel_upperILb1ELi64ELi4ELi33ELi32ELi16EiPK19rocblas_complex_numIdES3_PS1_EviT6_lT7_lT5_lS6_lS7_lS5_lT8_i,@function
_ZL26rocblas_hemvn_kernel_upperILb1ELi64ELi4ELi33ELi32ELi16EiPK19rocblas_complex_numIdES3_PS1_EviT6_lT7_lT5_lS6_lS7_lS5_lT8_i: ; @_ZL26rocblas_hemvn_kernel_upperILb1ELi64ELi4ELi33ELi32ELi16EiPK19rocblas_complex_numIdES3_PS1_EviT6_lT7_lT5_lS6_lS7_lS5_lT8_i
; %bb.0:
	s_load_dwordx2 s[4:5], s[0:1], 0x84
	s_add_u32 s20, s0, 0x78
	s_addc_u32 s21, s1, 0
	s_waitcnt lgkmcnt(0)
	s_lshr_b32 s6, s4, 16
	s_and_b32 s4, s4, 0xffff
	s_and_b32 s5, s5, 0xffff
	s_mul_i32 s4, s6, s4
	s_mul_i32 s4, s4, s5
	s_cmpk_lg_i32 s4, 0x100
	s_cbranch_scc1 .LBB18_202
; %bb.1:
	s_load_dwordx8 s[4:11], s[0:1], 0x8
	s_waitcnt lgkmcnt(0)
	s_mul_i32 s7, s7, s3
	s_mul_hi_u32 s12, s6, s3
	s_mul_i32 s6, s6, s3
	s_add_i32 s7, s12, s7
	s_lshl_b64 s[6:7], s[6:7], 4
	s_add_u32 s22, s4, s6
	s_addc_u32 s23, s5, s7
	s_load_dwordx4 s[4:7], s[22:23], 0x0
	s_load_dwordx8 s[12:19], s[0:1], 0x50
	s_waitcnt lgkmcnt(0)
	v_cmp_neq_f64_e64 s[4:5], s[4:5], 0
	v_cmp_neq_f64_e64 s[6:7], s[6:7], 0
	s_or_b64 s[4:5], s[4:5], s[6:7]
	s_mov_b64 s[6:7], -1
	s_and_b64 vcc, exec, s[4:5]
	s_cbranch_vccnz .LBB18_3
; %bb.2:
	s_mul_i32 s6, s17, s3
	s_mul_hi_u32 s7, s16, s3
	s_add_i32 s7, s7, s6
	s_mul_i32 s6, s16, s3
	s_lshl_b64 s[6:7], s[6:7], 4
	s_add_u32 s6, s14, s6
	s_addc_u32 s7, s15, s7
	s_load_dwordx4 s[24:27], s[6:7], 0x0
	s_waitcnt lgkmcnt(0)
	v_cmp_neq_f64_e64 s[6:7], s[24:25], 1.0
	v_cmp_neq_f64_e64 s[14:15], s[26:27], 0
	s_or_b64 s[6:7], s[6:7], s[14:15]
.LBB18_3:
	s_andn2_b64 vcc, exec, s[6:7]
	s_cbranch_vccnz .LBB18_202
; %bb.4:
	s_andn2_b64 vcc, exec, s[4:5]
	s_cbranch_vccnz .LBB18_202
; %bb.5:
	s_load_dword s33, s[20:21], 0x0
	s_load_dword s36, s[0:1], 0x0
	s_load_dwordx4 s[4:7], s[0:1], 0x30
	s_load_dwordx2 s[14:15], s[0:1], 0x40
	s_load_dword s35, s[0:1], 0x48
	s_mul_i32 s13, s13, s3
	s_mul_hi_u32 s16, s12, s3
	s_add_i32 s13, s16, s13
	s_mul_i32 s12, s12, s3
	s_lshl_b64 s[12:13], s[12:13], 4
	s_waitcnt lgkmcnt(0)
	s_add_u32 s12, s6, s12
	s_addc_u32 s13, s7, s13
	s_lshl_b64 s[6:7], s[14:15], 4
	s_add_u32 s6, s12, s6
	s_addc_u32 s7, s13, s7
	s_ashr_i32 s37, s36, 31
	s_lshr_b32 s13, s37, 26
	v_and_b32_e32 v166, 0x3ff, v0
	s_lshl_b32 s24, s2, 6
	s_add_i32 s13, s36, s13
	s_andn2_b32 s13, s13, 63
	v_add_u32_e32 v164, s24, v166
	v_bfe_u32 v165, v0, 10, 10
	s_add_i32 s12, s33, -1
	s_sub_i32 s34, s36, s13
	v_mul_lo_u32 v0, s35, v164
	s_cmp_eq_u32 s2, s12
	v_ashrrev_i32_e32 v1, 31, v0
	s_cselect_b32 s16, s34, 0
	v_lshl_add_u64 v[36:37], v[0:1], 4, s[6:7]
	v_cmp_eq_u32_e64 s[12:13], 0, v165
	s_and_saveexec_b64 s[6:7], s[12:13]
	s_cbranch_execz .LBB18_10
; %bb.6:
	s_cmp_lg_u32 s16, 0
	s_cselect_b64 s[14:15], -1, 0
	v_cmp_le_i32_e32 vcc, s16, v166
	v_mov_b32_e32 v0, 0x4700
	s_and_b64 s[14:15], s[14:15], vcc
	v_lshl_add_u32 v0, v166, 4, v0
	s_and_saveexec_b64 s[20:21], s[14:15]
	s_xor_b64 s[14:15], exec, s[20:21]
; %bb.7:
	v_mov_b32_e32 v2, 0
	v_mov_b32_e32 v3, v2
	;; [unrolled: 1-line block ×4, first 2 shown]
	ds_write_b128 v0, v[2:5]
                                        ; implicit-def: $vgpr0
; %bb.8:
	s_andn2_saveexec_b64 s[14:15], s[14:15]
	s_cbranch_execz .LBB18_10
; %bb.9:
	global_load_dwordx4 v[2:5], v[36:37], off
	s_waitcnt vmcnt(0)
	ds_write2_b64 v0, v[2:3], v[4:5] offset1:1
.LBB18_10:
	s_or_b64 exec, exec, s[6:7]
	s_mul_i32 s5, s5, s3
	s_mul_hi_u32 s6, s4, s3
	s_add_i32 s5, s6, s5
	s_mul_i32 s4, s4, s3
	s_lshl_b64 s[4:5], s[4:5], 4
	s_add_u32 s6, s8, s4
	s_addc_u32 s7, s9, s5
	s_lshl_b64 s[4:5], s[10:11], 4
	s_load_dword s22, s[0:1], 0x28
	s_add_u32 s4, s6, s4
	s_addc_u32 s5, s7, s5
	s_ashr_i32 s25, s24, 31
	v_lshl_add_u32 v42, v165, 6, v166
	s_lshl_b64 s[0:1], s[24:25], 4
	v_and_b32_e32 v10, 31, v166
	v_lshrrev_b32_e32 v11, 5, v42
	s_add_u32 s0, s4, s0
	s_addc_u32 s1, s5, s1
	s_waitcnt lgkmcnt(0)
	v_mad_u64_u32 v[38:39], s[4:5], s22, v11, v[10:11]
	v_ashrrev_i32_e32 v39, 31, v38
	v_lshl_add_u64 v[0:1], v[38:39], 4, s[0:1]
	s_mul_i32 s0, s22, s24
	s_ashr_i32 s1, s0, 31
	s_cmp_eq_u32 s16, 0
	s_cselect_b64 s[20:21], -1, 0
	s_cmp_lg_u32 s16, 0
	s_cselect_b64 s[26:27], -1, 0
	v_lshl_add_u64 v[0:1], s[0:1], 4, v[0:1]
	s_and_b64 vcc, exec, s[26:27]
	v_cmp_gt_i32_e64 s[0:1], s16, v10
	v_lshlrev_b32_e32 v8, 4, v10
	s_cbranch_vccz .LBB18_28
; %bb.11:
	v_sub_co_u32_e32 v2, vcc, v0, v8
	s_ashr_i32 s17, s16, 31
	s_nop 0
	v_subbrev_co_u32_e32 v3, vcc, 0, v1, vcc
	v_lshl_add_u64 v[2:3], s[16:17], 4, v[2:3]
	v_lshl_add_u64 v[2:3], v[2:3], 0, -16
	s_movk_i32 s4, 0x210
	v_cndmask_b32_e64 v3, v3, v1, s[0:1]
	v_cndmask_b32_e64 v2, v2, v0, s[0:1]
	v_cmp_le_i32_e32 vcc, s16, v11
	v_mad_u32_u24 v5, v11, s4, v8
	s_and_saveexec_b64 s[4:5], vcc
	s_xor_b64 s[4:5], exec, s[4:5]
; %bb.12:
	v_mov_b32_e32 v12, 0
	v_mov_b32_e32 v13, v12
	;; [unrolled: 1-line block ×4, first 2 shown]
	ds_write_b128 v5, v[12:15]
                                        ; implicit-def: $vgpr5
; %bb.13:
	s_or_saveexec_b64 s[4:5], s[4:5]
	v_mul_u32_u24_e32 v4, 0x210, v11
	s_xor_b64 exec, exec, s[4:5]
	s_cbranch_execz .LBB18_15
; %bb.14:
	global_load_dwordx4 v[12:15], v[2:3], off
	s_waitcnt vmcnt(0)
	ds_write2_b64 v5, v[12:13], v[14:15] offset1:1
.LBB18_15:
	s_or_b64 exec, exec, s[4:5]
	v_add_u32_e32 v5, 8, v11
	v_cmp_le_i32_e32 vcc, s16, v5
	v_add_u32_e32 v5, v4, v8
	s_and_saveexec_b64 s[4:5], vcc
	s_xor_b64 s[4:5], exec, s[4:5]
; %bb.16:
	v_mov_b32_e32 v12, 0
	v_mov_b32_e32 v13, v12
	v_mov_b32_e32 v14, v12
	v_mov_b32_e32 v15, v12
	ds_write_b128 v5, v[12:15] offset:4224
; %bb.17:
	s_andn2_saveexec_b64 s[4:5], s[4:5]
	s_cbranch_execz .LBB18_19
; %bb.18:
	s_lshl_b32 s6, s22, 3
	s_ashr_i32 s7, s6, 31
	v_lshl_add_u64 v[6:7], s[6:7], 4, v[2:3]
	global_load_dwordx4 v[12:15], v[6:7], off
	s_movk_i32 s6, 0x1080
	v_add3_u32 v6, v4, v8, s6
	s_waitcnt vmcnt(0)
	ds_write2_b64 v6, v[12:13], v[14:15] offset1:1
.LBB18_19:
	s_or_b64 exec, exec, s[4:5]
	v_add_u32_e32 v6, 16, v11
	v_cmp_le_i32_e32 vcc, s16, v6
	s_and_saveexec_b64 s[4:5], vcc
	s_xor_b64 s[4:5], exec, s[4:5]
; %bb.20:
	v_mov_b32_e32 v12, 0
	v_mov_b32_e32 v13, v12
	;; [unrolled: 1-line block ×4, first 2 shown]
	ds_write_b128 v5, v[12:15] offset:8448
; %bb.21:
	s_andn2_saveexec_b64 s[4:5], s[4:5]
	s_cbranch_execz .LBB18_23
; %bb.22:
	s_lshl_b32 s6, s22, 4
	s_ashr_i32 s7, s6, 31
	v_lshl_add_u64 v[6:7], s[6:7], 4, v[2:3]
	global_load_dwordx4 v[12:15], v[6:7], off
	s_movk_i32 s6, 0x2100
	v_add3_u32 v6, v4, v8, s6
	s_waitcnt vmcnt(0)
	ds_write2_b64 v6, v[12:13], v[14:15] offset1:1
.LBB18_23:
	s_or_b64 exec, exec, s[4:5]
	v_add_u32_e32 v6, 24, v11
	v_cmp_le_i32_e32 vcc, s16, v6
	s_and_saveexec_b64 s[4:5], vcc
	s_xor_b64 s[4:5], exec, s[4:5]
; %bb.24:
	v_mov_b32_e32 v12, 0
	v_mov_b32_e32 v13, v12
	;; [unrolled: 1-line block ×4, first 2 shown]
	ds_write_b128 v5, v[12:15] offset:12672
                                        ; implicit-def: $vgpr4
; %bb.25:
	s_andn2_saveexec_b64 s[4:5], s[4:5]
	s_cbranch_execz .LBB18_27
; %bb.26:
	s_mul_i32 s6, s22, 24
	s_ashr_i32 s7, s6, 31
	v_lshl_add_u64 v[6:7], s[6:7], 4, v[2:3]
	global_load_dwordx4 v[12:15], v[6:7], off
	s_movk_i32 s6, 0x3180
	v_add3_u32 v4, v4, v8, s6
	s_waitcnt vmcnt(0)
	ds_write2_b64 v4, v[12:13], v[14:15] offset1:1
.LBB18_27:
	s_or_b64 exec, exec, s[4:5]
	v_mov_b32_e32 v9, 0
	v_lshl_add_u64 v[2:3], v[2:3], 0, v[8:9]
	s_lshl_b64 s[4:5], s[16:17], 4
	v_mov_b32_e32 v4, s5
	v_subrev_co_u32_e32 v2, vcc, s4, v2
	s_nop 1
	v_subb_co_u32_e32 v3, vcc, v3, v4, vcc
	v_lshl_add_u64 v[2:3], v[2:3], 0, 16
	v_cndmask_b32_e64 v5, v3, v1, s[0:1]
	v_cndmask_b32_e64 v4, v2, v0, s[0:1]
	s_branch .LBB18_30
.LBB18_28:
                                        ; implicit-def: $vgpr4_vgpr5
	s_cbranch_execz .LBB18_30
; %bb.29:
	s_lshl_b32 s0, s22, 3
	s_ashr_i32 s1, s0, 31
	s_ashr_i32 s23, s22, 31
	v_lshl_add_u64 v[6:7], s[0:1], 4, v[0:1]
	s_lshl_b64 s[0:1], s[22:23], 7
	global_load_dwordx4 v[2:5], v[0:1], off
	global_load_dwordx4 v[12:15], v[6:7], off
	v_lshl_add_u64 v[6:7], v[6:7], 0, s[0:1]
	v_lshl_add_u64 v[24:25], v[6:7], 0, s[0:1]
	global_load_dwordx4 v[16:19], v[6:7], off
	global_load_dwordx4 v[20:23], v[24:25], off
	v_mul_u32_u24_e32 v6, 0x210, v11
	v_lshl_add_u32 v6, v10, 4, v6
	v_add_u32_e32 v7, 0x1080, v6
	v_add_u32_e32 v9, 0x2100, v6
	;; [unrolled: 1-line block ×3, first 2 shown]
	s_waitcnt vmcnt(3)
	ds_write2_b64 v6, v[2:3], v[4:5] offset1:1
	s_waitcnt vmcnt(2)
	ds_write2_b64 v7, v[12:13], v[14:15] offset1:1
	;; [unrolled: 2-line block ×4, first 2 shown]
	v_mov_b64_e32 v[4:5], v[0:1]
.LBB18_30:
	v_lshlrev_b32_e32 v15, 2, v11
	v_mul_u32_u24_e32 v14, 0x210, v10
	v_cmp_le_u32_e64 s[4:5], v15, v10
	s_mov_b64 s[0:1], 0
	s_waitcnt lgkmcnt(0)
	s_barrier
                                        ; implicit-def: $vgpr0
	s_and_saveexec_b64 s[6:7], s[4:5]
	s_xor_b64 s[6:7], exec, s[6:7]
	s_cbranch_execz .LBB18_34
; %bb.31:
	v_cmp_eq_u32_e32 vcc, v15, v10
                                        ; implicit-def: $vgpr0
	s_and_saveexec_b64 s[8:9], vcc
	s_xor_b64 s[8:9], exec, s[8:9]
; %bb.32:
	s_mov_b64 s[0:1], exec
	v_add_u32_e32 v0, v8, v14
; %bb.33:
	s_or_b64 exec, exec, s[8:9]
	s_and_b64 s[0:1], s[0:1], exec
.LBB18_34:
	s_or_saveexec_b64 s[6:7], s[6:7]
	v_lshl_or_b32 v1, v10, 9, v8
	v_mov_b64_e32 v[2:3], 0
	v_lshl_add_u32 v6, v15, 4, v1
	s_xor_b64 exec, exec, s[6:7]
	s_cbranch_execz .LBB18_36
; %bb.35:
	s_movk_i32 s8, 0x840
	v_mad_u32_u24 v0, v11, s8, v8
	ds_read_b128 v[0:3], v0
	s_or_b64 s[0:1], s[0:1], exec
	s_waitcnt lgkmcnt(0)
	v_xor_b32_e32 v3, 0x80000000, v3
	ds_write_b64 v6, v[0:1]
	v_mov_b32_e32 v0, v6
.LBB18_36:
	s_or_b64 exec, exec, s[6:7]
	s_and_saveexec_b64 s[6:7], s[0:1]
; %bb.37:
	ds_write_b64 v0, v[2:3] offset:8
; %bb.38:
	s_or_b64 exec, exec, s[6:7]
	v_or_b32_e32 v16, 1, v15
	v_cmp_ge_u32_e64 s[6:7], v15, v10
	s_mov_b64 s[0:1], 0
                                        ; implicit-def: $vgpr2_vgpr3
                                        ; implicit-def: $vgpr7
	s_and_saveexec_b64 s[8:9], s[6:7]
	s_xor_b64 s[8:9], exec, s[8:9]
	s_cbranch_execnz .LBB18_70
; %bb.39:
	s_andn2_saveexec_b64 s[8:9], s[8:9]
	s_cbranch_execnz .LBB18_71
.LBB18_40:
	s_or_b64 exec, exec, s[8:9]
	s_and_saveexec_b64 s[8:9], s[0:1]
.LBB18_41:
	ds_write_b64 v7, v[2:3] offset:8
.LBB18_42:
	s_or_b64 exec, exec, s[8:9]
	v_or_b32_e32 v17, 2, v15
	v_cmp_le_u32_e64 s[8:9], v17, v10
	s_mov_b64 s[0:1], 0
                                        ; implicit-def: $vgpr7
	s_and_saveexec_b64 s[10:11], s[8:9]
	s_xor_b64 s[10:11], exec, s[10:11]
	s_cbranch_execnz .LBB18_74
; %bb.43:
	s_or_saveexec_b64 s[10:11], s[10:11]
	v_mov_b64_e32 v[2:3], 0
	s_xor_b64 exec, exec, s[10:11]
	s_cbranch_execnz .LBB18_77
.LBB18_44:
	s_or_b64 exec, exec, s[10:11]
	s_and_saveexec_b64 s[10:11], s[0:1]
.LBB18_45:
	ds_write_b64 v7, v[2:3] offset:8
.LBB18_46:
	s_or_b64 exec, exec, s[10:11]
	v_or_b32_e32 v18, 3, v15
	v_cmp_le_u32_e64 s[10:11], v18, v10
	s_mov_b64 s[0:1], 0
                                        ; implicit-def: $vgpr7
	s_and_saveexec_b64 s[14:15], s[10:11]
	s_xor_b64 s[14:15], exec, s[14:15]
	s_cbranch_execnz .LBB18_78
; %bb.47:
	s_or_saveexec_b64 s[14:15], s[14:15]
	v_mov_b64_e32 v[2:3], 0
	s_xor_b64 exec, exec, s[14:15]
	s_cbranch_execnz .LBB18_81
.LBB18_48:
	s_or_b64 exec, exec, s[14:15]
	s_and_saveexec_b64 s[14:15], s[0:1]
.LBB18_49:
	ds_write_b64 v7, v[2:3] offset:8
.LBB18_50:
	s_or_b64 exec, exec, s[14:15]
	s_movk_i32 s0, 0x840
	v_lshlrev_b32_e32 v19, 4, v15
	s_waitcnt lgkmcnt(0)
	s_barrier
	v_mad_u32_u24 v6, v11, s0, v8
	ds_read_b128 v[0:3], v19 offset:18176
	ds_read_b128 v[20:23], v6
	ds_read_b128 v[24:27], v19 offset:18192
	ds_read_b128 v[28:31], v19 offset:18208
	s_movk_i32 s0, 0x210
	v_mad_u32_u24 v9, v16, s0, v8
	s_waitcnt lgkmcnt(2)
	v_mul_f64 v[6:7], v[2:3], v[22:23]
	v_mul_f64 v[12:13], v[0:1], v[22:23]
	v_fma_f64 v[6:7], v[0:1], v[20:21], -v[6:7]
	v_fmac_f64_e32 v[12:13], v[2:3], v[20:21]
	ds_read_b128 v[20:23], v19 offset:18224
	ds_read_b128 v[32:35], v9
	v_add_f64 v[2:3], v[6:7], 0
	v_add_f64 v[6:7], v[12:13], 0
	ds_read_b128 v[44:47], v9 offset:528
	v_mov_b64_e32 v[0:1], 0
	s_waitcnt lgkmcnt(1)
	v_mul_f64 v[12:13], v[26:27], v[34:35]
	v_fma_f64 v[12:13], v[24:25], v[32:33], -v[12:13]
	v_mul_f64 v[24:25], v[24:25], v[34:35]
	v_fmac_f64_e32 v[24:25], v[26:27], v[32:33]
	v_add_f64 v[6:7], v[6:7], v[24:25]
	ds_read_b128 v[24:27], v9 offset:1056
	v_add_f64 v[2:3], v[2:3], v[12:13]
	s_waitcnt lgkmcnt(1)
	v_mul_f64 v[12:13], v[30:31], v[46:47]
	v_fma_f64 v[12:13], v[28:29], v[44:45], -v[12:13]
	v_add_f64 v[2:3], v[2:3], v[12:13]
	s_waitcnt lgkmcnt(0)
	v_mul_f64 v[12:13], v[22:23], v[26:27]
	v_mul_f64 v[28:29], v[28:29], v[46:47]
	v_fma_f64 v[12:13], v[20:21], v[24:25], -v[12:13]
	v_fmac_f64_e32 v[28:29], v[30:31], v[44:45]
	v_mul_f64 v[26:27], v[20:21], v[26:27]
	v_add_f64 v[20:21], v[2:3], v[12:13]
	v_mul_u32_u24_e32 v2, 33, v10
	v_add_f64 v[6:7], v[6:7], v[28:29]
	v_fmac_f64_e32 v[26:27], v[22:23], v[24:25]
	v_lshlrev_b32_e32 v43, 4, v2
	v_add_f64 v[22:23], v[6:7], v[26:27]
	v_lshl_add_u32 v44, v11, 4, v43
	v_cmp_gt_u32_e64 s[0:1], 32, v42
	v_mov_b64_e32 v[2:3], 0
	s_barrier
	ds_write_b128 v44, v[20:23]
	s_waitcnt lgkmcnt(0)
	s_barrier
	s_and_saveexec_b64 s[14:15], s[0:1]
	s_cbranch_execz .LBB18_52
; %bb.51:
	ds_read_b128 v[0:3], v43
	ds_read_b128 v[20:23], v43 offset:16
	ds_read_b128 v[24:27], v43 offset:32
	ds_read_b128 v[28:31], v43 offset:48
	s_waitcnt lgkmcnt(2)
	v_add_f64 v[0:1], v[20:21], v[0:1]
	v_add_f64 v[6:7], v[22:23], v[2:3]
	s_waitcnt lgkmcnt(1)
	v_add_f64 v[12:13], v[0:1], v[24:25]
	ds_read_b128 v[0:3], v43 offset:64
	ds_read_b128 v[20:23], v43 offset:80
	v_add_f64 v[6:7], v[6:7], v[26:27]
	s_waitcnt lgkmcnt(2)
	v_add_f64 v[12:13], v[12:13], v[28:29]
	v_add_f64 v[6:7], v[6:7], v[30:31]
	ds_read_b128 v[24:27], v43 offset:96
	s_waitcnt lgkmcnt(2)
	v_add_f64 v[12:13], v[12:13], v[0:1]
	v_add_f64 v[6:7], v[6:7], v[2:3]
	ds_read_b128 v[0:3], v43 offset:112
	s_waitcnt lgkmcnt(2)
	v_add_f64 v[12:13], v[12:13], v[20:21]
	v_add_f64 v[6:7], v[6:7], v[22:23]
	s_waitcnt lgkmcnt(1)
	v_add_f64 v[12:13], v[12:13], v[24:25]
	v_add_f64 v[6:7], v[6:7], v[26:27]
	;; [unrolled: 3-line block ×3, first 2 shown]
.LBB18_52:
	s_or_b64 exec, exec, s[14:15]
	s_lshl_b32 s28, s22, 5
	s_ashr_i32 s29, s28, 31
	v_lshl_add_u64 v[6:7], s[28:29], 4, v[4:5]
	s_mov_b64 s[14:15], 0x200
	v_lshl_add_u64 v[4:5], v[6:7], 0, s[14:15]
	s_and_b64 vcc, exec, s[26:27]
	s_barrier
	s_cbranch_vccz .LBB18_82
; %bb.53:
	v_sub_co_u32_e32 v12, vcc, v6, v8
	s_ashr_i32 s17, s16, 31
	s_nop 0
	v_subbrev_co_u32_e32 v13, vcc, 0, v7, vcc
	v_or_b32_e32 v9, 32, v10
	v_lshl_add_u64 v[12:13], s[16:17], 4, v[12:13]
	v_lshl_add_u64 v[12:13], v[12:13], 0, -16
	v_cmp_gt_i32_e32 vcc, s16, v9
	s_sub_i32 s23, s16, 32
	s_movk_i32 s25, 0x210
	v_cndmask_b32_e32 v13, v13, v5, vcc
	v_cndmask_b32_e32 v12, v12, v4, vcc
	v_cmp_le_i32_e64 s[14:15], s23, v11
	v_mad_u32_u24 v20, v11, s25, v8
	s_and_saveexec_b64 s[30:31], s[14:15]
	s_xor_b64 s[14:15], exec, s[30:31]
; %bb.54:
	v_mov_b32_e32 v22, 0
	v_mov_b32_e32 v23, v22
	;; [unrolled: 1-line block ×4, first 2 shown]
	ds_write_b128 v20, v[22:25]
                                        ; implicit-def: $vgpr20
; %bb.55:
	s_or_saveexec_b64 s[14:15], s[14:15]
	v_mul_u32_u24_e32 v9, 0x210, v11
	s_xor_b64 exec, exec, s[14:15]
	s_cbranch_execz .LBB18_57
; %bb.56:
	global_load_dwordx4 v[22:25], v[12:13], off
	s_waitcnt vmcnt(0)
	ds_write2_b64 v20, v[22:23], v[24:25] offset1:1
.LBB18_57:
	s_or_b64 exec, exec, s[14:15]
	v_add_u32_e32 v20, 8, v11
	v_cmp_le_i32_e64 s[14:15], s23, v20
	v_add_u32_e32 v20, v9, v8
	s_and_saveexec_b64 s[30:31], s[14:15]
	s_xor_b64 s[14:15], exec, s[30:31]
; %bb.58:
	v_mov_b32_e32 v22, 0
	v_mov_b32_e32 v23, v22
	;; [unrolled: 1-line block ×4, first 2 shown]
	ds_write_b128 v20, v[22:25] offset:4224
; %bb.59:
	s_andn2_saveexec_b64 s[14:15], s[14:15]
	s_cbranch_execz .LBB18_61
; %bb.60:
	s_lshl_b32 s30, s22, 3
	s_ashr_i32 s31, s30, 31
	v_lshl_add_u64 v[22:23], s[30:31], 4, v[12:13]
	global_load_dwordx4 v[22:25], v[22:23], off
	s_movk_i32 s25, 0x1080
	v_add3_u32 v21, v9, v8, s25
	s_waitcnt vmcnt(0)
	ds_write2_b64 v21, v[22:23], v[24:25] offset1:1
.LBB18_61:
	s_or_b64 exec, exec, s[14:15]
	v_add_u32_e32 v21, 16, v11
	v_cmp_le_i32_e64 s[14:15], s23, v21
	s_and_saveexec_b64 s[30:31], s[14:15]
	s_xor_b64 s[14:15], exec, s[30:31]
; %bb.62:
	v_mov_b32_e32 v22, 0
	v_mov_b32_e32 v23, v22
	;; [unrolled: 1-line block ×4, first 2 shown]
	ds_write_b128 v20, v[22:25] offset:8448
; %bb.63:
	s_andn2_saveexec_b64 s[14:15], s[14:15]
	s_cbranch_execz .LBB18_65
; %bb.64:
	s_lshl_b32 s30, s22, 4
	s_ashr_i32 s31, s30, 31
	v_lshl_add_u64 v[22:23], s[30:31], 4, v[12:13]
	global_load_dwordx4 v[22:25], v[22:23], off
	s_movk_i32 s25, 0x2100
	v_add3_u32 v21, v9, v8, s25
	s_waitcnt vmcnt(0)
	ds_write2_b64 v21, v[22:23], v[24:25] offset1:1
.LBB18_65:
	s_or_b64 exec, exec, s[14:15]
	v_add_u32_e32 v21, 24, v11
	v_cmp_le_i32_e64 s[14:15], s23, v21
	s_and_saveexec_b64 s[30:31], s[14:15]
	s_xor_b64 s[14:15], exec, s[30:31]
; %bb.66:
	v_mov_b32_e32 v22, 0
	v_mov_b32_e32 v23, v22
	;; [unrolled: 1-line block ×4, first 2 shown]
	ds_write_b128 v20, v[22:25] offset:12672
                                        ; implicit-def: $vgpr9
; %bb.67:
	s_andn2_saveexec_b64 s[14:15], s[14:15]
	s_cbranch_execz .LBB18_69
; %bb.68:
	s_mul_i32 s30, s22, 24
	s_ashr_i32 s31, s30, 31
	v_lshl_add_u64 v[20:21], s[30:31], 4, v[12:13]
	global_load_dwordx4 v[20:23], v[20:21], off
	s_movk_i32 s23, 0x3180
	v_add3_u32 v9, v9, v8, s23
	s_waitcnt vmcnt(0)
	ds_write2_b64 v9, v[20:21], v[22:23] offset1:1
.LBB18_69:
	s_or_b64 exec, exec, s[14:15]
	v_mov_b32_e32 v9, 0
	v_lshl_add_u64 v[12:13], v[12:13], 0, v[8:9]
	s_lshl_b64 s[14:15], s[16:17], 4
	v_mov_b32_e32 v9, s15
	v_subrev_co_u32_e64 v12, s[14:15], s14, v12
	s_nop 1
	v_subb_co_u32_e64 v13, s[14:15], v13, v9, s[14:15]
	s_mov_b64 s[14:15], 0x210
	s_nop 0
	v_lshl_add_u64 v[12:13], v[12:13], 0, s[14:15]
	v_cndmask_b32_e32 v13, v13, v5, vcc
	v_cndmask_b32_e32 v12, v12, v4, vcc
	s_branch .LBB18_84
.LBB18_70:
	s_movk_i32 s10, 0x210
	v_mad_u32_u24 v0, v16, s10, v8
	ds_read_b128 v[0:3], v0
	s_mov_b64 s[0:1], exec
	v_add_u32_e32 v7, 16, v6
	s_waitcnt lgkmcnt(0)
	v_xor_b32_e32 v3, 0x80000000, v3
	ds_write_b64 v6, v[0:1] offset:16
	s_andn2_saveexec_b64 s[8:9], s[8:9]
	s_cbranch_execz .LBB18_40
.LBB18_71:
	v_cmp_eq_u32_e32 vcc, v16, v10
	s_mov_b64 s[10:11], s[0:1]
                                        ; implicit-def: $vgpr7
	s_and_saveexec_b64 s[14:15], vcc
; %bb.72:
	v_add_u32_e32 v7, v8, v14
	s_or_b64 s[10:11], s[0:1], exec
; %bb.73:
	s_or_b64 exec, exec, s[14:15]
	s_andn2_b64 s[0:1], s[0:1], exec
	s_and_b64 s[10:11], s[10:11], exec
	v_mov_b64_e32 v[2:3], 0
	s_or_b64 s[0:1], s[0:1], s[10:11]
	s_or_b64 exec, exec, s[8:9]
	s_and_saveexec_b64 s[8:9], s[0:1]
	s_cbranch_execnz .LBB18_41
	s_branch .LBB18_42
.LBB18_74:
	v_cmp_eq_u32_e32 vcc, v17, v10
                                        ; implicit-def: $vgpr7
	s_and_saveexec_b64 s[14:15], vcc
; %bb.75:
	s_mov_b64 s[0:1], exec
	v_add_u32_e32 v7, v8, v14
; %bb.76:
	s_or_b64 exec, exec, s[14:15]
	s_and_b64 s[0:1], s[0:1], exec
	s_or_saveexec_b64 s[10:11], s[10:11]
	v_mov_b64_e32 v[2:3], 0
	s_xor_b64 exec, exec, s[10:11]
	s_cbranch_execz .LBB18_44
.LBB18_77:
	s_movk_i32 s14, 0x210
	v_mad_u32_u24 v0, v17, s14, v8
	ds_read_b128 v[0:3], v0
	v_add_u32_e32 v7, 32, v6
	s_or_b64 s[0:1], s[0:1], exec
	s_waitcnt lgkmcnt(0)
	v_xor_b32_e32 v3, 0x80000000, v3
	ds_write_b64 v6, v[0:1] offset:32
	s_or_b64 exec, exec, s[10:11]
	s_and_saveexec_b64 s[10:11], s[0:1]
	s_cbranch_execnz .LBB18_45
	s_branch .LBB18_46
.LBB18_78:
	v_cmp_eq_u32_e32 vcc, v18, v10
                                        ; implicit-def: $vgpr7
	s_and_saveexec_b64 s[28:29], vcc
; %bb.79:
	s_mov_b64 s[0:1], exec
	v_add_u32_e32 v7, v8, v14
; %bb.80:
	s_or_b64 exec, exec, s[28:29]
	s_and_b64 s[0:1], s[0:1], exec
                                        ; implicit-def: $vgpr6
	s_or_saveexec_b64 s[14:15], s[14:15]
	v_mov_b64_e32 v[2:3], 0
	s_xor_b64 exec, exec, s[14:15]
	s_cbranch_execz .LBB18_48
.LBB18_81:
	s_movk_i32 s17, 0x210
	v_mad_u32_u24 v0, v18, s17, v8
	ds_read_b128 v[0:3], v0
	v_add_u32_e32 v7, 48, v6
	s_or_b64 s[0:1], s[0:1], exec
	s_waitcnt lgkmcnt(0)
	v_xor_b32_e32 v3, 0x80000000, v3
	ds_write_b64 v6, v[0:1] offset:48
	s_or_b64 exec, exec, s[14:15]
	s_and_saveexec_b64 s[14:15], s[0:1]
	s_cbranch_execnz .LBB18_49
	s_branch .LBB18_50
.LBB18_82:
                                        ; implicit-def: $vgpr12_vgpr13
	s_cbranch_execz .LBB18_84
; %bb.83:
	s_lshl_b32 s14, s22, 3
	s_ashr_i32 s15, s14, 31
	s_ashr_i32 s23, s22, 31
	v_lshl_add_u64 v[6:7], s[14:15], 4, v[6:7]
	s_lshl_b64 s[14:15], s[22:23], 7
	global_load_dwordx4 v[20:23], v[4:5], off
	global_load_dwordx4 v[24:27], v[6:7], off offset:512
	v_lshl_add_u64 v[6:7], v[6:7], 0, s[14:15]
	v_lshl_add_u64 v[12:13], v[6:7], 0, s[14:15]
	global_load_dwordx4 v[28:31], v[6:7], off offset:512
	global_load_dwordx4 v[32:35], v[12:13], off offset:512
	s_movk_i32 s14, 0x210
	v_mad_u32_u24 v6, v11, s14, v8
	v_add_u32_e32 v12, 0x3180, v6
	v_add_u32_e32 v7, 0x1080, v6
	v_add_u32_e32 v9, 0x2100, v6
	s_waitcnt vmcnt(3)
	ds_write2_b64 v6, v[20:21], v[22:23] offset1:1
	s_waitcnt vmcnt(2)
	ds_write2_b64 v7, v[24:25], v[26:27] offset1:1
	;; [unrolled: 2-line block ×4, first 2 shown]
	v_mov_b64_e32 v[12:13], v[4:5]
.LBB18_84:
	v_mul_u32_u24_e32 v5, 0x840, v11
	s_mov_b64 s[14:15], 0
	s_waitcnt lgkmcnt(0)
	s_barrier
                                        ; implicit-def: $vgpr4
	s_and_saveexec_b64 s[30:31], s[4:5]
	s_xor_b64 s[4:5], exec, s[30:31]
	s_cbranch_execz .LBB18_88
; %bb.85:
	v_cmp_eq_u32_e32 vcc, v15, v10
                                        ; implicit-def: $vgpr4
	s_and_saveexec_b64 s[30:31], vcc
	s_xor_b64 s[30:31], exec, s[30:31]
; %bb.86:
	s_mov_b64 s[14:15], exec
	v_add_u32_e32 v4, v8, v14
; %bb.87:
	s_or_b64 exec, exec, s[30:31]
	s_and_b64 s[14:15], s[14:15], exec
.LBB18_88:
	s_or_saveexec_b64 s[4:5], s[4:5]
	v_mov_b64_e32 v[6:7], 0
	v_add_u32_e32 v32, v8, v5
	v_lshl_add_u32 v9, v15, 4, v43
	s_xor_b64 exec, exec, s[4:5]
	s_cbranch_execz .LBB18_90
; %bb.89:
	ds_read_b128 v[4:7], v32
	s_or_b64 s[14:15], s[14:15], exec
	s_waitcnt lgkmcnt(0)
	v_xor_b32_e32 v7, 0x80000000, v7
	ds_write_b64 v9, v[4:5]
	v_mov_b32_e32 v4, v9
.LBB18_90:
	s_or_b64 exec, exec, s[4:5]
	v_mul_u32_u24_e32 v5, 0x210, v16
	s_and_saveexec_b64 s[4:5], s[14:15]
; %bb.91:
	ds_write_b64 v4, v[6:7] offset:8
; %bb.92:
	s_or_b64 exec, exec, s[4:5]
	s_mov_b64 s[4:5], 0
	v_add_u32_e32 v45, v8, v5
                                        ; implicit-def: $vgpr6_vgpr7
                                        ; implicit-def: $vgpr15
	s_and_saveexec_b64 s[14:15], s[6:7]
	s_xor_b64 s[6:7], exec, s[14:15]
	s_cbranch_execnz .LBB18_124
; %bb.93:
	s_andn2_saveexec_b64 s[6:7], s[6:7]
	s_cbranch_execnz .LBB18_125
.LBB18_94:
	s_or_b64 exec, exec, s[6:7]
	s_and_saveexec_b64 s[6:7], s[4:5]
.LBB18_95:
	ds_write_b64 v15, v[6:7] offset:8
.LBB18_96:
	s_or_b64 exec, exec, s[6:7]
	s_mov_b64 s[4:5], 0
                                        ; implicit-def: $vgpr15
	s_and_saveexec_b64 s[6:7], s[8:9]
	s_xor_b64 s[6:7], exec, s[6:7]
	s_cbranch_execnz .LBB18_128
; %bb.97:
	s_or_saveexec_b64 s[6:7], s[6:7]
	v_mov_b64_e32 v[6:7], 0
	s_xor_b64 exec, exec, s[6:7]
	s_cbranch_execnz .LBB18_131
.LBB18_98:
	s_or_b64 exec, exec, s[6:7]
	s_and_saveexec_b64 s[6:7], s[4:5]
.LBB18_99:
	ds_write_b64 v15, v[6:7] offset:8
.LBB18_100:
	s_or_b64 exec, exec, s[6:7]
	s_mov_b64 s[4:5], 0
                                        ; implicit-def: $vgpr15
	s_and_saveexec_b64 s[6:7], s[10:11]
	s_xor_b64 s[6:7], exec, s[6:7]
	s_cbranch_execnz .LBB18_132
; %bb.101:
	s_or_saveexec_b64 s[6:7], s[6:7]
	v_mov_b64_e32 v[6:7], 0
	s_xor_b64 exec, exec, s[6:7]
	s_cbranch_execnz .LBB18_135
.LBB18_102:
	s_or_b64 exec, exec, s[6:7]
	v_add_u32_e32 v16, 0x4700, v19
	s_and_saveexec_b64 s[6:7], s[4:5]
.LBB18_103:
	ds_write_b64 v15, v[6:7] offset:8
.LBB18_104:
	s_or_b64 exec, exec, s[6:7]
	s_waitcnt lgkmcnt(0)
	s_barrier
	ds_read_b128 v[4:7], v32
	ds_read_b128 v[18:21], v16 offset:512
	ds_read_b128 v[22:25], v16 offset:528
	;; [unrolled: 1-line block ×5, first 2 shown]
	s_waitcnt lgkmcnt(4)
	v_mul_f64 v[14:15], v[20:21], v[6:7]
	v_mul_f64 v[6:7], v[18:19], v[6:7]
	ds_read_b128 v[54:57], v45
	v_fmac_f64_e32 v[6:7], v[20:21], v[4:5]
	v_fma_f64 v[14:15], v[18:19], v[4:5], -v[14:15]
	v_add_f64 v[18:19], v[6:7], 0
	ds_read_b128 v[4:7], v45 offset:528
	s_waitcnt lgkmcnt(1)
	v_mul_f64 v[20:21], v[24:25], v[56:57]
	v_add_f64 v[14:15], v[14:15], 0
	v_fma_f64 v[20:21], v[22:23], v[54:55], -v[20:21]
	v_mul_f64 v[22:23], v[22:23], v[56:57]
	v_fmac_f64_e32 v[22:23], v[24:25], v[54:55]
	v_add_f64 v[14:15], v[14:15], v[20:21]
	s_waitcnt lgkmcnt(0)
	v_mul_f64 v[20:21], v[28:29], v[6:7]
	v_mul_f64 v[6:7], v[26:27], v[6:7]
	v_add_f64 v[18:19], v[18:19], v[22:23]
	v_fma_f64 v[20:21], v[26:27], v[4:5], -v[20:21]
	v_fmac_f64_e32 v[6:7], v[28:29], v[4:5]
	v_add_f64 v[4:5], v[14:15], v[20:21]
	v_add_f64 v[6:7], v[18:19], v[6:7]
	v_mul_f64 v[14:15], v[48:49], v[52:53]
	v_mul_f64 v[18:19], v[46:47], v[52:53]
	v_fma_f64 v[14:15], v[46:47], v[50:51], -v[14:15]
	v_fmac_f64_e32 v[18:19], v[48:49], v[50:51]
	v_add_f64 v[4:5], v[4:5], v[14:15]
	v_add_f64 v[6:7], v[6:7], v[18:19]
	v_cmp_eq_u32_e64 s[4:5], 1, v11
	s_barrier
	ds_write_b128 v44, v[4:7]
	s_waitcnt lgkmcnt(0)
	s_barrier
	s_and_saveexec_b64 s[6:7], s[4:5]
	s_cbranch_execz .LBB18_106
; %bb.105:
	ds_read_b128 v[0:3], v43
	ds_read_b128 v[4:7], v43 offset:16
	ds_read_b128 v[18:21], v43 offset:32
	;; [unrolled: 1-line block ×3, first 2 shown]
	s_waitcnt lgkmcnt(2)
	v_add_f64 v[0:1], v[4:5], v[0:1]
	v_add_f64 v[4:5], v[6:7], v[2:3]
	s_waitcnt lgkmcnt(1)
	v_add_f64 v[6:7], v[0:1], v[18:19]
	ds_read_b128 v[0:3], v43 offset:64
	v_add_f64 v[4:5], v[4:5], v[20:21]
	s_waitcnt lgkmcnt(1)
	v_add_f64 v[14:15], v[6:7], v[22:23]
	v_add_f64 v[22:23], v[4:5], v[24:25]
	ds_read_b128 v[4:7], v43 offset:80
	ds_read_b128 v[18:21], v43 offset:96
	s_waitcnt lgkmcnt(2)
	v_add_f64 v[14:15], v[14:15], v[0:1]
	v_add_f64 v[22:23], v[22:23], v[2:3]
	ds_read_b128 v[0:3], v43 offset:112
	s_waitcnt lgkmcnt(2)
	v_add_f64 v[4:5], v[14:15], v[4:5]
	v_add_f64 v[6:7], v[22:23], v[6:7]
	s_waitcnt lgkmcnt(1)
	v_add_f64 v[4:5], v[4:5], v[18:19]
	v_add_f64 v[6:7], v[6:7], v[20:21]
	;; [unrolled: 3-line block ×3, first 2 shown]
.LBB18_106:
	s_or_b64 exec, exec, s[6:7]
	s_movk_i32 s6, 0xfe00
	s_mov_b32 s7, -1
	v_lshl_add_u64 v[4:5], v[12:13], 0, s[6:7]
	s_and_b64 vcc, exec, s[26:27]
	s_barrier
	s_cbranch_vccz .LBB18_136
; %bb.107:
	v_sub_co_u32_e32 v6, vcc, v12, v8
	s_ashr_i32 s17, s16, 31
	s_nop 0
	v_subbrev_co_u32_e32 v7, vcc, 0, v13, vcc
	s_movk_i32 s6, 0xfdf0
	v_lshl_add_u64 v[6:7], s[16:17], 4, v[6:7]
	s_mov_b32 s7, -1
	v_lshl_add_u64 v[6:7], v[6:7], 0, s[6:7]
	v_cmp_gt_i32_e32 vcc, s16, v10
	s_sub_i32 s8, s16, 32
	s_movk_i32 s9, 0x210
	v_cndmask_b32_e32 v7, v7, v5, vcc
	v_cndmask_b32_e32 v6, v6, v4, vcc
	v_cmp_le_i32_e64 s[6:7], s8, v11
	v_mad_u32_u24 v10, v11, s9, v8
	s_and_saveexec_b64 s[10:11], s[6:7]
	s_xor_b64 s[6:7], exec, s[10:11]
; %bb.108:
	v_mov_b32_e32 v18, 0
	v_mov_b32_e32 v19, v18
	;; [unrolled: 1-line block ×4, first 2 shown]
	ds_write_b128 v10, v[18:21]
                                        ; implicit-def: $vgpr10
; %bb.109:
	s_or_saveexec_b64 s[6:7], s[6:7]
	v_mul_u32_u24_e32 v9, 0x210, v11
	s_xor_b64 exec, exec, s[6:7]
	s_cbranch_execz .LBB18_111
; %bb.110:
	global_load_dwordx4 v[18:21], v[6:7], off
	s_waitcnt vmcnt(0)
	ds_write2_b64 v10, v[18:19], v[20:21] offset1:1
.LBB18_111:
	s_or_b64 exec, exec, s[6:7]
	v_add_u32_e32 v10, 8, v11
	v_cmp_le_i32_e64 s[6:7], s8, v10
	v_add_u32_e32 v17, v9, v8
	s_and_saveexec_b64 s[10:11], s[6:7]
	s_xor_b64 s[6:7], exec, s[10:11]
; %bb.112:
	v_mov_b32_e32 v18, 0
	v_mov_b32_e32 v19, v18
	;; [unrolled: 1-line block ×4, first 2 shown]
	ds_write_b128 v17, v[18:21] offset:4224
; %bb.113:
	s_andn2_saveexec_b64 s[6:7], s[6:7]
	s_cbranch_execz .LBB18_115
; %bb.114:
	s_lshl_b32 s10, s22, 3
	s_ashr_i32 s11, s10, 31
	v_lshl_add_u64 v[14:15], s[10:11], 4, v[6:7]
	global_load_dwordx4 v[18:21], v[14:15], off
	s_movk_i32 s9, 0x1080
	v_add3_u32 v14, v9, v8, s9
	s_waitcnt vmcnt(0)
	ds_write2_b64 v14, v[18:19], v[20:21] offset1:1
.LBB18_115:
	s_or_b64 exec, exec, s[6:7]
	v_add_u32_e32 v14, 16, v11
	v_cmp_le_i32_e64 s[6:7], s8, v14
	s_and_saveexec_b64 s[10:11], s[6:7]
	s_xor_b64 s[6:7], exec, s[10:11]
; %bb.116:
	v_mov_b32_e32 v18, 0
	v_mov_b32_e32 v19, v18
	;; [unrolled: 1-line block ×4, first 2 shown]
	ds_write_b128 v17, v[18:21] offset:8448
; %bb.117:
	s_andn2_saveexec_b64 s[6:7], s[6:7]
	s_cbranch_execz .LBB18_119
; %bb.118:
	s_lshl_b32 s10, s22, 4
	s_ashr_i32 s11, s10, 31
	v_lshl_add_u64 v[18:19], s[10:11], 4, v[6:7]
	global_load_dwordx4 v[18:21], v[18:19], off
	s_movk_i32 s9, 0x2100
	v_add3_u32 v15, v9, v8, s9
	s_waitcnt vmcnt(0)
	ds_write2_b64 v15, v[18:19], v[20:21] offset1:1
.LBB18_119:
	s_or_b64 exec, exec, s[6:7]
	v_add_u32_e32 v15, 24, v11
	v_cmp_le_i32_e64 s[6:7], s8, v15
	s_and_saveexec_b64 s[8:9], s[6:7]
	s_xor_b64 s[6:7], exec, s[8:9]
; %bb.120:
	v_mov_b32_e32 v18, 0
	v_mov_b32_e32 v19, v18
	;; [unrolled: 1-line block ×4, first 2 shown]
	ds_write_b128 v17, v[18:21] offset:12672
                                        ; implicit-def: $vgpr9
; %bb.121:
	s_andn2_saveexec_b64 s[6:7], s[6:7]
	s_cbranch_execz .LBB18_123
; %bb.122:
	s_mul_i32 s8, s22, 24
	s_ashr_i32 s9, s8, 31
	v_lshl_add_u64 v[18:19], s[8:9], 4, v[6:7]
	global_load_dwordx4 v[18:21], v[18:19], off
	s_movk_i32 s8, 0x3180
	v_add3_u32 v9, v9, v8, s8
	s_waitcnt vmcnt(0)
	ds_write2_b64 v9, v[18:19], v[20:21] offset1:1
.LBB18_123:
	s_or_b64 exec, exec, s[6:7]
	v_mov_b32_e32 v9, 0
	v_lshl_add_u64 v[6:7], v[6:7], 0, v[8:9]
	s_lshl_b64 s[6:7], s[16:17], 4
	v_mov_b32_e32 v9, s7
	v_subrev_co_u32_e64 v6, s[6:7], s6, v6
	s_nop 1
	v_subb_co_u32_e64 v7, s[6:7], v7, v9, s[6:7]
	v_lshl_add_u64 v[6:7], v[6:7], 0, 16
	v_cndmask_b32_e32 v41, v7, v5, vcc
	v_cndmask_b32_e32 v40, v6, v4, vcc
	s_branch .LBB18_138
.LBB18_124:
	ds_read_b128 v[4:7], v45
	s_mov_b64 s[4:5], exec
	v_add_u32_e32 v15, 16, v9
                                        ; implicit-def: $vgpr16
	s_waitcnt lgkmcnt(0)
	v_xor_b32_e32 v7, 0x80000000, v7
	ds_write_b64 v9, v[4:5] offset:16
	s_andn2_saveexec_b64 s[6:7], s[6:7]
	s_cbranch_execz .LBB18_94
.LBB18_125:
	v_cmp_eq_u32_e32 vcc, v16, v10
	s_mov_b64 s[14:15], s[4:5]
                                        ; implicit-def: $vgpr15
	s_and_saveexec_b64 s[30:31], vcc
; %bb.126:
	v_add_u32_e32 v15, v8, v14
	s_or_b64 s[14:15], s[4:5], exec
; %bb.127:
	s_or_b64 exec, exec, s[30:31]
	s_andn2_b64 s[4:5], s[4:5], exec
	s_and_b64 s[14:15], s[14:15], exec
	v_mov_b64_e32 v[6:7], 0
	s_or_b64 s[4:5], s[4:5], s[14:15]
	s_or_b64 exec, exec, s[6:7]
	s_and_saveexec_b64 s[6:7], s[4:5]
	s_cbranch_execnz .LBB18_95
	s_branch .LBB18_96
.LBB18_128:
	v_cmp_eq_u32_e32 vcc, v17, v10
                                        ; implicit-def: $vgpr15
	s_and_saveexec_b64 s[8:9], vcc
; %bb.129:
	s_mov_b64 s[4:5], exec
	v_add_u32_e32 v15, v8, v14
; %bb.130:
	s_or_b64 exec, exec, s[8:9]
	s_and_b64 s[4:5], s[4:5], exec
	s_or_saveexec_b64 s[6:7], s[6:7]
	v_mov_b64_e32 v[6:7], 0
	s_xor_b64 exec, exec, s[6:7]
	s_cbranch_execz .LBB18_98
.LBB18_131:
	ds_read_b128 v[4:7], v45 offset:528
	v_add_u32_e32 v15, 32, v9
	s_or_b64 s[4:5], s[4:5], exec
	s_waitcnt lgkmcnt(0)
	v_xor_b32_e32 v7, 0x80000000, v7
	ds_write_b64 v9, v[4:5] offset:32
	s_or_b64 exec, exec, s[6:7]
	s_and_saveexec_b64 s[6:7], s[4:5]
	s_cbranch_execnz .LBB18_99
	s_branch .LBB18_100
.LBB18_132:
	v_cmp_eq_u32_e32 vcc, v18, v10
                                        ; implicit-def: $vgpr15
	s_and_saveexec_b64 s[8:9], vcc
; %bb.133:
	s_mov_b64 s[4:5], exec
	v_add_u32_e32 v15, v8, v14
; %bb.134:
	s_or_b64 exec, exec, s[8:9]
	s_and_b64 s[4:5], s[4:5], exec
                                        ; implicit-def: $vgpr9
	s_or_saveexec_b64 s[6:7], s[6:7]
	v_mov_b64_e32 v[6:7], 0
	s_xor_b64 exec, exec, s[6:7]
	s_cbranch_execz .LBB18_102
.LBB18_135:
	ds_read_b128 v[4:7], v45 offset:1056
	v_add_u32_e32 v15, 48, v9
	s_or_b64 s[4:5], s[4:5], exec
	s_waitcnt lgkmcnt(0)
	v_xor_b32_e32 v7, 0x80000000, v7
	ds_write_b64 v9, v[4:5] offset:48
	s_or_b64 exec, exec, s[6:7]
	v_add_u32_e32 v16, 0x4700, v19
	s_and_saveexec_b64 s[6:7], s[4:5]
	s_cbranch_execnz .LBB18_103
	s_branch .LBB18_104
.LBB18_136:
                                        ; implicit-def: $vgpr40_vgpr41
                                        ; implicit-def: $vgpr10
                                        ; implicit-def: $vgpr14
                                        ; implicit-def: $vgpr15
	s_cbranch_execz .LBB18_138
; %bb.137:
	s_lshl_b32 s6, s22, 3
	s_ashr_i32 s7, s6, 31
	s_ashr_i32 s23, s22, 31
	v_lshl_add_u64 v[6:7], s[6:7], 4, v[12:13]
	s_lshl_b64 s[6:7], s[22:23], 7
	global_load_dwordx4 v[18:21], v[4:5], off
	global_load_dwordx4 v[22:25], v[6:7], off offset:-512
	v_lshl_add_u64 v[6:7], v[6:7], 0, s[6:7]
	v_lshl_add_u64 v[12:13], v[6:7], 0, s[6:7]
	global_load_dwordx4 v[26:29], v[6:7], off offset:-512
	global_load_dwordx4 v[46:49], v[12:13], off offset:-512
	s_movk_i32 s6, 0x210
	v_add_u32_e32 v10, 8, v11
	v_add_u32_e32 v14, 16, v11
	;; [unrolled: 1-line block ×3, first 2 shown]
	v_mad_u32_u24 v6, v11, s6, v8
	v_mov_b64_e32 v[40:41], v[4:5]
	v_add_u32_e32 v7, 0x1080, v6
	v_add_u32_e32 v8, 0x2100, v6
	v_add_u32_e32 v9, 0x3180, v6
	s_waitcnt vmcnt(3)
	ds_write2_b64 v6, v[18:19], v[20:21] offset1:1
	s_waitcnt vmcnt(2)
	ds_write2_b64 v7, v[22:23], v[24:25] offset1:1
	;; [unrolled: 2-line block ×4, first 2 shown]
.LBB18_138:
	v_lshlrev_b32_e32 v8, 4, v11
	v_add_u32_e32 v4, v43, v8
	v_lshlrev_b32_e32 v12, 4, v10
	s_waitcnt lgkmcnt(0)
	s_barrier
	ds_read_b128 v[4:7], v4
	ds_read_b128 v[22:25], v8 offset:18176
	v_add_u32_e32 v8, v43, v12
	v_lshlrev_b32_e32 v14, 4, v14
	ds_read_b128 v[8:11], v8
	ds_read_b128 v[46:49], v12 offset:18176
	v_add_u32_e32 v17, v43, v14
	ds_read_b128 v[50:53], v17
	ds_read_b128 v[54:57], v14 offset:18176
	v_lshlrev_b32_e32 v14, 4, v15
	v_add_u32_e32 v15, v43, v14
	ds_read_b128 v[58:61], v15
	ds_read_b128 v[62:65], v14 offset:18176
	s_waitcnt lgkmcnt(6)
	v_mul_f64 v[12:13], v[6:7], v[24:25]
	v_fmac_f64_e32 v[12:13], v[4:5], v[22:23]
	s_waitcnt lgkmcnt(4)
	v_mul_f64 v[18:19], v[10:11], v[48:49]
	v_add_f64 v[12:13], v[12:13], 0
	v_fmac_f64_e32 v[18:19], v[8:9], v[46:47]
	s_waitcnt lgkmcnt(2)
	v_mul_f64 v[14:15], v[52:53], v[56:57]
	v_mul_f64 v[6:7], v[6:7], v[22:23]
	v_add_f64 v[12:13], v[12:13], v[18:19]
	v_fmac_f64_e32 v[14:15], v[50:51], v[54:55]
	v_mul_f64 v[10:11], v[10:11], v[46:47]
	v_add_f64 v[12:13], v[12:13], v[14:15]
	s_waitcnt lgkmcnt(0)
	v_mul_f64 v[14:15], v[60:61], v[64:65]
	v_fma_f64 v[34:35], v[4:5], v[24:25], -v[6:7]
	v_fmac_f64_e32 v[14:15], v[58:59], v[62:63]
	v_fma_f64 v[8:9], v[8:9], v[48:49], -v[10:11]
	v_add_f64 v[10:11], v[34:35], 0
	v_add_f64 v[46:47], v[12:13], v[14:15]
	ds_read_b128 v[28:31], v16 offset:512
	ds_read_b128 v[20:23], v16 offset:528
	;; [unrolled: 1-line block ×4, first 2 shown]
	ds_read_b128 v[24:27], v45
	ds_read_b128 v[16:19], v45 offset:528
	v_add_f64 v[48:49], v[10:11], v[8:9]
	ds_read_b128 v[32:35], v32
	ds_read_b128 v[8:11], v45 offset:1056
	v_mul_f64 v[52:53], v[52:53], v[54:55]
	v_mul_f64 v[54:55], v[60:61], v[62:63]
	v_fma_f64 v[50:51], v[50:51], v[56:57], -v[52:53]
	v_add_f64 v[48:49], v[48:49], v[50:51]
	v_fma_f64 v[50:51], v[58:59], v[64:65], -v[54:55]
	v_add_f64 v[48:49], v[48:49], v[50:51]
	s_waitcnt lgkmcnt(0)
	s_barrier
	ds_write_b128 v44, v[46:49]
	s_waitcnt lgkmcnt(0)
	s_barrier
	s_and_saveexec_b64 s[6:7], s[4:5]
	s_cbranch_execz .LBB18_140
; %bb.139:
	ds_read_b128 v[46:49], v43
	ds_read_b128 v[50:53], v43 offset:16
	ds_read_b128 v[54:57], v43 offset:32
	;; [unrolled: 1-line block ×3, first 2 shown]
	s_waitcnt lgkmcnt(3)
	v_add_f64 v[0:1], v[0:1], v[46:47]
	v_add_f64 v[2:3], v[2:3], v[48:49]
	s_waitcnt lgkmcnt(2)
	v_add_f64 v[0:1], v[0:1], v[50:51]
	v_add_f64 v[46:47], v[2:3], v[52:53]
	s_waitcnt lgkmcnt(1)
	v_add_f64 v[48:49], v[0:1], v[54:55]
	ds_read_b128 v[0:3], v43 offset:64
	v_add_f64 v[46:47], v[46:47], v[56:57]
	s_waitcnt lgkmcnt(1)
	v_add_f64 v[50:51], v[48:49], v[58:59]
	v_add_f64 v[54:55], v[46:47], v[60:61]
	ds_read_b128 v[46:49], v43 offset:80
	s_waitcnt lgkmcnt(1)
	v_add_f64 v[56:57], v[50:51], v[0:1]
	ds_read_b128 v[50:53], v43 offset:96
	v_add_f64 v[54:55], v[54:55], v[2:3]
	ds_read_b128 v[0:3], v43 offset:112
	s_waitcnt lgkmcnt(2)
	v_add_f64 v[46:47], v[56:57], v[46:47]
	v_add_f64 v[48:49], v[54:55], v[48:49]
	s_waitcnt lgkmcnt(1)
	v_add_f64 v[46:47], v[46:47], v[50:51]
	v_add_f64 v[48:49], v[48:49], v[52:53]
	s_waitcnt lgkmcnt(0)
	v_add_f64 v[0:1], v[46:47], v[0:1]
	v_add_f64 v[2:3], v[48:49], v[2:3]
.LBB18_140:
	s_or_b64 exec, exec, s[6:7]
	v_mul_f64 v[46:47], v[30:31], v[34:35]
	v_fma_f64 v[46:47], v[28:29], v[32:33], -v[46:47]
	v_mul_f64 v[28:29], v[28:29], v[34:35]
	v_fmac_f64_e32 v[28:29], v[30:31], v[32:33]
	v_mul_f64 v[32:33], v[22:23], v[26:27]
	v_fma_f64 v[32:33], v[20:21], v[24:25], -v[32:33]
	v_mul_f64 v[20:21], v[20:21], v[26:27]
	v_fmac_f64_e32 v[20:21], v[22:23], v[24:25]
	v_mul_f64 v[24:25], v[14:15], v[18:19]
	v_add_f64 v[30:31], v[46:47], 0
	v_add_f64 v[28:29], v[28:29], 0
	v_fma_f64 v[24:25], v[12:13], v[16:17], -v[24:25]
	v_mul_f64 v[12:13], v[12:13], v[18:19]
	v_add_f64 v[22:23], v[30:31], v[32:33]
	v_add_f64 v[20:21], v[28:29], v[20:21]
	v_fmac_f64_e32 v[12:13], v[14:15], v[16:17]
	v_mul_f64 v[16:17], v[6:7], v[10:11]
	v_mul_f64 v[10:11], v[4:5], v[10:11]
	v_add_f64 v[14:15], v[22:23], v[24:25]
	v_add_f64 v[12:13], v[20:21], v[12:13]
	v_fma_f64 v[16:17], v[4:5], v[8:9], -v[16:17]
	v_fmac_f64_e32 v[10:11], v[6:7], v[8:9]
	v_add_f64 v[4:5], v[14:15], v[16:17]
	v_add_f64 v[6:7], v[12:13], v[10:11]
	s_barrier
	ds_write_b128 v44, v[4:7]
	s_waitcnt lgkmcnt(0)
	s_barrier
	s_and_saveexec_b64 s[4:5], s[0:1]
	s_cbranch_execz .LBB18_142
; %bb.141:
	ds_read_b128 v[4:7], v43
	ds_read_b128 v[8:11], v43 offset:16
	ds_read_b128 v[12:15], v43 offset:32
	;; [unrolled: 1-line block ×3, first 2 shown]
	s_waitcnt lgkmcnt(3)
	v_add_f64 v[0:1], v[0:1], v[4:5]
	v_add_f64 v[2:3], v[2:3], v[6:7]
	s_waitcnt lgkmcnt(2)
	v_add_f64 v[0:1], v[0:1], v[8:9]
	v_add_f64 v[4:5], v[2:3], v[10:11]
	s_waitcnt lgkmcnt(1)
	v_add_f64 v[6:7], v[0:1], v[12:13]
	ds_read_b128 v[0:3], v43 offset:64
	v_add_f64 v[4:5], v[4:5], v[14:15]
	s_waitcnt lgkmcnt(1)
	v_add_f64 v[8:9], v[6:7], v[16:17]
	v_add_f64 v[12:13], v[4:5], v[18:19]
	ds_read_b128 v[4:7], v43 offset:80
	s_waitcnt lgkmcnt(1)
	v_add_f64 v[14:15], v[8:9], v[0:1]
	ds_read_b128 v[8:11], v43 offset:96
	v_add_f64 v[12:13], v[12:13], v[2:3]
	ds_read_b128 v[0:3], v43 offset:112
	s_waitcnt lgkmcnt(2)
	v_add_f64 v[4:5], v[14:15], v[4:5]
	v_add_f64 v[6:7], v[12:13], v[6:7]
	s_waitcnt lgkmcnt(1)
	v_add_f64 v[4:5], v[4:5], v[8:9]
	v_add_f64 v[6:7], v[6:7], v[10:11]
	;; [unrolled: 3-line block ×3, first 2 shown]
.LBB18_142:
	s_or_b64 exec, exec, s[4:5]
	s_mul_hi_u32 s0, s36, s3
	s_mul_i32 s37, s37, s3
	s_add_i32 s0, s0, s37
	s_mul_i32 s3, s36, s3
	s_mul_i32 s0, s0, s33
	s_mul_hi_u32 s1, s3, s33
	s_add_i32 s1, s1, s0
	s_mul_i32 s0, s3, s33
	s_lshl_b64 s[0:1], s[0:1], 4
	s_add_u32 s3, s18, s0
	s_addc_u32 s4, s19, s1
	s_mul_hi_i32 s1, s36, s2
	s_mul_i32 s0, s36, s2
	s_lshl_b64 s[0:1], s[0:1], 4
	s_add_u32 s6, s3, s0
	s_addc_u32 s7, s4, s1
	s_add_i32 s8, s2, 1
	s_cmp_ge_u32 s8, s33
	v_lshlrev_b32_e32 v167, 4, v166
	s_barrier
	s_cbranch_scc1 .LBB18_200
; %bb.143:
	s_mul_i32 s0, s35, s24
	v_lshrrev_b32_e32 v6, 4, v42
	v_mov_b32_e32 v8, 0x4300
	s_ashr_i32 s1, s0, 31
	v_lshl_add_u32 v216, v165, 6, v8
	v_lshlrev_b32_e32 v8, 6, v6
	v_mul_i32_i24_e32 v26, 0xffffffd0, v6
	v_and_b32_e32 v6, 48, v166
	s_lshl_b64 s[0:1], s[0:1], 4
	v_and_b32_e32 v7, 15, v166
	s_movk_i32 s4, 0x430
	v_lshlrev_b32_e32 v6, 4, v6
	v_lshlrev_b32_e32 v214, 2, v165
	v_mov_b32_e32 v4, s1
	v_subrev_co_u32_e32 v168, vcc, s0, v36
	v_mad_u32_u24 v220, v7, s4, v6
	v_or_b32_e32 v6, 0xf0, v167
	v_subb_co_u32_e32 v169, vcc, v37, v4, vcc
	v_mad_u64_u32 v[4:5], s[0:1], s22, v214, v[166:167]
	v_mad_u32_u24 v219, v7, s4, v8
	v_mad_u32_u24 v221, v7, s4, v6
	v_lshlrev_b64 v[6:7], 4, v[38:39]
	v_ashrrev_i32_e32 v5, 31, v4
	v_sub_co_u32_e32 v170, vcc, 0, v6
	s_lshl_b32 s14, s22, 4
	s_mul_i32 s18, s22, 3
	v_subb_co_u32_e32 v171, vcc, 0, v7, vcc
	v_lshlrev_b64 v[6:7], 4, v[4:5]
	v_lshl_add_u64 v[4:5], s[28:29], 0, v[4:5]
	s_lshl_b32 s17, s35, 6
	s_ashr_i32 s15, s14, 31
	s_ashr_i32 s23, s22, 31
	s_lshl_b32 s24, s22, 1
	s_ashr_i32 s19, s18, 31
	s_mul_i32 s35, s35, s8
	v_lshlrev_b64 v[4:5], 4, v[4:5]
	s_add_i32 s3, s33, -2
	s_ashr_i32 s25, s24, 31
	s_lshl_b64 s[4:5], s[22:23], 4
	s_lshl_b32 s8, s35, 6
	s_lshl_b64 s[26:27], s[28:29], 4
	s_lshl_b64 s[10:11], s[14:15], 6
	s_mul_i32 s9, s22, 0x300
	v_mad_i64_i32 v[10:11], s[28:29], s14, 48, v[4:5]
	s_lshl_b64 s[18:19], s[18:19], 4
	s_lshl_b64 s[22:23], s[22:23], 5
	s_add_u32 s28, s22, s26
	s_addc_u32 s29, s23, s27
	s_mul_hi_i32 s30, s14, 48
	s_add_u32 s22, s9, s22
	s_addc_u32 s23, s30, s23
	v_lshl_add_u64 v[4:5], s[22:23], 0, v[4:5]
	s_add_u32 s22, s4, s26
	s_addc_u32 s23, s5, s27
	s_lshl_b64 s[24:25], s[24:25], 4
	s_add_u32 s30, s26, s24
	v_lshl_add_u64 v[14:15], v[10:11], 0, s[24:25]
	s_addc_u32 s31, s27, s25
	v_lshl_add_u64 v[176:177], v[40:41], 0, v[14:15]
	v_lshl_add_u64 v[14:15], s[30:31], 0, v[6:7]
	s_add_u32 s30, s26, s18
	v_lshl_add_u64 v[16:17], v[10:11], 0, s[4:5]
	s_addc_u32 s31, s27, s19
	v_lshl_add_u64 v[178:179], v[40:41], 0, v[16:17]
	v_lshl_add_u64 v[16:17], s[30:31], 0, v[6:7]
	s_lshl_b64 s[30:31], s[14:15], 4
	s_add_u32 s36, s26, s30
	s_addc_u32 s37, s27, s31
	s_lshl_b64 s[14:15], s[14:15], 5
	v_lshl_add_u64 v[8:9], s[26:27], 0, v[6:7]
	s_add_u32 s26, s14, s26
	s_addc_u32 s27, s15, s27
	v_lshl_add_u64 v[12:13], v[10:11], 0, s[18:19]
	s_add_u32 s38, s26, s18
	v_lshl_add_u64 v[172:173], v[40:41], 0, v[12:13]
	v_lshl_add_u64 v[12:13], s[28:29], 0, v[6:7]
	s_addc_u32 s39, s27, s19
	v_lshl_add_u64 v[174:175], v[40:41], 0, v[12:13]
	v_lshl_add_u64 v[12:13], s[22:23], 0, v[6:7]
	s_add_u32 s22, s22, s30
	s_addc_u32 s23, s23, s31
	s_add_u32 s14, s28, s14
	s_addc_u32 s15, s29, s15
	v_lshl_add_u64 v[20:21], s[14:15], 0, v[6:7]
	s_add_u32 s14, s36, s24
	s_addc_u32 s15, s37, s25
	v_lshl_add_u64 v[22:23], s[14:15], 0, v[6:7]
	;; [unrolled: 3-line block ×3, first 2 shown]
	s_add_u32 s14, s28, s30
	s_addc_u32 s15, s29, s31
	s_add_u32 s4, s26, s4
	v_lshl_add_u64 v[184:185], v[40:41], 0, v[24:25]
	v_lshl_add_u64 v[24:25], s[14:15], 0, v[6:7]
	s_addc_u32 s5, s27, s5
	v_lshl_add_u64 v[186:187], v[40:41], 0, v[24:25]
	v_lshl_add_u64 v[24:25], s[4:5], 0, v[6:7]
	s_add_u32 s4, s36, s18
	v_lshl_add_u64 v[18:19], s[38:39], 0, v[6:7]
	s_addc_u32 s5, s37, s19
	v_lshl_add_u64 v[180:181], v[40:41], 0, v[10:11]
	v_lshl_add_u64 v[10:11], s[36:37], 0, v[6:7]
	;; [unrolled: 1-line block ×7, first 2 shown]
	s_movk_i32 s0, 0x10c0
	v_lshl_add_u64 v[8:9], v[40:41], 0, v[8:9]
	v_lshl_add_u64 v[4:5], v[40:41], 0, v[4:5]
	;; [unrolled: 1-line block ×11, first 2 shown]
	v_mov_b32_e32 v238, 0
	v_add_u32_e32 v215, 0x4300, v167
	v_add_u32_e32 v217, 0x4700, v167
	v_mad_u32_u24 v218, v165, s0, v167
	v_cmp_gt_u32_e64 s[0:1], 64, v42
	v_or_b32_e32 v222, 1, v214
	v_or_b32_e32 v223, 2, v214
	;; [unrolled: 1-line block ×3, first 2 shown]
	v_add_u32_e32 v225, 16, v214
	v_add_u32_e32 v226, 17, v214
	;; [unrolled: 1-line block ×6, first 2 shown]
	v_lshl_add_u64 v[190:191], v[8:9], 0, 8
	v_lshl_add_u64 v[192:193], v[4:5], 0, 8
	;; [unrolled: 1-line block ×11, first 2 shown]
	v_add_u32_e32 v231, v219, v26
	v_mov_b32_e32 v239, v238
	v_mov_b32_e32 v240, v238
	v_mov_b32_e32 v241, v238
	v_add_u32_e32 v232, 34, v214
	v_add_u32_e32 v233, 35, v214
	;; [unrolled: 1-line block ×7, first 2 shown]
	s_cmp_eq_u32 s3, s2
	s_cselect_b32 s24, s34, 0
	s_and_saveexec_b64 s[4:5], s[12:13]
	s_cbranch_execz .LBB18_148
.LBB18_144:
	s_cmp_lg_u32 s24, 0
	s_cselect_b64 s[14:15], -1, 0
	v_cmp_le_i32_e32 vcc, s24, v166
	s_and_b64 s[14:15], s[14:15], vcc
	s_and_saveexec_b64 s[18:19], s[14:15]
	s_xor_b64 s[14:15], exec, s[18:19]
; %bb.145:
	ds_write_b128 v215, v[238:241]
; %bb.146:
	s_andn2_saveexec_b64 s[14:15], s[14:15]
	s_cbranch_execz .LBB18_148
; %bb.147:
	s_ashr_i32 s9, s8, 31
	v_lshl_add_u64 v[4:5], s[8:9], 4, v[168:169]
	global_load_dwordx4 v[4:7], v[4:5], off
	s_waitcnt vmcnt(0)
	ds_write2_b64 v215, v[4:5], v[6:7] offset1:1
.LBB18_148:                             ; =>This Inner Loop Header: Depth=1
	s_or_b64 exec, exec, s[4:5]
	s_cmp_eq_u32 s24, 0
	s_cselect_b64 s[14:15], -1, 0
	s_cmp_lg_u32 s24, 0
	s_cselect_b64 s[18:19], -1, 0
	v_lshl_add_u64 v[16:17], v[190:191], 0, v[170:171]
	s_and_b64 vcc, exec, s[18:19]
	s_waitcnt lgkmcnt(0)
	s_barrier
	s_cbranch_vccz .LBB18_156
; %bb.149:                              ;   in Loop: Header=BB18_148 Depth=1
	v_cmp_gt_i32_e32 vcc, s24, v214
	v_mov_b64_e32 v[8:9], 0
	v_mov_b64_e32 v[4:5], 0
	;; [unrolled: 1-line block ×3, first 2 shown]
	s_and_saveexec_b64 s[4:5], vcc
	s_cbranch_execz .LBB18_151
; %bb.150:                              ;   in Loop: Header=BB18_148 Depth=1
	global_load_dwordx4 v[4:7], v[16:17], off offset:-8
.LBB18_151:                             ;   in Loop: Header=BB18_148 Depth=1
	s_or_b64 exec, exec, s[4:5]
	v_cmp_gt_i32_e32 vcc, s24, v222
	v_mov_b64_e32 v[10:11], 0
	s_and_saveexec_b64 s[4:5], vcc
	s_cbranch_execz .LBB18_153
; %bb.152:                              ;   in Loop: Header=BB18_148 Depth=1
	v_lshl_add_u64 v[8:9], v[194:195], 0, v[170:171]
	global_load_dwordx4 v[8:11], v[8:9], off offset:-8
.LBB18_153:                             ;   in Loop: Header=BB18_148 Depth=1
	s_or_b64 exec, exec, s[4:5]
	v_cmp_gt_i32_e32 vcc, s24, v223
	v_mov_b64_e32 v[12:13], 0
	v_mov_b64_e32 v[14:15], 0
	s_and_saveexec_b64 s[4:5], vcc
	s_cbranch_execz .LBB18_155
; %bb.154:                              ;   in Loop: Header=BB18_148 Depth=1
	v_lshl_add_u64 v[12:13], v[196:197], 0, v[170:171]
	global_load_dwordx4 v[12:15], v[12:13], off offset:-8
.LBB18_155:                             ;   in Loop: Header=BB18_148 Depth=1
	s_or_b64 exec, exec, s[4:5]
	v_cmp_gt_i32_e64 s[4:5], s24, v224
	s_branch .LBB18_158
.LBB18_156:                             ;   in Loop: Header=BB18_148 Depth=1
	s_mov_b64 s[4:5], 0
                                        ; implicit-def: $vgpr14_vgpr15
                                        ; implicit-def: $vgpr10_vgpr11
                                        ; implicit-def: $vgpr6_vgpr7
	s_cbranch_execz .LBB18_158
; %bb.157:                              ;   in Loop: Header=BB18_148 Depth=1
	s_waitcnt vmcnt(0)
	v_lshl_add_u64 v[8:9], v[194:195], 0, v[170:171]
	v_lshl_add_u64 v[12:13], v[174:175], 0, v[170:171]
	global_load_dwordx4 v[4:7], v[16:17], off offset:-8
	s_or_b64 s[4:5], s[4:5], exec
	global_load_dwordx4 v[8:11], v[8:9], off offset:-8
	s_nop 0
	global_load_dwordx4 v[12:15], v[12:13], off
.LBB18_158:                             ;   in Loop: Header=BB18_148 Depth=1
	v_mov_b64_e32 v[16:17], 0
	v_mov_b64_e32 v[18:19], 0
	s_and_saveexec_b64 s[22:23], s[4:5]
	s_cbranch_execz .LBB18_160
; %bb.159:                              ;   in Loop: Header=BB18_148 Depth=1
	v_lshl_add_u64 v[16:17], v[198:199], 0, v[170:171]
	global_load_dwordx4 v[16:19], v[16:17], off offset:-8
.LBB18_160:                             ;   in Loop: Header=BB18_148 Depth=1
	s_or_b64 exec, exec, s[22:23]
	ds_read_b128 v[36:39], v217
	ds_read_b128 v[32:35], v216
	ds_read_b128 v[28:31], v216 offset:16
	ds_read_b128 v[24:27], v216 offset:32
	;; [unrolled: 1-line block ×3, first 2 shown]
	s_waitcnt vmcnt(0) lgkmcnt(4)
	v_mul_f64 v[40:41], v[6:7], v[38:39]
	v_mul_f64 v[42:43], v[6:7], v[36:37]
	v_fmac_f64_e32 v[40:41], v[4:5], v[36:37]
	v_fma_f64 v[42:43], v[4:5], v[38:39], -v[42:43]
	ds_write_b128 v218, v[40:43]
	v_mul_f64 v[40:41], v[10:11], v[38:39]
	v_mul_f64 v[42:43], v[10:11], v[36:37]
	v_fmac_f64_e32 v[40:41], v[8:9], v[36:37]
	v_fma_f64 v[42:43], v[8:9], v[38:39], -v[42:43]
	ds_write_b128 v218, v[40:43] offset:1072
	v_mul_f64 v[40:41], v[14:15], v[38:39]
	v_mul_f64 v[42:43], v[14:15], v[36:37]
	v_fmac_f64_e32 v[40:41], v[12:13], v[36:37]
	v_fma_f64 v[42:43], v[12:13], v[38:39], -v[42:43]
	ds_write_b128 v218, v[40:43] offset:2144
	v_mul_f64 v[40:41], v[18:19], v[38:39]
	v_fmac_f64_e32 v[40:41], v[16:17], v[36:37]
	v_mul_f64 v[36:37], v[18:19], v[36:37]
	v_fma_f64 v[42:43], v[16:17], v[38:39], -v[36:37]
	ds_write_b128 v218, v[40:43] offset:3216
	s_waitcnt lgkmcnt(0)
	s_barrier
	ds_read_b128 v[92:95], v219
	ds_read_b128 v[88:91], v219 offset:16
	ds_read_b128 v[84:87], v219 offset:32
	;; [unrolled: 1-line block ×3, first 2 shown]
	v_cndmask_b32_e64 v36, 0, 1, s[18:19]
	v_cmp_ne_u32_e64 s[4:5], 1, v36
	s_andn2_b64 vcc, exec, s[18:19]
	v_lshl_add_u64 v[48:49], v[200:201], 0, v[170:171]
	s_waitcnt lgkmcnt(0)
	s_barrier
	s_cbranch_vccnz .LBB18_168
; %bb.161:                              ;   in Loop: Header=BB18_148 Depth=1
	v_cmp_gt_i32_e32 vcc, s24, v225
	v_mov_b64_e32 v[40:41], 0
	v_mov_b64_e32 v[36:37], 0
	;; [unrolled: 1-line block ×3, first 2 shown]
	s_and_saveexec_b64 s[18:19], vcc
	s_cbranch_execz .LBB18_163
; %bb.162:                              ;   in Loop: Header=BB18_148 Depth=1
	global_load_dwordx4 v[36:39], v[48:49], off offset:-8
.LBB18_163:                             ;   in Loop: Header=BB18_148 Depth=1
	s_or_b64 exec, exec, s[18:19]
	v_cmp_gt_i32_e32 vcc, s24, v226
	v_mov_b64_e32 v[42:43], 0
	s_and_saveexec_b64 s[18:19], vcc
	s_cbranch_execz .LBB18_165
; %bb.164:                              ;   in Loop: Header=BB18_148 Depth=1
	v_lshl_add_u64 v[40:41], v[202:203], 0, v[170:171]
	global_load_dwordx4 v[40:43], v[40:41], off offset:-8
.LBB18_165:                             ;   in Loop: Header=BB18_148 Depth=1
	s_or_b64 exec, exec, s[18:19]
	v_cmp_gt_i32_e32 vcc, s24, v227
	v_mov_b64_e32 v[44:45], 0
	v_mov_b64_e32 v[46:47], 0
	s_and_saveexec_b64 s[18:19], vcc
	s_cbranch_execz .LBB18_167
; %bb.166:                              ;   in Loop: Header=BB18_148 Depth=1
	v_lshl_add_u64 v[44:45], v[206:207], 0, v[170:171]
	global_load_dwordx4 v[44:47], v[44:45], off offset:-8
.LBB18_167:                             ;   in Loop: Header=BB18_148 Depth=1
	s_or_b64 exec, exec, s[18:19]
	v_cmp_gt_i32_e64 s[18:19], s24, v228
	s_branch .LBB18_170
.LBB18_168:                             ;   in Loop: Header=BB18_148 Depth=1
	s_mov_b64 s[18:19], 0
                                        ; implicit-def: $vgpr46_vgpr47
                                        ; implicit-def: $vgpr42_vgpr43
                                        ; implicit-def: $vgpr38_vgpr39
	s_cbranch_execz .LBB18_170
; %bb.169:                              ;   in Loop: Header=BB18_148 Depth=1
	s_waitcnt vmcnt(0)
	v_lshl_add_u64 v[40:41], v[202:203], 0, v[170:171]
	v_lshl_add_u64 v[44:45], v[186:187], 0, v[170:171]
	global_load_dwordx4 v[36:39], v[48:49], off offset:-8
	s_or_b64 s[18:19], s[18:19], exec
	global_load_dwordx4 v[40:43], v[40:41], off offset:-8
	s_nop 0
	global_load_dwordx4 v[44:47], v[44:45], off
.LBB18_170:                             ;   in Loop: Header=BB18_148 Depth=1
	v_mov_b64_e32 v[48:49], 0
	v_mov_b64_e32 v[50:51], 0
	s_and_saveexec_b64 s[22:23], s[18:19]
	s_cbranch_execz .LBB18_172
; %bb.171:                              ;   in Loop: Header=BB18_148 Depth=1
	v_lshl_add_u64 v[48:49], v[208:209], 0, v[170:171]
	global_load_dwordx4 v[48:51], v[48:49], off offset:-8
.LBB18_172:                             ;   in Loop: Header=BB18_148 Depth=1
	s_or_b64 exec, exec, s[22:23]
	ds_read_b128 v[68:71], v217
	ds_read_b128 v[64:67], v216 offset:256
	ds_read_b128 v[60:63], v216 offset:272
	;; [unrolled: 1-line block ×4, first 2 shown]
	s_waitcnt vmcnt(0) lgkmcnt(4)
	v_mul_f64 v[72:73], v[38:39], v[70:71]
	v_mul_f64 v[74:75], v[38:39], v[68:69]
	v_fmac_f64_e32 v[72:73], v[36:37], v[68:69]
	v_fma_f64 v[74:75], v[36:37], v[70:71], -v[74:75]
	ds_write_b128 v218, v[72:75]
	v_mul_f64 v[72:73], v[42:43], v[70:71]
	v_mul_f64 v[74:75], v[42:43], v[68:69]
	v_fmac_f64_e32 v[72:73], v[40:41], v[68:69]
	v_fma_f64 v[74:75], v[40:41], v[70:71], -v[74:75]
	ds_write_b128 v218, v[72:75] offset:1072
	v_mul_f64 v[72:73], v[46:47], v[70:71]
	v_mul_f64 v[74:75], v[46:47], v[68:69]
	v_fmac_f64_e32 v[72:73], v[44:45], v[68:69]
	v_fma_f64 v[74:75], v[44:45], v[70:71], -v[74:75]
	ds_write_b128 v218, v[72:75] offset:2144
	v_mul_f64 v[72:73], v[50:51], v[70:71]
	v_fmac_f64_e32 v[72:73], v[48:49], v[68:69]
	v_mul_f64 v[68:69], v[50:51], v[68:69]
	v_fma_f64 v[74:75], v[48:49], v[70:71], -v[68:69]
	ds_write_b128 v218, v[72:75] offset:3216
	s_waitcnt lgkmcnt(0)
	s_barrier
	ds_read_b128 v[144:147], v219
	ds_read_b128 v[140:143], v219 offset:16
	ds_read_b128 v[136:139], v219 offset:32
	;; [unrolled: 1-line block ×3, first 2 shown]
	s_and_b64 vcc, exec, s[4:5]
	v_lshl_add_u64 v[96:97], v[210:211], 0, v[170:171]
	s_waitcnt lgkmcnt(0)
	s_barrier
	s_cbranch_vccnz .LBB18_180
; %bb.173:                              ;   in Loop: Header=BB18_148 Depth=1
	v_cmp_gt_i32_e32 vcc, s24, v229
	v_mov_b64_e32 v[72:73], 0
	v_mov_b64_e32 v[68:69], 0
	;; [unrolled: 1-line block ×3, first 2 shown]
	s_and_saveexec_b64 s[18:19], vcc
	s_cbranch_execz .LBB18_175
; %bb.174:                              ;   in Loop: Header=BB18_148 Depth=1
	global_load_dwordx4 v[68:71], v[96:97], off offset:-8
.LBB18_175:                             ;   in Loop: Header=BB18_148 Depth=1
	s_or_b64 exec, exec, s[18:19]
	v_cmp_gt_i32_e32 vcc, s24, v230
	v_mov_b64_e32 v[74:75], 0
	s_and_saveexec_b64 s[18:19], vcc
	s_cbranch_execz .LBB18_177
; %bb.176:                              ;   in Loop: Header=BB18_148 Depth=1
	v_lshl_add_u64 v[72:73], v[188:189], 0, v[170:171]
	global_load_dwordx4 v[72:75], v[72:73], off
.LBB18_177:                             ;   in Loop: Header=BB18_148 Depth=1
	s_or_b64 exec, exec, s[18:19]
	v_cmp_gt_i32_e32 vcc, s24, v232
	v_mov_b64_e32 v[76:77], 0
	v_mov_b64_e32 v[78:79], 0
	s_and_saveexec_b64 s[18:19], vcc
	s_cbranch_execz .LBB18_179
; %bb.178:                              ;   in Loop: Header=BB18_148 Depth=1
	v_lshl_add_u64 v[76:77], v[184:185], 0, v[170:171]
	global_load_dwordx4 v[76:79], v[76:77], off
.LBB18_179:                             ;   in Loop: Header=BB18_148 Depth=1
	s_or_b64 exec, exec, s[18:19]
	v_cmp_gt_i32_e64 s[18:19], s24, v233
	s_branch .LBB18_182
.LBB18_180:                             ;   in Loop: Header=BB18_148 Depth=1
	s_mov_b64 s[18:19], 0
                                        ; implicit-def: $vgpr78_vgpr79
                                        ; implicit-def: $vgpr74_vgpr75
                                        ; implicit-def: $vgpr70_vgpr71
	s_cbranch_execz .LBB18_182
; %bb.181:                              ;   in Loop: Header=BB18_148 Depth=1
	s_waitcnt vmcnt(0)
	v_lshl_add_u64 v[72:73], v[188:189], 0, v[170:171]
	v_lshl_add_u64 v[76:77], v[204:205], 0, v[170:171]
	global_load_dwordx4 v[68:71], v[96:97], off offset:-8
	s_or_b64 s[18:19], s[18:19], exec
	global_load_dwordx4 v[72:75], v[72:73], off
	s_nop 0
	global_load_dwordx4 v[76:79], v[76:77], off offset:-8
.LBB18_182:                             ;   in Loop: Header=BB18_148 Depth=1
	v_mov_b64_e32 v[96:97], 0
	v_mov_b64_e32 v[98:99], 0
	s_and_saveexec_b64 s[22:23], s[18:19]
	s_cbranch_execz .LBB18_184
; %bb.183:                              ;   in Loop: Header=BB18_148 Depth=1
	v_lshl_add_u64 v[96:97], v[182:183], 0, v[170:171]
	global_load_dwordx4 v[96:99], v[96:97], off
.LBB18_184:                             ;   in Loop: Header=BB18_148 Depth=1
	s_or_b64 exec, exec, s[22:23]
	ds_read_b128 v[116:119], v217
	ds_read_b128 v[112:115], v216 offset:512
	ds_read_b128 v[108:111], v216 offset:528
	;; [unrolled: 1-line block ×4, first 2 shown]
	s_waitcnt vmcnt(0) lgkmcnt(4)
	v_mul_f64 v[120:121], v[70:71], v[118:119]
	v_mul_f64 v[122:123], v[70:71], v[116:117]
	v_fmac_f64_e32 v[120:121], v[68:69], v[116:117]
	v_fma_f64 v[122:123], v[68:69], v[118:119], -v[122:123]
	ds_write_b128 v218, v[120:123]
	v_mul_f64 v[120:121], v[74:75], v[118:119]
	v_mul_f64 v[122:123], v[74:75], v[116:117]
	v_fmac_f64_e32 v[120:121], v[72:73], v[116:117]
	v_fma_f64 v[122:123], v[72:73], v[118:119], -v[122:123]
	ds_write_b128 v218, v[120:123] offset:1072
	v_mul_f64 v[120:121], v[78:79], v[118:119]
	v_mul_f64 v[122:123], v[78:79], v[116:117]
	v_fmac_f64_e32 v[120:121], v[76:77], v[116:117]
	v_fma_f64 v[122:123], v[76:77], v[118:119], -v[122:123]
	ds_write_b128 v218, v[120:123] offset:2144
	v_mul_f64 v[120:121], v[98:99], v[118:119]
	v_fmac_f64_e32 v[120:121], v[96:97], v[116:117]
	v_mul_f64 v[116:117], v[98:99], v[116:117]
	v_fma_f64 v[122:123], v[96:97], v[118:119], -v[116:117]
	ds_write_b128 v218, v[120:123] offset:3216
	s_waitcnt lgkmcnt(0)
	s_barrier
	ds_read_b128 v[160:163], v219
	ds_read_b128 v[156:159], v219 offset:16
	ds_read_b128 v[152:155], v219 offset:32
	;; [unrolled: 1-line block ×3, first 2 shown]
	s_and_b64 vcc, exec, s[4:5]
	v_lshl_add_u64 v[128:129], v[180:181], 0, v[170:171]
	s_waitcnt lgkmcnt(0)
	s_barrier
	s_cbranch_vccnz .LBB18_192
; %bb.185:                              ;   in Loop: Header=BB18_148 Depth=1
	v_cmp_gt_i32_e32 vcc, s24, v234
	v_mov_b64_e32 v[120:121], 0
	v_mov_b64_e32 v[116:117], 0
	;; [unrolled: 1-line block ×3, first 2 shown]
	s_and_saveexec_b64 s[4:5], vcc
	s_cbranch_execz .LBB18_187
; %bb.186:                              ;   in Loop: Header=BB18_148 Depth=1
	global_load_dwordx4 v[116:119], v[128:129], off
.LBB18_187:                             ;   in Loop: Header=BB18_148 Depth=1
	s_or_b64 exec, exec, s[4:5]
	v_cmp_gt_i32_e32 vcc, s24, v235
	v_mov_b64_e32 v[122:123], 0
	s_and_saveexec_b64 s[4:5], vcc
	s_cbranch_execz .LBB18_189
; %bb.188:                              ;   in Loop: Header=BB18_148 Depth=1
	v_lshl_add_u64 v[120:121], v[178:179], 0, v[170:171]
	global_load_dwordx4 v[120:123], v[120:121], off
.LBB18_189:                             ;   in Loop: Header=BB18_148 Depth=1
	s_or_b64 exec, exec, s[4:5]
	v_cmp_gt_i32_e32 vcc, s24, v236
	v_mov_b64_e32 v[124:125], 0
	v_mov_b64_e32 v[126:127], 0
	s_and_saveexec_b64 s[4:5], vcc
	s_cbranch_execz .LBB18_191
; %bb.190:                              ;   in Loop: Header=BB18_148 Depth=1
	v_lshl_add_u64 v[124:125], v[176:177], 0, v[170:171]
	global_load_dwordx4 v[124:127], v[124:125], off
.LBB18_191:                             ;   in Loop: Header=BB18_148 Depth=1
	s_or_b64 exec, exec, s[4:5]
	v_cmp_gt_i32_e64 s[4:5], s24, v237
	s_branch .LBB18_194
.LBB18_192:                             ;   in Loop: Header=BB18_148 Depth=1
	s_mov_b64 s[4:5], 0
                                        ; implicit-def: $vgpr126_vgpr127
                                        ; implicit-def: $vgpr122_vgpr123
                                        ; implicit-def: $vgpr118_vgpr119
	s_cbranch_execz .LBB18_194
; %bb.193:                              ;   in Loop: Header=BB18_148 Depth=1
	s_waitcnt vmcnt(0)
	v_lshl_add_u64 v[120:121], v[178:179], 0, v[170:171]
	v_lshl_add_u64 v[124:125], v[192:193], 0, v[170:171]
	global_load_dwordx4 v[116:119], v[128:129], off
	s_or_b64 s[4:5], s[4:5], exec
	global_load_dwordx4 v[120:123], v[120:121], off
	s_nop 0
	global_load_dwordx4 v[124:127], v[124:125], off offset:-8
.LBB18_194:                             ;   in Loop: Header=BB18_148 Depth=1
	v_mov_b64_e32 v[128:129], 0
	v_mov_b64_e32 v[130:131], 0
	s_and_saveexec_b64 s[18:19], s[4:5]
	s_cbranch_execz .LBB18_196
; %bb.195:                              ;   in Loop: Header=BB18_148 Depth=1
	v_lshl_add_u64 v[128:129], v[172:173], 0, v[170:171]
	global_load_dwordx4 v[128:131], v[128:129], off
.LBB18_196:                             ;   in Loop: Header=BB18_148 Depth=1
	s_or_b64 exec, exec, s[18:19]
	v_add_f64 v[160:161], v[160:161], 0
	v_add_f64 v[144:145], v[144:145], 0
	v_add_f64 v[146:147], v[146:147], 0
	v_add_f64 v[92:93], v[92:93], 0
	v_add_f64 v[156:157], v[160:161], v[156:157]
	v_add_f64 v[140:141], v[144:145], v[140:141]
	v_add_f64 v[142:143], v[146:147], v[142:143]
	v_add_f64 v[94:95], v[94:95], 0
	v_add_f64 v[88:89], v[92:93], v[88:89]
	v_add_f64 v[152:153], v[156:157], v[152:153]
	v_add_f64 v[136:137], v[140:141], v[136:137]
	v_add_f64 v[138:139], v[142:143], v[138:139]
	v_add_f64 v[90:91], v[94:95], v[90:91]
	v_add_f64 v[84:85], v[88:89], v[84:85]
	v_add_f64 v[148:149], v[152:153], v[148:149]
	v_add_f64 v[136:137], v[136:137], v[132:133]
	v_add_f64 v[138:139], v[138:139], v[134:135]
	v_add_f64 v[152:153], v[90:91], v[86:87]
	v_add_f64 v[80:81], v[84:85], v[80:81]
	ds_read_b128 v[140:143], v217
	ds_read_b128 v[132:135], v216 offset:768
	ds_read_b128 v[92:95], v216 offset:784
	;; [unrolled: 1-line block ×4, first 2 shown]
	s_waitcnt vmcnt(0) lgkmcnt(4)
	v_mul_f64 v[144:145], v[118:119], v[142:143]
	v_mul_f64 v[146:147], v[118:119], v[140:141]
	v_fmac_f64_e32 v[144:145], v[116:117], v[140:141]
	v_fma_f64 v[146:147], v[116:117], v[142:143], -v[146:147]
	ds_write_b128 v218, v[144:147]
	v_mul_f64 v[144:145], v[122:123], v[142:143]
	v_mul_f64 v[146:147], v[122:123], v[140:141]
	v_fmac_f64_e32 v[144:145], v[120:121], v[140:141]
	v_fma_f64 v[146:147], v[120:121], v[142:143], -v[146:147]
	ds_write_b128 v218, v[144:147] offset:1072
	v_mul_f64 v[144:145], v[126:127], v[142:143]
	v_mul_f64 v[146:147], v[126:127], v[140:141]
	v_fmac_f64_e32 v[144:145], v[124:125], v[140:141]
	v_fma_f64 v[146:147], v[124:125], v[142:143], -v[146:147]
	ds_write_b128 v218, v[144:147] offset:2144
	v_mul_f64 v[144:145], v[130:131], v[142:143]
	v_fmac_f64_e32 v[144:145], v[128:129], v[140:141]
	v_mul_f64 v[140:141], v[130:131], v[140:141]
	v_fma_f64 v[146:147], v[128:129], v[142:143], -v[140:141]
	v_add_f64 v[162:163], v[162:163], 0
	ds_write_b128 v218, v[144:147] offset:3216
	s_waitcnt lgkmcnt(0)
	s_barrier
	ds_read_b128 v[140:143], v219
	v_add_f64 v[158:159], v[162:163], v[158:159]
	v_add_f64 v[154:155], v[158:159], v[154:155]
	v_add_f64 v[150:151], v[154:155], v[150:151]
	v_add_f64 v[82:83], v[152:153], v[82:83]
	ds_read_b128 v[144:147], v219 offset:16
	ds_read_b128 v[152:155], v219 offset:32
	;; [unrolled: 1-line block ×3, first 2 shown]
	s_waitcnt lgkmcnt(3)
	v_add_f64 v[140:141], v[140:141], 0
	v_add_f64 v[142:143], v[142:143], 0
	v_cmp_gt_i32_e32 vcc, s24, v166
	s_waitcnt lgkmcnt(2)
	v_add_f64 v[140:141], v[140:141], v[144:145]
	v_add_f64 v[142:143], v[142:143], v[146:147]
	s_or_b64 s[4:5], s[14:15], vcc
	s_waitcnt lgkmcnt(1)
	v_add_f64 v[140:141], v[140:141], v[152:153]
	v_add_f64 v[142:143], v[142:143], v[154:155]
	s_and_b64 s[14:15], s[0:1], s[4:5]
	s_waitcnt lgkmcnt(0)
	v_add_f64 v[140:141], v[140:141], v[156:157]
	v_add_f64 v[142:143], v[142:143], v[158:159]
	s_barrier
	ds_write_b128 v231, v[80:83]
	ds_write_b128 v231, v[136:139] offset:256
	ds_write_b128 v231, v[148:151] offset:512
	;; [unrolled: 1-line block ×3, first 2 shown]
	s_waitcnt lgkmcnt(0)
	s_barrier
	s_and_saveexec_b64 s[4:5], s[14:15]
	s_cbranch_execz .LBB18_198
; %bb.197:                              ;   in Loop: Header=BB18_148 Depth=1
	ds_read_b128 v[80:83], v220
	ds_read_b128 v[136:139], v220 offset:16
	ds_read_b128 v[140:143], v220 offset:32
	;; [unrolled: 1-line block ×3, first 2 shown]
	v_ashrrev_i32_e32 v213, 31, v212
	s_waitcnt lgkmcnt(2)
	v_add_f64 v[80:81], v[136:137], v[80:81]
	v_add_f64 v[136:137], v[138:139], v[82:83]
	s_waitcnt lgkmcnt(1)
	v_add_f64 v[138:139], v[80:81], v[140:141]
	ds_read_b128 v[80:83], v220 offset:64
	v_add_f64 v[140:141], v[136:137], v[142:143]
	s_waitcnt lgkmcnt(1)
	v_add_f64 v[142:143], v[138:139], v[144:145]
	ds_read_b128 v[136:139], v220 offset:80
	;; [unrolled: 4-line block ×9, first 2 shown]
	v_add_f64 v[82:83], v[144:145], v[82:83]
	s_waitcnt lgkmcnt(1)
	v_add_f64 v[136:137], v[80:81], v[136:137]
	v_add_f64 v[144:145], v[82:83], v[138:139]
	ds_read_b128 v[80:83], v220 offset:208
	s_waitcnt lgkmcnt(1)
	v_add_f64 v[146:147], v[136:137], v[140:141]
	ds_read_b128 v[136:139], v220 offset:224
	v_add_f64 v[144:145], v[144:145], v[142:143]
	ds_read_b128 v[140:143], v221
	s_waitcnt lgkmcnt(2)
	v_add_f64 v[80:81], v[146:147], v[80:81]
	v_add_f64 v[82:83], v[144:145], v[82:83]
	s_waitcnt lgkmcnt(1)
	v_add_f64 v[80:81], v[80:81], v[136:137]
	v_add_f64 v[82:83], v[82:83], v[138:139]
	;; [unrolled: 3-line block ×3, first 2 shown]
	v_lshl_add_u64 v[136:137], v[212:213], 4, s[6:7]
	global_store_dwordx4 v[136:137], v[80:83], off
.LBB18_198:                             ;   in Loop: Header=BB18_148 Depth=1
	s_or_b64 exec, exec, s[4:5]
	s_nop 0
	v_mul_f64 v[80:81], v[6:7], v[34:35]
	v_fma_f64 v[80:81], v[4:5], v[32:33], -v[80:81]
	v_mul_f64 v[4:5], v[4:5], v[34:35]
	v_mul_f64 v[34:35], v[10:11], v[30:31]
	v_add_f64 v[0:1], v[0:1], v[80:81]
	v_fma_f64 v[34:35], v[8:9], v[28:29], -v[34:35]
	v_mul_f64 v[8:9], v[8:9], v[30:31]
	v_mul_f64 v[30:31], v[14:15], v[26:27]
	v_add_f64 v[0:1], v[0:1], v[34:35]
	v_fma_f64 v[30:31], v[12:13], v[24:25], -v[30:31]
	v_mul_f64 v[12:13], v[12:13], v[26:27]
	v_mul_f64 v[26:27], v[18:19], v[22:23]
	v_fmac_f64_e32 v[4:5], v[6:7], v[32:33]
	v_add_f64 v[0:1], v[0:1], v[30:31]
	v_fma_f64 v[26:27], v[16:17], v[20:21], -v[26:27]
	v_add_f64 v[2:3], v[2:3], v[4:5]
	v_mul_f64 v[4:5], v[38:39], v[66:67]
	v_add_f64 v[0:1], v[0:1], v[26:27]
	v_fma_f64 v[4:5], v[36:37], v[64:65], -v[4:5]
	v_add_f64 v[0:1], v[0:1], v[4:5]
	v_mul_f64 v[4:5], v[42:43], v[62:63]
	v_fma_f64 v[4:5], v[40:41], v[60:61], -v[4:5]
	v_add_f64 v[0:1], v[0:1], v[4:5]
	v_mul_f64 v[4:5], v[46:47], v[58:59]
	;; [unrolled: 3-line block ×4, first 2 shown]
	v_fmac_f64_e32 v[8:9], v[10:11], v[28:29]
	v_fma_f64 v[4:5], v[68:69], v[112:113], -v[4:5]
	v_mul_f64 v[16:17], v[16:17], v[22:23]
	v_add_f64 v[2:3], v[2:3], v[8:9]
	v_fmac_f64_e32 v[12:13], v[14:15], v[24:25]
	v_add_f64 v[0:1], v[0:1], v[4:5]
	v_mul_f64 v[4:5], v[74:75], v[110:111]
	v_add_f64 v[2:3], v[2:3], v[12:13]
	v_fmac_f64_e32 v[16:17], v[18:19], v[20:21]
	v_mul_f64 v[6:7], v[36:37], v[66:67]
	v_fma_f64 v[4:5], v[72:73], v[108:109], -v[4:5]
	v_add_f64 v[2:3], v[2:3], v[16:17]
	v_mul_f64 v[8:9], v[40:41], v[62:63]
	v_fmac_f64_e32 v[6:7], v[38:39], v[64:65]
	v_add_f64 v[0:1], v[0:1], v[4:5]
	v_mul_f64 v[4:5], v[78:79], v[106:107]
	v_mul_f64 v[10:11], v[44:45], v[58:59]
	v_add_f64 v[2:3], v[2:3], v[6:7]
	v_fmac_f64_e32 v[8:9], v[42:43], v[60:61]
	v_fma_f64 v[4:5], v[76:77], v[104:105], -v[4:5]
	v_mul_f64 v[12:13], v[48:49], v[54:55]
	v_add_f64 v[2:3], v[2:3], v[8:9]
	v_fmac_f64_e32 v[10:11], v[46:47], v[56:57]
	v_add_f64 v[0:1], v[0:1], v[4:5]
	v_mul_f64 v[4:5], v[98:99], v[102:103]
	v_add_f64 v[2:3], v[2:3], v[10:11]
	v_fmac_f64_e32 v[12:13], v[50:51], v[52:53]
	v_mul_f64 v[6:7], v[68:69], v[114:115]
	v_fma_f64 v[4:5], v[96:97], v[100:101], -v[4:5]
	v_add_f64 v[2:3], v[2:3], v[12:13]
	v_mul_f64 v[8:9], v[72:73], v[110:111]
	v_add_f64 v[0:1], v[0:1], v[4:5]
	v_fmac_f64_e32 v[6:7], v[70:71], v[112:113]
	v_mul_f64 v[4:5], v[118:119], v[134:135]
	v_mul_f64 v[10:11], v[76:77], v[106:107]
	v_add_f64 v[2:3], v[2:3], v[6:7]
	v_fmac_f64_e32 v[8:9], v[74:75], v[108:109]
	v_fma_f64 v[4:5], v[116:117], v[132:133], -v[4:5]
	v_mul_f64 v[12:13], v[96:97], v[102:103]
	v_add_f64 v[2:3], v[2:3], v[8:9]
	v_fmac_f64_e32 v[10:11], v[78:79], v[104:105]
	v_add_f64 v[0:1], v[0:1], v[4:5]
	v_mul_f64 v[4:5], v[122:123], v[94:95]
	v_add_f64 v[2:3], v[2:3], v[10:11]
	v_fmac_f64_e32 v[12:13], v[98:99], v[100:101]
	v_mul_f64 v[6:7], v[116:117], v[134:135]
	v_fma_f64 v[4:5], v[120:121], v[92:93], -v[4:5]
	v_add_f64 v[2:3], v[2:3], v[12:13]
	v_mul_f64 v[8:9], v[120:121], v[94:95]
	v_add_f64 v[0:1], v[0:1], v[4:5]
	v_mul_f64 v[4:5], v[126:127], v[90:91]
	v_fmac_f64_e32 v[6:7], v[118:119], v[132:133]
	v_fma_f64 v[4:5], v[124:125], v[88:89], -v[4:5]
	v_mul_f64 v[10:11], v[124:125], v[90:91]
	v_fmac_f64_e32 v[8:9], v[122:123], v[92:93]
	v_add_f64 v[2:3], v[2:3], v[6:7]
	v_add_f64 v[0:1], v[0:1], v[4:5]
	v_mul_f64 v[4:5], v[130:131], v[86:87]
	v_mul_f64 v[12:13], v[128:129], v[86:87]
	v_fmac_f64_e32 v[10:11], v[126:127], v[88:89]
	v_add_f64 v[2:3], v[2:3], v[8:9]
	v_fma_f64 v[4:5], v[128:129], v[84:85], -v[4:5]
	v_fmac_f64_e32 v[12:13], v[130:131], v[84:85]
	v_add_f64 v[2:3], v[2:3], v[10:11]
	s_add_i32 s4, s2, 1
	s_add_i32 s8, s8, s17
	;; [unrolled: 1-line block ×3, first 2 shown]
	v_add_f64 v[0:1], v[0:1], v[4:5]
	v_add_f64 v[2:3], v[2:3], v[12:13]
	v_add_u32_e32 v212, 64, v212
	v_lshl_add_u64 v[190:191], v[190:191], 0, s[10:11]
	v_lshl_add_u64 v[172:173], v[172:173], 0, s[10:11]
	v_lshl_add_u64 v[174:175], v[174:175], 0, s[10:11]
	v_lshl_add_u64 v[192:193], v[192:193], 0, s[10:11]
	v_lshl_add_u64 v[194:195], v[194:195], 0, s[10:11]
	v_lshl_add_u64 v[176:177], v[176:177], 0, s[10:11]
	v_lshl_add_u64 v[196:197], v[196:197], 0, s[10:11]
	v_lshl_add_u64 v[178:179], v[178:179], 0, s[10:11]
	v_lshl_add_u64 v[198:199], v[198:199], 0, s[10:11]
	v_lshl_add_u64 v[180:181], v[180:181], 0, s[10:11]
	v_lshl_add_u64 v[200:201], v[200:201], 0, s[10:11]
	v_lshl_add_u64 v[182:183], v[182:183], 0, s[10:11]
	v_lshl_add_u64 v[202:203], v[202:203], 0, s[10:11]
	v_lshl_add_u64 v[204:205], v[204:205], 0, s[10:11]
	v_lshl_add_u64 v[206:207], v[206:207], 0, s[10:11]
	v_lshl_add_u64 v[184:185], v[184:185], 0, s[10:11]
	v_lshl_add_u64 v[186:187], v[186:187], 0, s[10:11]
	v_lshl_add_u64 v[188:189], v[188:189], 0, s[10:11]
	v_lshl_add_u64 v[208:209], v[208:209], 0, s[10:11]
	s_cmp_ge_u32 s2, s33
	v_lshl_add_u64 v[210:211], v[210:211], 0, s[10:11]
	s_barrier
	s_cbranch_scc1 .LBB18_200
; %bb.199:                              ;   in Loop: Header=BB18_148 Depth=1
	s_mov_b32 s2, s4
	s_cmp_eq_u32 s3, s2
	s_cselect_b32 s24, s34, 0
	s_and_saveexec_b64 s[4:5], s[12:13]
	s_cbranch_execnz .LBB18_144
	s_branch .LBB18_148
.LBB18_200:
	s_movk_i32 s0, 0x430
	v_cmp_gt_i32_e32 vcc, s16, v166
	v_mad_u32_u24 v4, v165, s0, v167
	s_or_b64 s[0:1], s[20:21], vcc
	s_and_b64 s[0:1], s[12:13], s[0:1]
	ds_write_b128 v4, v[0:3]
	s_waitcnt lgkmcnt(0)
	s_barrier
	s_and_saveexec_b64 s[2:3], s[0:1]
	s_cbranch_execz .LBB18_202
; %bb.201:
	ds_read_b128 v[0:3], v167 offset:1072
	ds_read_b128 v[4:7], v167
	ds_read_b128 v[8:11], v167 offset:2144
	ds_read_b128 v[12:15], v167 offset:3216
	v_ashrrev_i32_e32 v165, 31, v164
	s_waitcnt lgkmcnt(2)
	v_add_f64 v[0:1], v[0:1], v[4:5]
	v_add_f64 v[2:3], v[2:3], v[6:7]
	s_waitcnt lgkmcnt(1)
	v_add_f64 v[0:1], v[0:1], v[8:9]
	v_add_f64 v[2:3], v[2:3], v[10:11]
	;; [unrolled: 3-line block ×3, first 2 shown]
	v_lshl_add_u64 v[4:5], v[164:165], 4, s[6:7]
	global_store_dwordx4 v[4:5], v[0:3], off
.LBB18_202:
	s_endpgm
	.section	.rodata,"a",@progbits
	.p2align	6, 0x0
	.amdhsa_kernel _ZL26rocblas_hemvn_kernel_upperILb1ELi64ELi4ELi33ELi32ELi16EiPK19rocblas_complex_numIdES3_PS1_EviT6_lT7_lT5_lS6_lS7_lS5_lT8_i
		.amdhsa_group_segment_fixed_size 19200
		.amdhsa_private_segment_fixed_size 0
		.amdhsa_kernarg_size 376
		.amdhsa_user_sgpr_count 2
		.amdhsa_user_sgpr_dispatch_ptr 0
		.amdhsa_user_sgpr_queue_ptr 0
		.amdhsa_user_sgpr_kernarg_segment_ptr 1
		.amdhsa_user_sgpr_dispatch_id 0
		.amdhsa_user_sgpr_kernarg_preload_length 0
		.amdhsa_user_sgpr_kernarg_preload_offset 0
		.amdhsa_user_sgpr_private_segment_size 0
		.amdhsa_uses_dynamic_stack 0
		.amdhsa_enable_private_segment 0
		.amdhsa_system_sgpr_workgroup_id_x 1
		.amdhsa_system_sgpr_workgroup_id_y 0
		.amdhsa_system_sgpr_workgroup_id_z 1
		.amdhsa_system_sgpr_workgroup_info 0
		.amdhsa_system_vgpr_workitem_id 1
		.amdhsa_next_free_vgpr 242
		.amdhsa_next_free_sgpr 40
		.amdhsa_accum_offset 244
		.amdhsa_reserve_vcc 1
		.amdhsa_float_round_mode_32 0
		.amdhsa_float_round_mode_16_64 0
		.amdhsa_float_denorm_mode_32 3
		.amdhsa_float_denorm_mode_16_64 3
		.amdhsa_dx10_clamp 1
		.amdhsa_ieee_mode 1
		.amdhsa_fp16_overflow 0
		.amdhsa_tg_split 0
		.amdhsa_exception_fp_ieee_invalid_op 0
		.amdhsa_exception_fp_denorm_src 0
		.amdhsa_exception_fp_ieee_div_zero 0
		.amdhsa_exception_fp_ieee_overflow 0
		.amdhsa_exception_fp_ieee_underflow 0
		.amdhsa_exception_fp_ieee_inexact 0
		.amdhsa_exception_int_div_zero 0
	.end_amdhsa_kernel
	.section	.text._ZL26rocblas_hemvn_kernel_upperILb1ELi64ELi4ELi33ELi32ELi16EiPK19rocblas_complex_numIdES3_PS1_EviT6_lT7_lT5_lS6_lS7_lS5_lT8_i,"axG",@progbits,_ZL26rocblas_hemvn_kernel_upperILb1ELi64ELi4ELi33ELi32ELi16EiPK19rocblas_complex_numIdES3_PS1_EviT6_lT7_lT5_lS6_lS7_lS5_lT8_i,comdat
.Lfunc_end18:
	.size	_ZL26rocblas_hemvn_kernel_upperILb1ELi64ELi4ELi33ELi32ELi16EiPK19rocblas_complex_numIdES3_PS1_EviT6_lT7_lT5_lS6_lS7_lS5_lT8_i, .Lfunc_end18-_ZL26rocblas_hemvn_kernel_upperILb1ELi64ELi4ELi33ELi32ELi16EiPK19rocblas_complex_numIdES3_PS1_EviT6_lT7_lT5_lS6_lS7_lS5_lT8_i
                                        ; -- End function
	.set _ZL26rocblas_hemvn_kernel_upperILb1ELi64ELi4ELi33ELi32ELi16EiPK19rocblas_complex_numIdES3_PS1_EviT6_lT7_lT5_lS6_lS7_lS5_lT8_i.num_vgpr, 242
	.set _ZL26rocblas_hemvn_kernel_upperILb1ELi64ELi4ELi33ELi32ELi16EiPK19rocblas_complex_numIdES3_PS1_EviT6_lT7_lT5_lS6_lS7_lS5_lT8_i.num_agpr, 0
	.set _ZL26rocblas_hemvn_kernel_upperILb1ELi64ELi4ELi33ELi32ELi16EiPK19rocblas_complex_numIdES3_PS1_EviT6_lT7_lT5_lS6_lS7_lS5_lT8_i.numbered_sgpr, 40
	.set _ZL26rocblas_hemvn_kernel_upperILb1ELi64ELi4ELi33ELi32ELi16EiPK19rocblas_complex_numIdES3_PS1_EviT6_lT7_lT5_lS6_lS7_lS5_lT8_i.num_named_barrier, 0
	.set _ZL26rocblas_hemvn_kernel_upperILb1ELi64ELi4ELi33ELi32ELi16EiPK19rocblas_complex_numIdES3_PS1_EviT6_lT7_lT5_lS6_lS7_lS5_lT8_i.private_seg_size, 0
	.set _ZL26rocblas_hemvn_kernel_upperILb1ELi64ELi4ELi33ELi32ELi16EiPK19rocblas_complex_numIdES3_PS1_EviT6_lT7_lT5_lS6_lS7_lS5_lT8_i.uses_vcc, 1
	.set _ZL26rocblas_hemvn_kernel_upperILb1ELi64ELi4ELi33ELi32ELi16EiPK19rocblas_complex_numIdES3_PS1_EviT6_lT7_lT5_lS6_lS7_lS5_lT8_i.uses_flat_scratch, 0
	.set _ZL26rocblas_hemvn_kernel_upperILb1ELi64ELi4ELi33ELi32ELi16EiPK19rocblas_complex_numIdES3_PS1_EviT6_lT7_lT5_lS6_lS7_lS5_lT8_i.has_dyn_sized_stack, 0
	.set _ZL26rocblas_hemvn_kernel_upperILb1ELi64ELi4ELi33ELi32ELi16EiPK19rocblas_complex_numIdES3_PS1_EviT6_lT7_lT5_lS6_lS7_lS5_lT8_i.has_recursion, 0
	.set _ZL26rocblas_hemvn_kernel_upperILb1ELi64ELi4ELi33ELi32ELi16EiPK19rocblas_complex_numIdES3_PS1_EviT6_lT7_lT5_lS6_lS7_lS5_lT8_i.has_indirect_call, 0
	.section	.AMDGPU.csdata,"",@progbits
; Kernel info:
; codeLenInByte = 11064
; TotalNumSgprs: 46
; NumVgprs: 242
; NumAgprs: 0
; TotalNumVgprs: 242
; ScratchSize: 0
; MemoryBound: 1
; FloatMode: 240
; IeeeMode: 1
; LDSByteSize: 19200 bytes/workgroup (compile time only)
; SGPRBlocks: 5
; VGPRBlocks: 30
; NumSGPRsForWavesPerEU: 46
; NumVGPRsForWavesPerEU: 242
; AccumOffset: 244
; Occupancy: 2
; WaveLimiterHint : 1
; COMPUTE_PGM_RSRC2:SCRATCH_EN: 0
; COMPUTE_PGM_RSRC2:USER_SGPR: 2
; COMPUTE_PGM_RSRC2:TRAP_HANDLER: 0
; COMPUTE_PGM_RSRC2:TGID_X_EN: 1
; COMPUTE_PGM_RSRC2:TGID_Y_EN: 0
; COMPUTE_PGM_RSRC2:TGID_Z_EN: 1
; COMPUTE_PGM_RSRC2:TIDIG_COMP_CNT: 1
; COMPUTE_PGM_RSRC3_GFX90A:ACCUM_OFFSET: 60
; COMPUTE_PGM_RSRC3_GFX90A:TG_SPLIT: 0
	.section	.text._ZL36rocblas_hemvn_kernel_upper_block_sumILi64EiPK19rocblas_complex_numIdEPS1_S1_EviT1_lS5_lT2_lT0_lPT3_i,"axG",@progbits,_ZL36rocblas_hemvn_kernel_upper_block_sumILi64EiPK19rocblas_complex_numIdEPS1_S1_EviT1_lS5_lT2_lT0_lPT3_i,comdat
	.globl	_ZL36rocblas_hemvn_kernel_upper_block_sumILi64EiPK19rocblas_complex_numIdEPS1_S1_EviT1_lS5_lT2_lT0_lPT3_i ; -- Begin function _ZL36rocblas_hemvn_kernel_upper_block_sumILi64EiPK19rocblas_complex_numIdEPS1_S1_EviT1_lS5_lT2_lT0_lPT3_i
	.p2align	8
	.type	_ZL36rocblas_hemvn_kernel_upper_block_sumILi64EiPK19rocblas_complex_numIdEPS1_S1_EviT1_lS5_lT2_lT0_lPT3_i,@function
_ZL36rocblas_hemvn_kernel_upper_block_sumILi64EiPK19rocblas_complex_numIdEPS1_S1_EviT1_lS5_lT2_lT0_lPT3_i: ; @_ZL36rocblas_hemvn_kernel_upper_block_sumILi64EiPK19rocblas_complex_numIdEPS1_S1_EviT1_lS5_lT2_lT0_lPT3_i
; %bb.0:
	s_load_dwordx8 s[4:11], s[0:1], 0x8
	s_waitcnt lgkmcnt(0)
	s_mul_i32 s7, s7, s3
	s_mul_hi_u32 s12, s6, s3
	s_add_i32 s7, s12, s7
	s_mul_i32 s6, s6, s3
	s_lshl_b64 s[6:7], s[6:7], 4
	s_add_u32 s4, s4, s6
	s_addc_u32 s5, s5, s7
	s_load_dwordx4 s[12:15], s[4:5], 0x0
	s_mul_i32 s4, s11, s3
	s_mul_hi_u32 s5, s10, s3
	s_add_i32 s5, s5, s4
	s_mul_i32 s4, s10, s3
	s_lshl_b64 s[4:5], s[4:5], 4
	s_add_u32 s4, s8, s4
	s_addc_u32 s5, s9, s5
	s_load_dwordx4 s[8:11], s[4:5], 0x0
	s_waitcnt lgkmcnt(0)
	v_cmp_neq_f64_e64 s[4:5], s[12:13], 0
	v_cmp_neq_f64_e64 s[6:7], s[14:15], 0
	s_or_b64 s[16:17], s[4:5], s[6:7]
	s_mov_b64 s[4:5], -1
	s_and_b64 vcc, exec, s[16:17]
	s_cbranch_vccnz .LBB19_2
; %bb.1:
	v_cmp_neq_f64_e64 s[4:5], s[8:9], 1.0
	v_cmp_neq_f64_e64 s[6:7], s[10:11], 0
	s_or_b64 s[4:5], s[4:5], s[6:7]
.LBB19_2:
	s_andn2_b64 vcc, exec, s[4:5]
	s_cbranch_vccnz .LBB19_22
; %bb.3:
	s_load_dwordx4 s[4:7], s[0:1], 0x40
	s_xor_b64 s[22:23], s[16:17], -1
	s_load_dwordx4 s[16:19], s[0:1], 0x28
	s_load_dword s26, s[0:1], 0x38
	s_load_dword s20, s[0:1], 0x0
	v_lshl_or_b32 v4, s2, 6, v0
	s_waitcnt lgkmcnt(0)
	s_mul_i32 s5, s5, s3
	s_mul_hi_u32 s21, s4, s3
	s_add_i32 s5, s21, s5
	s_mul_i32 s4, s4, s3
	s_lshl_b64 s[4:5], s[4:5], 4
	s_add_u32 s16, s16, s4
	s_addc_u32 s17, s17, s5
	s_lshl_b64 s[4:5], s[18:19], 4
	s_add_u32 s16, s16, s4
	s_addc_u32 s17, s17, s5
	s_andn2_b64 vcc, exec, s[22:23]
	v_cmp_gt_i32_e64 s[4:5], s20, v4
	s_cbranch_vccnz .LBB19_8
; %bb.4:
	s_mov_b64 s[22:23], 0
	s_mov_b64 s[18:19], 0
                                        ; implicit-def: $vgpr2_vgpr3
                                        ; implicit-def: $vgpr6_vgpr7
	s_and_saveexec_b64 s[24:25], s[4:5]
	s_cbranch_execz .LBB19_9
; %bb.5:
	v_cmp_neq_f64_e64 s[4:5], s[8:9], 0
	v_cmp_neq_f64_e64 s[18:19], s[10:11], 0
	v_mul_lo_u32 v6, s26, v4
	s_or_b64 s[4:5], s[4:5], s[18:19]
	v_mov_b64_e32 v[2:3], 0
	v_ashrrev_i32_e32 v7, 31, v6
	s_andn2_b64 vcc, exec, s[4:5]
	v_mov_b64_e32 v[0:1], 0
	s_cbranch_vccnz .LBB19_7
; %bb.6:
	v_lshl_add_u64 v[0:1], v[6:7], 4, s[16:17]
	global_load_dwordx4 v[8:11], v[0:1], off
	s_waitcnt vmcnt(0)
	v_mul_f64 v[0:1], s[10:11], v[10:11]
	v_mul_f64 v[2:3], s[8:9], v[10:11]
	v_fma_f64 v[0:1], s[8:9], v[8:9], -v[0:1]
	v_fmac_f64_e32 v[2:3], s[10:11], v[8:9]
.LBB19_7:
	s_mov_b64 s[18:19], exec
	s_or_b64 exec, exec, s[24:25]
	s_and_b64 vcc, exec, s[22:23]
	s_cbranch_vccnz .LBB19_10
	s_branch .LBB19_20
.LBB19_8:
	s_mov_b64 s[18:19], 0
                                        ; implicit-def: $vgpr2_vgpr3
                                        ; implicit-def: $vgpr6_vgpr7
	s_cbranch_execnz .LBB19_10
	s_branch .LBB19_20
.LBB19_9:
	s_or_b64 exec, exec, s[24:25]
	s_and_b64 vcc, exec, s[22:23]
	s_cbranch_vccz .LBB19_20
.LBB19_10:
	v_cmp_gt_i32_e32 vcc, s20, v4
                                        ; implicit-def: $vgpr2_vgpr3
                                        ; implicit-def: $vgpr6_vgpr7
	s_and_saveexec_b64 s[4:5], vcc
	s_cbranch_execz .LBB19_19
; %bb.11:
	v_mov_b64_e32 v[0:1], 0
	s_cmp_lt_i32 s2, 0
	v_mov_b64_e32 v[8:9], 0
	s_cbranch_scc1 .LBB19_14
; %bb.12:
	s_load_dword s0, s[0:1], 0x58
	s_ashr_i32 s21, s20, 31
	s_mul_hi_u32 s1, s20, s3
	s_mul_i32 s22, s21, s3
	s_add_i32 s1, s1, s22
	s_mul_i32 s3, s20, s3
	s_waitcnt lgkmcnt(0)
	s_mul_i32 s1, s1, s0
	s_mul_hi_u32 s22, s3, s0
	s_add_i32 s1, s22, s1
	s_mul_i32 s0, s3, s0
	s_add_i32 s2, s2, 1
	s_lshl_b64 s[0:1], s[0:1], 4
	s_add_u32 s0, s6, s0
	v_mov_b32_e32 v5, 0
	s_addc_u32 s1, s7, s1
	v_lshl_add_u64 v[0:1], v[4:5], 4, s[0:1]
	v_lshl_add_u64 v[2:3], v[0:1], 0, 8
	s_lshl_b64 s[0:1], s[20:21], 4
	v_mov_b64_e32 v[0:1], 0
	v_mov_b64_e32 v[8:9], 0
.LBB19_13:                              ; =>This Inner Loop Header: Depth=1
	global_load_dwordx4 v[10:13], v[2:3], off offset:-8
	s_add_i32 s2, s2, -1
	v_lshl_add_u64 v[2:3], v[2:3], 0, s[0:1]
	s_cmp_eq_u32 s2, 0
	s_waitcnt vmcnt(0)
	v_add_f64 v[8:9], v[8:9], v[10:11]
	v_add_f64 v[0:1], v[0:1], v[12:13]
	s_cbranch_scc0 .LBB19_13
.LBB19_14:
	v_cmp_neq_f64_e64 s[2:3], s[8:9], 0
	v_cmp_neq_f64_e64 s[6:7], s[10:11], 0
	s_or_b64 s[2:3], s[2:3], s[6:7]
	v_mul_f64 v[10:11], s[14:15], v[0:1]
	v_mul_f64 v[2:3], s[12:13], v[0:1]
	v_mul_lo_u32 v6, s26, v4
	s_mov_b64 s[0:1], 0
	s_andn2_b64 vcc, exec, s[2:3]
	v_fma_f64 v[0:1], s[12:13], v[8:9], -v[10:11]
	v_fmac_f64_e32 v[2:3], s[14:15], v[8:9]
	v_ashrrev_i32_e32 v7, 31, v6
	s_cbranch_vccnz .LBB19_16
; %bb.15:
	s_mov_b64 s[0:1], -1
.LBB19_16:
	s_andn2_b64 vcc, exec, s[0:1]
	s_cbranch_vccnz .LBB19_18
; %bb.17:
	v_lshl_add_u64 v[4:5], v[6:7], 4, s[16:17]
	global_load_dwordx4 v[8:11], v[4:5], off
	s_waitcnt vmcnt(0)
	v_mul_f64 v[4:5], s[10:11], v[10:11]
	v_mul_f64 v[10:11], s[8:9], v[10:11]
	v_fma_f64 v[4:5], s[8:9], v[8:9], -v[4:5]
	v_fmac_f64_e32 v[10:11], s[10:11], v[8:9]
	v_add_f64 v[0:1], v[0:1], v[4:5]
	v_add_f64 v[2:3], v[2:3], v[10:11]
.LBB19_18:
	s_or_b64 s[18:19], s[18:19], exec
.LBB19_19:
	s_or_b64 exec, exec, s[4:5]
.LBB19_20:
	s_and_saveexec_b64 s[0:1], s[18:19]
	s_cbranch_execz .LBB19_22
; %bb.21:
	v_lshl_add_u64 v[4:5], v[6:7], 4, s[16:17]
	global_store_dwordx4 v[4:5], v[0:3], off
.LBB19_22:
	s_endpgm
	.section	.rodata,"a",@progbits
	.p2align	6, 0x0
	.amdhsa_kernel _ZL36rocblas_hemvn_kernel_upper_block_sumILi64EiPK19rocblas_complex_numIdEPS1_S1_EviT1_lS5_lT2_lT0_lPT3_i
		.amdhsa_group_segment_fixed_size 0
		.amdhsa_private_segment_fixed_size 0
		.amdhsa_kernarg_size 344
		.amdhsa_user_sgpr_count 2
		.amdhsa_user_sgpr_dispatch_ptr 0
		.amdhsa_user_sgpr_queue_ptr 0
		.amdhsa_user_sgpr_kernarg_segment_ptr 1
		.amdhsa_user_sgpr_dispatch_id 0
		.amdhsa_user_sgpr_kernarg_preload_length 0
		.amdhsa_user_sgpr_kernarg_preload_offset 0
		.amdhsa_user_sgpr_private_segment_size 0
		.amdhsa_uses_dynamic_stack 0
		.amdhsa_enable_private_segment 0
		.amdhsa_system_sgpr_workgroup_id_x 1
		.amdhsa_system_sgpr_workgroup_id_y 0
		.amdhsa_system_sgpr_workgroup_id_z 1
		.amdhsa_system_sgpr_workgroup_info 0
		.amdhsa_system_vgpr_workitem_id 0
		.amdhsa_next_free_vgpr 14
		.amdhsa_next_free_sgpr 27
		.amdhsa_accum_offset 16
		.amdhsa_reserve_vcc 1
		.amdhsa_float_round_mode_32 0
		.amdhsa_float_round_mode_16_64 0
		.amdhsa_float_denorm_mode_32 3
		.amdhsa_float_denorm_mode_16_64 3
		.amdhsa_dx10_clamp 1
		.amdhsa_ieee_mode 1
		.amdhsa_fp16_overflow 0
		.amdhsa_tg_split 0
		.amdhsa_exception_fp_ieee_invalid_op 0
		.amdhsa_exception_fp_denorm_src 0
		.amdhsa_exception_fp_ieee_div_zero 0
		.amdhsa_exception_fp_ieee_overflow 0
		.amdhsa_exception_fp_ieee_underflow 0
		.amdhsa_exception_fp_ieee_inexact 0
		.amdhsa_exception_int_div_zero 0
	.end_amdhsa_kernel
	.section	.text._ZL36rocblas_hemvn_kernel_upper_block_sumILi64EiPK19rocblas_complex_numIdEPS1_S1_EviT1_lS5_lT2_lT0_lPT3_i,"axG",@progbits,_ZL36rocblas_hemvn_kernel_upper_block_sumILi64EiPK19rocblas_complex_numIdEPS1_S1_EviT1_lS5_lT2_lT0_lPT3_i,comdat
.Lfunc_end19:
	.size	_ZL36rocblas_hemvn_kernel_upper_block_sumILi64EiPK19rocblas_complex_numIdEPS1_S1_EviT1_lS5_lT2_lT0_lPT3_i, .Lfunc_end19-_ZL36rocblas_hemvn_kernel_upper_block_sumILi64EiPK19rocblas_complex_numIdEPS1_S1_EviT1_lS5_lT2_lT0_lPT3_i
                                        ; -- End function
	.set _ZL36rocblas_hemvn_kernel_upper_block_sumILi64EiPK19rocblas_complex_numIdEPS1_S1_EviT1_lS5_lT2_lT0_lPT3_i.num_vgpr, 14
	.set _ZL36rocblas_hemvn_kernel_upper_block_sumILi64EiPK19rocblas_complex_numIdEPS1_S1_EviT1_lS5_lT2_lT0_lPT3_i.num_agpr, 0
	.set _ZL36rocblas_hemvn_kernel_upper_block_sumILi64EiPK19rocblas_complex_numIdEPS1_S1_EviT1_lS5_lT2_lT0_lPT3_i.numbered_sgpr, 27
	.set _ZL36rocblas_hemvn_kernel_upper_block_sumILi64EiPK19rocblas_complex_numIdEPS1_S1_EviT1_lS5_lT2_lT0_lPT3_i.num_named_barrier, 0
	.set _ZL36rocblas_hemvn_kernel_upper_block_sumILi64EiPK19rocblas_complex_numIdEPS1_S1_EviT1_lS5_lT2_lT0_lPT3_i.private_seg_size, 0
	.set _ZL36rocblas_hemvn_kernel_upper_block_sumILi64EiPK19rocblas_complex_numIdEPS1_S1_EviT1_lS5_lT2_lT0_lPT3_i.uses_vcc, 1
	.set _ZL36rocblas_hemvn_kernel_upper_block_sumILi64EiPK19rocblas_complex_numIdEPS1_S1_EviT1_lS5_lT2_lT0_lPT3_i.uses_flat_scratch, 0
	.set _ZL36rocblas_hemvn_kernel_upper_block_sumILi64EiPK19rocblas_complex_numIdEPS1_S1_EviT1_lS5_lT2_lT0_lPT3_i.has_dyn_sized_stack, 0
	.set _ZL36rocblas_hemvn_kernel_upper_block_sumILi64EiPK19rocblas_complex_numIdEPS1_S1_EviT1_lS5_lT2_lT0_lPT3_i.has_recursion, 0
	.set _ZL36rocblas_hemvn_kernel_upper_block_sumILi64EiPK19rocblas_complex_numIdEPS1_S1_EviT1_lS5_lT2_lT0_lPT3_i.has_indirect_call, 0
	.section	.AMDGPU.csdata,"",@progbits
; Kernel info:
; codeLenInByte = 764
; TotalNumSgprs: 33
; NumVgprs: 14
; NumAgprs: 0
; TotalNumVgprs: 14
; ScratchSize: 0
; MemoryBound: 0
; FloatMode: 240
; IeeeMode: 1
; LDSByteSize: 0 bytes/workgroup (compile time only)
; SGPRBlocks: 4
; VGPRBlocks: 1
; NumSGPRsForWavesPerEU: 33
; NumVGPRsForWavesPerEU: 14
; AccumOffset: 16
; Occupancy: 8
; WaveLimiterHint : 0
; COMPUTE_PGM_RSRC2:SCRATCH_EN: 0
; COMPUTE_PGM_RSRC2:USER_SGPR: 2
; COMPUTE_PGM_RSRC2:TRAP_HANDLER: 0
; COMPUTE_PGM_RSRC2:TGID_X_EN: 1
; COMPUTE_PGM_RSRC2:TGID_Y_EN: 0
; COMPUTE_PGM_RSRC2:TGID_Z_EN: 1
; COMPUTE_PGM_RSRC2:TIDIG_COMP_CNT: 0
; COMPUTE_PGM_RSRC3_GFX90A:ACCUM_OFFSET: 3
; COMPUTE_PGM_RSRC3_GFX90A:TG_SPLIT: 0
	.section	.text._ZL26rocblas_hemvn_kernel_upperILb1ELi64ELi4ELi33ELi32ELi16El19rocblas_complex_numIdEPKS1_PS1_EviT6_lT7_lT5_lS6_lS7_lS5_lT8_i,"axG",@progbits,_ZL26rocblas_hemvn_kernel_upperILb1ELi64ELi4ELi33ELi32ELi16El19rocblas_complex_numIdEPKS1_PS1_EviT6_lT7_lT5_lS6_lS7_lS5_lT8_i,comdat
	.globl	_ZL26rocblas_hemvn_kernel_upperILb1ELi64ELi4ELi33ELi32ELi16El19rocblas_complex_numIdEPKS1_PS1_EviT6_lT7_lT5_lS6_lS7_lS5_lT8_i ; -- Begin function _ZL26rocblas_hemvn_kernel_upperILb1ELi64ELi4ELi33ELi32ELi16El19rocblas_complex_numIdEPKS1_PS1_EviT6_lT7_lT5_lS6_lS7_lS5_lT8_i
	.p2align	8
	.type	_ZL26rocblas_hemvn_kernel_upperILb1ELi64ELi4ELi33ELi32ELi16El19rocblas_complex_numIdEPKS1_PS1_EviT6_lT7_lT5_lS6_lS7_lS5_lT8_i,@function
_ZL26rocblas_hemvn_kernel_upperILb1ELi64ELi4ELi33ELi32ELi16El19rocblas_complex_numIdEPKS1_PS1_EviT6_lT7_lT5_lS6_lS7_lS5_lT8_i: ; @_ZL26rocblas_hemvn_kernel_upperILb1ELi64ELi4ELi33ELi32ELi16El19rocblas_complex_numIdEPKS1_PS1_EviT6_lT7_lT5_lS6_lS7_lS5_lT8_i
; %bb.0:
	s_load_dwordx2 s[6:7], s[0:1], 0x94
	s_add_u32 s4, s0, 0x88
	s_addc_u32 s5, s1, 0
	s_waitcnt lgkmcnt(0)
	s_lshr_b32 s8, s6, 16
	s_and_b32 s6, s6, 0xffff
	s_and_b32 s7, s7, 0xffff
	s_mul_i32 s6, s8, s6
	s_mul_i32 s6, s6, s7
	s_cmpk_lg_i32 s6, 0x100
	s_cbranch_scc1 .LBB20_202
; %bb.1:
	s_load_dwordx4 s[8:11], s[0:1], 0x8
	s_waitcnt lgkmcnt(0)
	v_cmp_neq_f64_e64 s[6:7], s[8:9], 0
	v_cmp_neq_f64_e64 s[8:9], s[10:11], 0
	s_or_b64 s[6:7], s[6:7], s[8:9]
	s_mov_b64 s[8:9], -1
	s_and_b64 vcc, exec, s[6:7]
	s_cbranch_vccnz .LBB20_3
; %bb.2:
	s_load_dwordx4 s[8:11], s[0:1], 0x60
	s_waitcnt lgkmcnt(0)
	v_cmp_neq_f64_e64 s[8:9], s[8:9], 1.0
	v_cmp_neq_f64_e64 s[10:11], s[10:11], 0
	s_or_b64 s[8:9], s[8:9], s[10:11]
.LBB20_3:
	s_andn2_b64 vcc, exec, s[8:9]
	s_cbranch_vccnz .LBB20_202
; %bb.4:
	s_andn2_b64 vcc, exec, s[6:7]
	s_cbranch_vccnz .LBB20_202
; %bb.5:
	s_load_dwordx16 s[16:31], s[0:1], 0x20
	s_load_dword s33, s[4:5], 0x0
	s_load_dword s35, s[0:1], 0x0
	v_and_b32_e32 v202, 0x3ff, v0
	v_bfe_u32 v203, v0, 10, 10
	s_waitcnt lgkmcnt(0)
	s_mul_i32 s5, s31, s3
	s_mul_hi_u32 s6, s30, s3
	s_mul_i32 s4, s30, s3
	s_add_i32 s5, s6, s5
	s_lshl_b64 s[4:5], s[4:5], 4
	s_add_u32 s6, s24, s4
	s_addc_u32 s7, s25, s5
	s_lshl_b64 s[4:5], s[26:27], 4
	s_add_u32 s4, s6, s4
	s_addc_u32 s5, s7, s5
	s_ashr_i32 s36, s35, 31
	s_lshr_b32 s7, s36, 26
	s_lshl_b32 s26, s2, 6
	s_add_i32 s7, s35, s7
	s_andn2_b32 s7, s7, 63
	v_add_u32_e32 v164, s26, v202
	s_add_i32 s6, s33, -1
	s_sub_i32 s34, s35, s7
	v_ashrrev_i32_e32 v165, 31, v164
	s_cmp_eq_u32 s2, s6
	v_mul_lo_u32 v2, s28, v165
	v_mul_lo_u32 v3, s29, v164
	v_mad_u64_u32 v[0:1], s[6:7], s28, v164, 0
	v_add3_u32 v1, v1, v2, v3
	s_cselect_b32 s24, s34, 0
	v_lshl_add_u64 v[36:37], v[0:1], 4, s[4:5]
	v_cmp_eq_u32_e64 s[14:15], 0, v203
	s_and_saveexec_b64 s[4:5], s[14:15]
	s_cbranch_execz .LBB20_10
; %bb.6:
	s_cmp_lg_u32 s24, 0
	s_cselect_b64 s[6:7], -1, 0
	v_cmp_le_i32_e32 vcc, s24, v202
	v_mov_b32_e32 v0, 0x4700
	s_and_b64 s[6:7], s[6:7], vcc
	v_lshl_add_u32 v0, v202, 4, v0
	s_and_saveexec_b64 s[8:9], s[6:7]
	s_xor_b64 s[6:7], exec, s[8:9]
; %bb.7:
	v_mov_b32_e32 v2, 0
	v_mov_b32_e32 v3, v2
	;; [unrolled: 1-line block ×4, first 2 shown]
	ds_write_b128 v0, v[2:5]
                                        ; implicit-def: $vgpr0
; %bb.8:
	s_andn2_saveexec_b64 s[6:7], s[6:7]
	s_cbranch_execz .LBB20_10
; %bb.9:
	global_load_dwordx4 v[2:5], v[36:37], off
	s_waitcnt vmcnt(0)
	ds_write2_b64 v0, v[2:3], v[4:5] offset1:1
.LBB20_10:
	s_or_b64 exec, exec, s[4:5]
	s_mul_i32 s4, s23, s3
	s_mul_hi_u32 s5, s22, s3
	s_add_i32 s5, s5, s4
	s_mul_i32 s4, s22, s3
	s_lshl_b64 s[4:5], s[4:5], 4
	s_add_u32 s6, s16, s4
	s_addc_u32 s7, s17, s5
	s_lshl_b64 s[4:5], s[18:19], 4
	s_add_u32 s6, s6, s4
	s_addc_u32 s7, s7, s5
	s_ashr_i32 s27, s26, 31
	v_lshl_add_u32 v42, v203, 6, v202
	s_lshl_b64 s[4:5], s[26:27], 4
	v_and_b32_e32 v10, 31, v202
	v_lshrrev_b32_e32 v14, 5, v42
	s_add_u32 s4, s6, s4
	v_mov_b32_e32 v11, 0
	s_addc_u32 s5, s7, s5
	v_mad_u64_u32 v[38:39], s[6:7], s20, v14, v[10:11]
	v_mov_b32_e32 v0, v39
	v_mad_u64_u32 v[0:1], s[6:7], s21, v14, v[0:1]
	v_mov_b32_e32 v39, v0
	v_lshl_add_u64 v[0:1], v[38:39], 4, s[4:5]
	s_mul_hi_u32 s4, s20, s26
	s_mul_i32 s5, s20, s27
	s_add_i32 s4, s4, s5
	s_mul_i32 s5, s21, s26
	s_add_i32 s5, s4, s5
	s_cmp_eq_u32 s24, 0
	s_cselect_b64 s[18:19], -1, 0
	s_cmp_lg_u32 s24, 0
	s_mul_i32 s4, s20, s26
	s_cselect_b64 s[22:23], -1, 0
	v_lshl_add_u64 v[0:1], s[4:5], 4, v[0:1]
	s_and_b64 vcc, exec, s[22:23]
	v_cmp_gt_i32_e64 s[4:5], s24, v10
	v_lshlrev_b32_e32 v8, 4, v10
	v_lshlrev_b32_e32 v11, 4, v10
	s_cbranch_vccz .LBB20_28
; %bb.11:
	v_sub_co_u32_e32 v2, vcc, v0, v8
	s_ashr_i32 s25, s24, 31
	s_nop 0
	v_subbrev_co_u32_e32 v3, vcc, 0, v1, vcc
	v_lshl_add_u64 v[2:3], s[24:25], 4, v[2:3]
	v_lshl_add_u64 v[2:3], v[2:3], 0, -16
	s_movk_i32 s6, 0x210
	v_cndmask_b32_e64 v3, v3, v1, s[4:5]
	v_cndmask_b32_e64 v2, v2, v0, s[4:5]
	v_cmp_le_i32_e32 vcc, s24, v14
	v_mad_u32_u24 v5, v14, s6, v11
	s_and_saveexec_b64 s[6:7], vcc
	s_xor_b64 s[6:7], exec, s[6:7]
; %bb.12:
	v_mov_b32_e32 v16, 0
	v_mov_b32_e32 v17, v16
	;; [unrolled: 1-line block ×4, first 2 shown]
	ds_write_b128 v5, v[16:19]
                                        ; implicit-def: $vgpr5
; %bb.13:
	s_or_saveexec_b64 s[6:7], s[6:7]
	v_mul_u32_u24_e32 v4, 0x210, v14
	s_xor_b64 exec, exec, s[6:7]
	s_cbranch_execz .LBB20_15
; %bb.14:
	global_load_dwordx4 v[16:19], v[2:3], off
	s_waitcnt vmcnt(0)
	ds_write2_b64 v5, v[16:17], v[18:19] offset1:1
.LBB20_15:
	s_or_b64 exec, exec, s[6:7]
	v_add_u32_e32 v5, 8, v14
	v_cmp_le_i32_e32 vcc, s24, v5
	v_add_u32_e32 v5, v4, v11
	s_and_saveexec_b64 s[6:7], vcc
	s_xor_b64 s[6:7], exec, s[6:7]
; %bb.16:
	v_mov_b32_e32 v16, 0
	v_mov_b32_e32 v17, v16
	;; [unrolled: 1-line block ×4, first 2 shown]
	ds_write_b128 v5, v[16:19] offset:4224
; %bb.17:
	s_andn2_saveexec_b64 s[6:7], s[6:7]
	s_cbranch_execz .LBB20_19
; %bb.18:
	s_lshl_b64 s[8:9], s[20:21], 7
	v_lshl_add_u64 v[6:7], v[2:3], 0, s[8:9]
	global_load_dwordx4 v[16:19], v[6:7], off
	s_movk_i32 s8, 0x1080
	v_add3_u32 v6, v4, v11, s8
	s_waitcnt vmcnt(0)
	ds_write2_b64 v6, v[16:17], v[18:19] offset1:1
.LBB20_19:
	s_or_b64 exec, exec, s[6:7]
	v_add_u32_e32 v6, 16, v14
	v_cmp_le_i32_e32 vcc, s24, v6
	s_and_saveexec_b64 s[6:7], vcc
	s_xor_b64 s[6:7], exec, s[6:7]
; %bb.20:
	v_mov_b32_e32 v16, 0
	v_mov_b32_e32 v17, v16
	;; [unrolled: 1-line block ×4, first 2 shown]
	ds_write_b128 v5, v[16:19] offset:8448
; %bb.21:
	s_andn2_saveexec_b64 s[6:7], s[6:7]
	s_cbranch_execz .LBB20_23
; %bb.22:
	s_lshl_b64 s[8:9], s[20:21], 8
	v_lshl_add_u64 v[6:7], v[2:3], 0, s[8:9]
	global_load_dwordx4 v[16:19], v[6:7], off
	s_movk_i32 s8, 0x2100
	v_add3_u32 v6, v4, v11, s8
	s_waitcnt vmcnt(0)
	ds_write2_b64 v6, v[16:17], v[18:19] offset1:1
.LBB20_23:
	s_or_b64 exec, exec, s[6:7]
	v_add_u32_e32 v6, 24, v14
	v_cmp_le_i32_e32 vcc, s24, v6
	s_and_saveexec_b64 s[6:7], vcc
	s_xor_b64 s[6:7], exec, s[6:7]
; %bb.24:
	v_mov_b32_e32 v16, 0
	v_mov_b32_e32 v17, v16
	;; [unrolled: 1-line block ×4, first 2 shown]
	ds_write_b128 v5, v[16:19] offset:12672
                                        ; implicit-def: $vgpr4
; %bb.25:
	s_andn2_saveexec_b64 s[6:7], s[6:7]
	s_cbranch_execz .LBB20_27
; %bb.26:
	v_mov_b32_e32 v5, 0x180
	v_mad_u64_u32 v[6:7], s[8:9], s20, v5, v[2:3]
	s_mul_i32 s8, s21, 0x180
	s_nop 0
	v_add_u32_e32 v7, s8, v7
	global_load_dwordx4 v[16:19], v[6:7], off
	s_movk_i32 s8, 0x3180
	v_add3_u32 v4, v4, v11, s8
	s_waitcnt vmcnt(0)
	ds_write2_b64 v4, v[16:17], v[18:19] offset1:1
.LBB20_27:
	s_or_b64 exec, exec, s[6:7]
	v_mov_b32_e32 v9, 0
	v_lshl_add_u64 v[2:3], v[2:3], 0, v[8:9]
	s_lshl_b64 s[6:7], s[24:25], 4
	v_mov_b32_e32 v4, s7
	v_subrev_co_u32_e32 v2, vcc, s6, v2
	s_nop 1
	v_subb_co_u32_e32 v3, vcc, v3, v4, vcc
	v_lshl_add_u64 v[2:3], v[2:3], 0, 16
	v_cndmask_b32_e64 v5, v3, v1, s[4:5]
	v_cndmask_b32_e64 v4, v2, v0, s[4:5]
	s_branch .LBB20_30
.LBB20_28:
                                        ; implicit-def: $vgpr4_vgpr5
	s_cbranch_execz .LBB20_30
; %bb.29:
	s_lshl_b64 s[4:5], s[20:21], 7
	v_lshl_add_u64 v[6:7], v[0:1], 0, s[4:5]
	global_load_dwordx4 v[2:5], v[0:1], off
	global_load_dwordx4 v[16:19], v[6:7], off
	v_lshl_add_u64 v[6:7], v[6:7], 0, s[4:5]
	v_lshl_add_u64 v[12:13], v[6:7], 0, s[4:5]
	global_load_dwordx4 v[20:23], v[6:7], off
	global_load_dwordx4 v[24:27], v[12:13], off
	v_mul_u32_u24_e32 v6, 0x210, v14
	v_lshl_add_u32 v6, v10, 4, v6
	v_add_u32_e32 v7, 0x1080, v6
	v_add_u32_e32 v9, 0x2100, v6
	v_add_u32_e32 v12, 0x3180, v6
	s_waitcnt vmcnt(3)
	ds_write2_b64 v6, v[2:3], v[4:5] offset1:1
	s_waitcnt vmcnt(2)
	ds_write2_b64 v7, v[16:17], v[18:19] offset1:1
	;; [unrolled: 2-line block ×4, first 2 shown]
	v_mov_b64_e32 v[4:5], v[0:1]
.LBB20_30:
	v_lshlrev_b32_e32 v17, 2, v14
	v_mul_u32_u24_e32 v15, 0x210, v10
	v_cmp_le_u32_e64 s[6:7], v17, v10
	s_mov_b64 s[4:5], 0
	s_waitcnt lgkmcnt(0)
	s_barrier
                                        ; implicit-def: $vgpr0
	s_and_saveexec_b64 s[8:9], s[6:7]
	s_xor_b64 s[8:9], exec, s[8:9]
	s_cbranch_execz .LBB20_34
; %bb.31:
	v_cmp_eq_u32_e32 vcc, v17, v10
                                        ; implicit-def: $vgpr0
	s_and_saveexec_b64 s[10:11], vcc
	s_xor_b64 s[10:11], exec, s[10:11]
; %bb.32:
	s_mov_b64 s[4:5], exec
	v_add_u32_e32 v0, v11, v15
; %bb.33:
	s_or_b64 exec, exec, s[10:11]
	s_and_b64 s[4:5], s[4:5], exec
.LBB20_34:
	s_or_saveexec_b64 s[8:9], s[8:9]
	v_lshl_or_b32 v1, v10, 9, v11
	v_mov_b64_e32 v[2:3], 0
	v_lshl_add_u32 v6, v17, 4, v1
	s_xor_b64 exec, exec, s[8:9]
	s_cbranch_execz .LBB20_36
; %bb.35:
	s_movk_i32 s10, 0x840
	v_mad_u32_u24 v0, v14, s10, v11
	ds_read_b128 v[0:3], v0
	s_or_b64 s[4:5], s[4:5], exec
	s_waitcnt lgkmcnt(0)
	v_xor_b32_e32 v3, 0x80000000, v3
	ds_write_b64 v6, v[0:1]
	v_mov_b32_e32 v0, v6
.LBB20_36:
	s_or_b64 exec, exec, s[8:9]
	s_and_saveexec_b64 s[8:9], s[4:5]
; %bb.37:
	ds_write_b64 v0, v[2:3] offset:8
; %bb.38:
	s_or_b64 exec, exec, s[8:9]
	v_or_b32_e32 v18, 1, v17
	v_cmp_ge_u32_e64 s[8:9], v17, v10
	s_mov_b64 s[4:5], 0
                                        ; implicit-def: $vgpr2_vgpr3
                                        ; implicit-def: $vgpr7
	s_and_saveexec_b64 s[10:11], s[8:9]
	s_xor_b64 s[10:11], exec, s[10:11]
	s_cbranch_execnz .LBB20_70
; %bb.39:
	s_andn2_saveexec_b64 s[10:11], s[10:11]
	s_cbranch_execnz .LBB20_71
.LBB20_40:
	s_or_b64 exec, exec, s[10:11]
	s_and_saveexec_b64 s[10:11], s[4:5]
.LBB20_41:
	ds_write_b64 v7, v[2:3] offset:8
.LBB20_42:
	s_or_b64 exec, exec, s[10:11]
	v_or_b32_e32 v19, 2, v17
	v_cmp_le_u32_e64 s[10:11], v19, v10
	s_mov_b64 s[4:5], 0
                                        ; implicit-def: $vgpr7
	s_and_saveexec_b64 s[12:13], s[10:11]
	s_xor_b64 s[12:13], exec, s[12:13]
	s_cbranch_execnz .LBB20_74
; %bb.43:
	s_or_saveexec_b64 s[12:13], s[12:13]
	v_mov_b64_e32 v[2:3], 0
	s_xor_b64 exec, exec, s[12:13]
	s_cbranch_execnz .LBB20_77
.LBB20_44:
	s_or_b64 exec, exec, s[12:13]
	s_and_saveexec_b64 s[12:13], s[4:5]
.LBB20_45:
	ds_write_b64 v7, v[2:3] offset:8
.LBB20_46:
	s_or_b64 exec, exec, s[12:13]
	v_or_b32_e32 v20, 3, v17
	v_cmp_le_u32_e64 s[12:13], v20, v10
	s_mov_b64 s[4:5], 0
                                        ; implicit-def: $vgpr7
	s_and_saveexec_b64 s[16:17], s[12:13]
	s_xor_b64 s[16:17], exec, s[16:17]
	s_cbranch_execnz .LBB20_78
; %bb.47:
	s_or_saveexec_b64 s[16:17], s[16:17]
	v_mov_b64_e32 v[2:3], 0
	s_xor_b64 exec, exec, s[16:17]
	s_cbranch_execnz .LBB20_81
.LBB20_48:
	s_or_b64 exec, exec, s[16:17]
	s_and_saveexec_b64 s[16:17], s[4:5]
.LBB20_49:
	ds_write_b64 v7, v[2:3] offset:8
.LBB20_50:
	s_or_b64 exec, exec, s[16:17]
	s_movk_i32 s4, 0x840
	v_lshlrev_b32_e32 v21, 4, v17
	s_waitcnt lgkmcnt(0)
	s_barrier
	v_mad_u32_u24 v6, v14, s4, v11
	ds_read_b128 v[0:3], v21 offset:18176
	ds_read_b128 v[22:25], v6
	ds_read_b128 v[26:29], v21 offset:18192
	ds_read_b128 v[30:33], v21 offset:18208
	s_movk_i32 s25, 0x210
	v_mad_u32_u24 v9, v18, s25, v11
	s_waitcnt lgkmcnt(2)
	v_mul_f64 v[6:7], v[2:3], v[24:25]
	v_mul_f64 v[12:13], v[0:1], v[24:25]
	v_fma_f64 v[6:7], v[0:1], v[22:23], -v[6:7]
	v_fmac_f64_e32 v[12:13], v[2:3], v[22:23]
	ds_read_b128 v[22:25], v21 offset:18224
	ds_read_b128 v[44:47], v9
	v_add_f64 v[2:3], v[6:7], 0
	v_add_f64 v[6:7], v[12:13], 0
	v_mov_b64_e32 v[0:1], 0
	v_cmp_gt_u32_e64 s[4:5], 32, v42
	s_waitcnt lgkmcnt(0)
	v_mul_f64 v[12:13], v[28:29], v[46:47]
	v_fma_f64 v[12:13], v[26:27], v[44:45], -v[12:13]
	v_mul_f64 v[26:27], v[26:27], v[46:47]
	ds_read_b128 v[46:49], v9 offset:528
	v_fmac_f64_e32 v[26:27], v[28:29], v[44:45]
	v_add_f64 v[6:7], v[6:7], v[26:27]
	ds_read_b128 v[26:29], v9 offset:1056
	v_add_f64 v[2:3], v[2:3], v[12:13]
	s_waitcnt lgkmcnt(1)
	v_mul_f64 v[12:13], v[32:33], v[48:49]
	v_fma_f64 v[12:13], v[30:31], v[46:47], -v[12:13]
	v_add_f64 v[2:3], v[2:3], v[12:13]
	s_waitcnt lgkmcnt(0)
	v_mul_f64 v[12:13], v[24:25], v[28:29]
	v_mul_f64 v[30:31], v[30:31], v[48:49]
	v_fma_f64 v[12:13], v[22:23], v[26:27], -v[12:13]
	v_fmac_f64_e32 v[30:31], v[32:33], v[46:47]
	v_mul_f64 v[28:29], v[22:23], v[28:29]
	v_add_f64 v[22:23], v[2:3], v[12:13]
	v_mul_u32_u24_e32 v2, 33, v10
	v_add_f64 v[6:7], v[6:7], v[30:31]
	v_fmac_f64_e32 v[28:29], v[24:25], v[26:27]
	v_lshlrev_b32_e32 v43, 4, v2
	v_add_f64 v[24:25], v[6:7], v[28:29]
	v_lshl_add_u32 v44, v14, 4, v43
	v_mov_b64_e32 v[2:3], 0
	s_barrier
	ds_write_b128 v44, v[22:25]
	s_waitcnt lgkmcnt(0)
	s_barrier
	s_and_saveexec_b64 s[16:17], s[4:5]
	s_cbranch_execz .LBB20_52
; %bb.51:
	ds_read_b128 v[0:3], v43
	ds_read_b128 v[22:25], v43 offset:16
	ds_read_b128 v[26:29], v43 offset:32
	;; [unrolled: 1-line block ×3, first 2 shown]
	s_waitcnt lgkmcnt(2)
	v_add_f64 v[0:1], v[22:23], v[0:1]
	v_add_f64 v[6:7], v[24:25], v[2:3]
	s_waitcnt lgkmcnt(1)
	v_add_f64 v[12:13], v[0:1], v[26:27]
	ds_read_b128 v[0:3], v43 offset:64
	ds_read_b128 v[22:25], v43 offset:80
	v_add_f64 v[6:7], v[6:7], v[28:29]
	s_waitcnt lgkmcnt(2)
	v_add_f64 v[12:13], v[12:13], v[30:31]
	v_add_f64 v[6:7], v[6:7], v[32:33]
	ds_read_b128 v[26:29], v43 offset:96
	s_waitcnt lgkmcnt(2)
	v_add_f64 v[12:13], v[12:13], v[0:1]
	v_add_f64 v[6:7], v[6:7], v[2:3]
	ds_read_b128 v[0:3], v43 offset:112
	s_waitcnt lgkmcnt(2)
	v_add_f64 v[12:13], v[12:13], v[22:23]
	v_add_f64 v[6:7], v[6:7], v[24:25]
	s_waitcnt lgkmcnt(1)
	v_add_f64 v[12:13], v[12:13], v[26:27]
	v_add_f64 v[6:7], v[6:7], v[28:29]
	;; [unrolled: 3-line block ×3, first 2 shown]
.LBB20_52:
	s_or_b64 exec, exec, s[16:17]
	s_lshl_b64 s[16:17], s[20:21], 9
	v_lshl_add_u64 v[6:7], v[4:5], 0, s[16:17]
	s_mov_b64 s[16:17], 0x200
	v_lshl_add_u64 v[4:5], v[6:7], 0, s[16:17]
	v_mad_u32_u24 v16, v14, s25, v11
	s_and_b64 vcc, exec, s[22:23]
	s_barrier
	s_cbranch_vccz .LBB20_82
; %bb.53:
	v_sub_co_u32_e32 v12, vcc, v6, v8
	s_ashr_i32 s25, s24, 31
	s_nop 0
	v_subbrev_co_u32_e32 v13, vcc, 0, v7, vcc
	v_or_b32_e32 v9, 32, v10
	v_lshl_add_u64 v[12:13], s[24:25], 4, v[12:13]
	v_lshl_add_u64 v[12:13], v[12:13], 0, -16
	v_cmp_gt_i32_e32 vcc, s24, v9
	s_sub_i32 s30, s24, 32
	v_cmp_le_i32_e64 s[16:17], s30, v14
	v_cndmask_b32_e32 v13, v13, v5, vcc
	v_cndmask_b32_e32 v12, v12, v4, vcc
	s_and_saveexec_b64 s[38:39], s[16:17]
	s_xor_b64 s[16:17], exec, s[38:39]
; %bb.54:
	v_mov_b32_e32 v22, 0
	v_mov_b32_e32 v23, v22
	;; [unrolled: 1-line block ×4, first 2 shown]
	ds_write_b128 v16, v[22:25]
; %bb.55:
	s_andn2_saveexec_b64 s[16:17], s[16:17]
	s_cbranch_execz .LBB20_57
; %bb.56:
	global_load_dwordx4 v[22:25], v[12:13], off
	s_waitcnt vmcnt(0)
	ds_write2_b64 v16, v[22:23], v[24:25] offset1:1
.LBB20_57:
	s_or_b64 exec, exec, s[16:17]
	v_add_u32_e32 v9, 8, v14
	v_cmp_le_i32_e64 s[16:17], s30, v9
	s_and_saveexec_b64 s[38:39], s[16:17]
	s_xor_b64 s[16:17], exec, s[38:39]
	s_cbranch_execz .LBB20_59
; %bb.58:
	s_movk_i32 s31, 0x210
	v_mov_b32_e32 v22, 0
	v_mad_u32_u24 v9, v9, s31, v11
	v_mov_b32_e32 v23, v22
	v_mov_b32_e32 v24, v22
	;; [unrolled: 1-line block ×3, first 2 shown]
	ds_write_b128 v9, v[22:25]
                                        ; implicit-def: $vgpr9
.LBB20_59:
	s_andn2_saveexec_b64 s[16:17], s[16:17]
	s_cbranch_execz .LBB20_61
; %bb.60:
	s_lshl_b64 s[38:39], s[20:21], 7
	v_lshl_add_u64 v[22:23], v[12:13], 0, s[38:39]
	global_load_dwordx4 v[22:25], v[22:23], off
	s_movk_i32 s31, 0x210
	v_mad_u32_u24 v9, v9, s31, v11
	s_waitcnt vmcnt(0)
	ds_write2_b64 v9, v[22:23], v[24:25] offset1:1
.LBB20_61:
	s_or_b64 exec, exec, s[16:17]
	v_add_u32_e32 v9, 16, v14
	v_cmp_le_i32_e64 s[16:17], s30, v9
	s_and_saveexec_b64 s[38:39], s[16:17]
	s_xor_b64 s[16:17], exec, s[38:39]
	s_cbranch_execz .LBB20_63
; %bb.62:
	s_movk_i32 s31, 0x210
	v_mov_b32_e32 v22, 0
	v_mad_u32_u24 v9, v9, s31, v11
	v_mov_b32_e32 v23, v22
	v_mov_b32_e32 v24, v22
	;; [unrolled: 1-line block ×3, first 2 shown]
	ds_write_b128 v9, v[22:25]
                                        ; implicit-def: $vgpr9
.LBB20_63:
	s_andn2_saveexec_b64 s[16:17], s[16:17]
	s_cbranch_execz .LBB20_65
; %bb.64:
	s_lshl_b64 s[38:39], s[20:21], 8
	v_lshl_add_u64 v[22:23], v[12:13], 0, s[38:39]
	global_load_dwordx4 v[22:25], v[22:23], off
	s_movk_i32 s31, 0x210
	v_mad_u32_u24 v9, v9, s31, v11
	s_waitcnt vmcnt(0)
	ds_write2_b64 v9, v[22:23], v[24:25] offset1:1
.LBB20_65:
	s_or_b64 exec, exec, s[16:17]
	v_add_u32_e32 v9, 24, v14
	v_cmp_le_i32_e64 s[16:17], s30, v9
	s_and_saveexec_b64 s[30:31], s[16:17]
	s_xor_b64 s[16:17], exec, s[30:31]
	s_cbranch_execz .LBB20_67
; %bb.66:
	s_movk_i32 s30, 0x210
	v_mov_b32_e32 v22, 0
	v_mad_u32_u24 v9, v9, s30, v11
	v_mov_b32_e32 v23, v22
	v_mov_b32_e32 v24, v22
	;; [unrolled: 1-line block ×3, first 2 shown]
	ds_write_b128 v9, v[22:25]
                                        ; implicit-def: $vgpr9
.LBB20_67:
	s_andn2_saveexec_b64 s[16:17], s[16:17]
	s_cbranch_execz .LBB20_69
; %bb.68:
	v_mov_b32_e32 v22, 0x180
	v_mad_u64_u32 v[22:23], s[30:31], s20, v22, v[12:13]
	s_mul_i32 s30, s21, 0x180
	s_nop 0
	v_add_u32_e32 v23, s30, v23
	global_load_dwordx4 v[22:25], v[22:23], off
	s_movk_i32 s30, 0x210
	v_mad_u32_u24 v9, v9, s30, v11
	s_waitcnt vmcnt(0)
	ds_write2_b64 v9, v[22:23], v[24:25] offset1:1
.LBB20_69:
	s_or_b64 exec, exec, s[16:17]
	v_mov_b32_e32 v9, 0
	v_lshl_add_u64 v[12:13], v[12:13], 0, v[8:9]
	s_lshl_b64 s[16:17], s[24:25], 4
	v_mov_b32_e32 v9, s17
	v_subrev_co_u32_e64 v12, s[16:17], s16, v12
	s_nop 1
	v_subb_co_u32_e64 v13, s[16:17], v13, v9, s[16:17]
	s_mov_b64 s[16:17], 0x210
	s_nop 0
	v_lshl_add_u64 v[12:13], v[12:13], 0, s[16:17]
	v_cndmask_b32_e32 v13, v13, v5, vcc
	v_cndmask_b32_e32 v12, v12, v4, vcc
	s_branch .LBB20_84
.LBB20_70:
	s_movk_i32 s12, 0x210
	v_mad_u32_u24 v0, v18, s12, v11
	ds_read_b128 v[0:3], v0
	s_mov_b64 s[4:5], exec
	v_add_u32_e32 v7, 16, v6
	s_waitcnt lgkmcnt(0)
	v_xor_b32_e32 v3, 0x80000000, v3
	ds_write_b64 v6, v[0:1] offset:16
	s_andn2_saveexec_b64 s[10:11], s[10:11]
	s_cbranch_execz .LBB20_40
.LBB20_71:
	v_cmp_eq_u32_e32 vcc, v18, v10
	s_mov_b64 s[12:13], s[4:5]
                                        ; implicit-def: $vgpr7
	s_and_saveexec_b64 s[16:17], vcc
; %bb.72:
	v_add_u32_e32 v7, v11, v15
	s_or_b64 s[12:13], s[4:5], exec
; %bb.73:
	s_or_b64 exec, exec, s[16:17]
	s_andn2_b64 s[4:5], s[4:5], exec
	s_and_b64 s[12:13], s[12:13], exec
	v_mov_b64_e32 v[2:3], 0
	s_or_b64 s[4:5], s[4:5], s[12:13]
	s_or_b64 exec, exec, s[10:11]
	s_and_saveexec_b64 s[10:11], s[4:5]
	s_cbranch_execnz .LBB20_41
	s_branch .LBB20_42
.LBB20_74:
	v_cmp_eq_u32_e32 vcc, v19, v10
                                        ; implicit-def: $vgpr7
	s_and_saveexec_b64 s[16:17], vcc
; %bb.75:
	s_mov_b64 s[4:5], exec
	v_add_u32_e32 v7, v11, v15
; %bb.76:
	s_or_b64 exec, exec, s[16:17]
	s_and_b64 s[4:5], s[4:5], exec
	s_or_saveexec_b64 s[12:13], s[12:13]
	v_mov_b64_e32 v[2:3], 0
	s_xor_b64 exec, exec, s[12:13]
	s_cbranch_execz .LBB20_44
.LBB20_77:
	s_movk_i32 s16, 0x210
	v_mad_u32_u24 v0, v19, s16, v11
	ds_read_b128 v[0:3], v0
	v_add_u32_e32 v7, 32, v6
	s_or_b64 s[4:5], s[4:5], exec
	s_waitcnt lgkmcnt(0)
	v_xor_b32_e32 v3, 0x80000000, v3
	ds_write_b64 v6, v[0:1] offset:32
	s_or_b64 exec, exec, s[12:13]
	s_and_saveexec_b64 s[12:13], s[4:5]
	s_cbranch_execnz .LBB20_45
	s_branch .LBB20_46
.LBB20_78:
	v_cmp_eq_u32_e32 vcc, v20, v10
                                        ; implicit-def: $vgpr7
	s_and_saveexec_b64 s[30:31], vcc
; %bb.79:
	s_mov_b64 s[4:5], exec
	v_add_u32_e32 v7, v11, v15
; %bb.80:
	s_or_b64 exec, exec, s[30:31]
	s_and_b64 s[4:5], s[4:5], exec
                                        ; implicit-def: $vgpr6
	s_or_saveexec_b64 s[16:17], s[16:17]
	v_mov_b64_e32 v[2:3], 0
	s_xor_b64 exec, exec, s[16:17]
	s_cbranch_execz .LBB20_48
.LBB20_81:
	s_movk_i32 s25, 0x210
	v_mad_u32_u24 v0, v20, s25, v11
	ds_read_b128 v[0:3], v0
	v_add_u32_e32 v7, 48, v6
	s_or_b64 s[4:5], s[4:5], exec
	s_waitcnt lgkmcnt(0)
	v_xor_b32_e32 v3, 0x80000000, v3
	ds_write_b64 v6, v[0:1] offset:48
	s_or_b64 exec, exec, s[16:17]
	s_and_saveexec_b64 s[16:17], s[4:5]
	s_cbranch_execnz .LBB20_49
	s_branch .LBB20_50
.LBB20_82:
                                        ; implicit-def: $vgpr12_vgpr13
	s_cbranch_execz .LBB20_84
; %bb.83:
	s_lshl_b64 s[16:17], s[20:21], 7
	v_lshl_add_u64 v[6:7], v[6:7], 0, s[16:17]
	global_load_dwordx4 v[22:25], v[4:5], off
	global_load_dwordx4 v[26:29], v[6:7], off offset:512
	v_lshl_add_u64 v[6:7], v[6:7], 0, s[16:17]
	v_lshl_add_u64 v[12:13], v[6:7], 0, s[16:17]
	global_load_dwordx4 v[30:33], v[6:7], off offset:512
	global_load_dwordx4 v[46:49], v[12:13], off offset:512
	v_mov_b64_e32 v[12:13], v[4:5]
	v_add_u32_e32 v6, 0x1080, v16
	v_add_u32_e32 v7, 0x2100, v16
	;; [unrolled: 1-line block ×3, first 2 shown]
	s_waitcnt vmcnt(3)
	ds_write2_b64 v16, v[22:23], v[24:25] offset1:1
	s_waitcnt vmcnt(2)
	ds_write2_b64 v6, v[26:27], v[28:29] offset1:1
	;; [unrolled: 2-line block ×4, first 2 shown]
.LBB20_84:
	v_mul_u32_u24_e32 v5, 0x840, v14
	s_mov_b64 s[16:17], 0
	s_waitcnt lgkmcnt(0)
	s_barrier
                                        ; implicit-def: $vgpr4
	s_and_saveexec_b64 s[30:31], s[6:7]
	s_xor_b64 s[6:7], exec, s[30:31]
	s_cbranch_execz .LBB20_88
; %bb.85:
	v_cmp_eq_u32_e32 vcc, v17, v10
                                        ; implicit-def: $vgpr4
	s_and_saveexec_b64 s[30:31], vcc
	s_xor_b64 s[30:31], exec, s[30:31]
; %bb.86:
	s_mov_b64 s[16:17], exec
	v_add_u32_e32 v4, v11, v15
; %bb.87:
	s_or_b64 exec, exec, s[30:31]
	s_and_b64 s[16:17], s[16:17], exec
.LBB20_88:
	s_or_saveexec_b64 s[6:7], s[6:7]
	v_mov_b64_e32 v[6:7], 0
	v_add_u32_e32 v32, v11, v5
	v_lshl_add_u32 v9, v17, 4, v43
	s_xor_b64 exec, exec, s[6:7]
	s_cbranch_execz .LBB20_90
; %bb.89:
	ds_read_b128 v[4:7], v32
	s_or_b64 s[16:17], s[16:17], exec
	s_waitcnt lgkmcnt(0)
	v_xor_b32_e32 v7, 0x80000000, v7
	ds_write_b64 v9, v[4:5]
	v_mov_b32_e32 v4, v9
.LBB20_90:
	s_or_b64 exec, exec, s[6:7]
	v_mul_u32_u24_e32 v5, 0x210, v18
	s_and_saveexec_b64 s[6:7], s[16:17]
; %bb.91:
	ds_write_b64 v4, v[6:7] offset:8
; %bb.92:
	s_or_b64 exec, exec, s[6:7]
	s_mov_b64 s[6:7], 0
	v_add_u32_e32 v45, v11, v5
                                        ; implicit-def: $vgpr6_vgpr7
                                        ; implicit-def: $vgpr17
	s_and_saveexec_b64 s[16:17], s[8:9]
	s_xor_b64 s[8:9], exec, s[16:17]
	s_cbranch_execnz .LBB20_124
; %bb.93:
	s_andn2_saveexec_b64 s[8:9], s[8:9]
	s_cbranch_execnz .LBB20_125
.LBB20_94:
	s_or_b64 exec, exec, s[8:9]
	s_and_saveexec_b64 s[8:9], s[6:7]
.LBB20_95:
	ds_write_b64 v17, v[6:7] offset:8
.LBB20_96:
	s_or_b64 exec, exec, s[8:9]
	s_mov_b64 s[6:7], 0
                                        ; implicit-def: $vgpr17
	s_and_saveexec_b64 s[8:9], s[10:11]
	s_xor_b64 s[8:9], exec, s[8:9]
	s_cbranch_execnz .LBB20_128
; %bb.97:
	s_or_saveexec_b64 s[8:9], s[8:9]
	v_mov_b64_e32 v[6:7], 0
	s_xor_b64 exec, exec, s[8:9]
	s_cbranch_execnz .LBB20_131
.LBB20_98:
	s_or_b64 exec, exec, s[8:9]
	s_and_saveexec_b64 s[8:9], s[6:7]
.LBB20_99:
	ds_write_b64 v17, v[6:7] offset:8
.LBB20_100:
	s_or_b64 exec, exec, s[8:9]
	s_mov_b64 s[6:7], 0
                                        ; implicit-def: $vgpr18
	s_and_saveexec_b64 s[8:9], s[12:13]
	s_xor_b64 s[8:9], exec, s[8:9]
	s_cbranch_execnz .LBB20_132
; %bb.101:
	s_or_saveexec_b64 s[8:9], s[8:9]
	v_mov_b64_e32 v[6:7], 0
	s_xor_b64 exec, exec, s[8:9]
	s_cbranch_execnz .LBB20_135
.LBB20_102:
	s_or_b64 exec, exec, s[8:9]
	v_add_u32_e32 v17, 0x4700, v21
	s_and_saveexec_b64 s[8:9], s[6:7]
.LBB20_103:
	ds_write_b64 v18, v[6:7] offset:8
.LBB20_104:
	s_or_b64 exec, exec, s[8:9]
	s_waitcnt lgkmcnt(0)
	s_barrier
	ds_read_b128 v[4:7], v32
	ds_read_b128 v[18:21], v17 offset:512
	ds_read_b128 v[22:25], v17 offset:528
	;; [unrolled: 1-line block ×5, first 2 shown]
	ds_read_b128 v[54:57], v45
	s_waitcnt lgkmcnt(5)
	v_mul_f64 v[30:31], v[20:21], v[6:7]
	v_mul_f64 v[6:7], v[18:19], v[6:7]
	v_fmac_f64_e32 v[6:7], v[20:21], v[4:5]
	v_fma_f64 v[30:31], v[18:19], v[4:5], -v[30:31]
	v_add_f64 v[20:21], v[6:7], 0
	ds_read_b128 v[4:7], v45 offset:528
	v_add_f64 v[18:19], v[30:31], 0
	s_waitcnt lgkmcnt(1)
	v_mul_f64 v[30:31], v[24:25], v[56:57]
	v_fma_f64 v[30:31], v[22:23], v[54:55], -v[30:31]
	v_mul_f64 v[22:23], v[22:23], v[56:57]
	v_fmac_f64_e32 v[22:23], v[24:25], v[54:55]
	v_add_f64 v[20:21], v[20:21], v[22:23]
	s_waitcnt lgkmcnt(0)
	v_mul_f64 v[22:23], v[28:29], v[6:7]
	v_mul_f64 v[6:7], v[26:27], v[6:7]
	v_add_f64 v[18:19], v[18:19], v[30:31]
	v_fma_f64 v[22:23], v[26:27], v[4:5], -v[22:23]
	v_fmac_f64_e32 v[6:7], v[28:29], v[4:5]
	v_add_f64 v[4:5], v[18:19], v[22:23]
	v_add_f64 v[6:7], v[20:21], v[6:7]
	v_mul_f64 v[18:19], v[48:49], v[52:53]
	v_mul_f64 v[20:21], v[46:47], v[52:53]
	v_fma_f64 v[18:19], v[46:47], v[50:51], -v[18:19]
	v_fmac_f64_e32 v[20:21], v[48:49], v[50:51]
	v_add_f64 v[4:5], v[4:5], v[18:19]
	v_add_f64 v[6:7], v[6:7], v[20:21]
	v_cmp_eq_u32_e64 s[6:7], 1, v14
	s_barrier
	ds_write_b128 v44, v[4:7]
	s_waitcnt lgkmcnt(0)
	s_barrier
	s_and_saveexec_b64 s[8:9], s[6:7]
	s_cbranch_execz .LBB20_106
; %bb.105:
	ds_read_b128 v[0:3], v43
	ds_read_b128 v[4:7], v43 offset:16
	ds_read_b128 v[18:21], v43 offset:32
	;; [unrolled: 1-line block ×3, first 2 shown]
	s_waitcnt lgkmcnt(2)
	v_add_f64 v[0:1], v[4:5], v[0:1]
	v_add_f64 v[4:5], v[6:7], v[2:3]
	s_waitcnt lgkmcnt(1)
	v_add_f64 v[6:7], v[0:1], v[18:19]
	ds_read_b128 v[0:3], v43 offset:64
	v_add_f64 v[4:5], v[4:5], v[20:21]
	s_waitcnt lgkmcnt(1)
	v_add_f64 v[18:19], v[6:7], v[22:23]
	v_add_f64 v[22:23], v[4:5], v[24:25]
	ds_read_b128 v[4:7], v43 offset:80
	s_waitcnt lgkmcnt(1)
	v_add_f64 v[24:25], v[18:19], v[0:1]
	ds_read_b128 v[18:21], v43 offset:96
	v_add_f64 v[22:23], v[22:23], v[2:3]
	ds_read_b128 v[0:3], v43 offset:112
	s_waitcnt lgkmcnt(2)
	v_add_f64 v[4:5], v[24:25], v[4:5]
	v_add_f64 v[6:7], v[22:23], v[6:7]
	s_waitcnt lgkmcnt(1)
	v_add_f64 v[4:5], v[4:5], v[18:19]
	v_add_f64 v[6:7], v[6:7], v[20:21]
	;; [unrolled: 3-line block ×3, first 2 shown]
.LBB20_106:
	s_or_b64 exec, exec, s[8:9]
	s_movk_i32 s8, 0xfe00
	s_mov_b32 s9, -1
	v_lshl_add_u64 v[4:5], v[12:13], 0, s[8:9]
	s_and_b64 vcc, exec, s[22:23]
	s_barrier
	s_cbranch_vccz .LBB20_136
; %bb.107:
	v_sub_co_u32_e32 v6, vcc, v12, v8
	s_ashr_i32 s25, s24, 31
	s_nop 0
	v_subbrev_co_u32_e32 v7, vcc, 0, v13, vcc
	s_movk_i32 s8, 0xfdf0
	v_lshl_add_u64 v[6:7], s[24:25], 4, v[6:7]
	s_mov_b32 s9, -1
	v_lshl_add_u64 v[6:7], v[6:7], 0, s[8:9]
	v_cmp_gt_i32_e32 vcc, s24, v10
	s_sub_i32 s10, s24, 32
	v_cmp_le_i32_e64 s[8:9], s10, v14
	v_cndmask_b32_e32 v7, v7, v5, vcc
	v_cndmask_b32_e32 v6, v6, v4, vcc
	s_and_saveexec_b64 s[12:13], s[8:9]
	s_xor_b64 s[8:9], exec, s[12:13]
; %bb.108:
	v_mov_b32_e32 v18, 0
	v_mov_b32_e32 v19, v18
	;; [unrolled: 1-line block ×4, first 2 shown]
	ds_write_b128 v16, v[18:21]
; %bb.109:
	s_andn2_saveexec_b64 s[8:9], s[8:9]
	s_cbranch_execz .LBB20_111
; %bb.110:
	global_load_dwordx4 v[18:21], v[6:7], off
	s_waitcnt vmcnt(0)
	ds_write2_b64 v16, v[18:19], v[20:21] offset1:1
.LBB20_111:
	s_or_b64 exec, exec, s[8:9]
	v_add_u32_e32 v10, 8, v14
	v_cmp_le_i32_e64 s[8:9], s10, v10
	s_and_saveexec_b64 s[12:13], s[8:9]
	s_xor_b64 s[8:9], exec, s[12:13]
	s_cbranch_execz .LBB20_113
; %bb.112:
	s_movk_i32 s11, 0x210
	v_mov_b32_e32 v18, 0
	v_mad_u32_u24 v9, v10, s11, v11
	v_mov_b32_e32 v19, v18
	v_mov_b32_e32 v20, v18
	;; [unrolled: 1-line block ×3, first 2 shown]
	ds_write_b128 v9, v[18:21]
.LBB20_113:
	s_andn2_saveexec_b64 s[8:9], s[8:9]
	s_cbranch_execz .LBB20_115
; %bb.114:
	s_lshl_b64 s[12:13], s[20:21], 7
	v_lshl_add_u64 v[18:19], v[6:7], 0, s[12:13]
	global_load_dwordx4 v[18:21], v[18:19], off
	s_movk_i32 s11, 0x210
	v_mad_u32_u24 v9, v10, s11, v11
	s_waitcnt vmcnt(0)
	ds_write2_b64 v9, v[18:19], v[20:21] offset1:1
.LBB20_115:
	s_or_b64 exec, exec, s[8:9]
	v_add_u32_e32 v15, 16, v14
	v_cmp_le_i32_e64 s[8:9], s10, v15
	s_and_saveexec_b64 s[12:13], s[8:9]
	s_xor_b64 s[8:9], exec, s[12:13]
	s_cbranch_execz .LBB20_117
; %bb.116:
	s_movk_i32 s11, 0x210
	v_mov_b32_e32 v18, 0
	v_mad_u32_u24 v9, v15, s11, v11
	v_mov_b32_e32 v19, v18
	v_mov_b32_e32 v20, v18
	;; [unrolled: 1-line block ×3, first 2 shown]
	ds_write_b128 v9, v[18:21]
.LBB20_117:
	s_andn2_saveexec_b64 s[8:9], s[8:9]
	s_cbranch_execz .LBB20_119
; %bb.118:
	s_lshl_b64 s[12:13], s[20:21], 8
	v_lshl_add_u64 v[18:19], v[6:7], 0, s[12:13]
	global_load_dwordx4 v[18:21], v[18:19], off
	s_movk_i32 s11, 0x210
	v_mad_u32_u24 v9, v15, s11, v11
	s_waitcnt vmcnt(0)
	ds_write2_b64 v9, v[18:19], v[20:21] offset1:1
.LBB20_119:
	s_or_b64 exec, exec, s[8:9]
	v_add_u32_e32 v18, 24, v14
	v_cmp_le_i32_e64 s[8:9], s10, v18
	s_and_saveexec_b64 s[10:11], s[8:9]
	s_xor_b64 s[8:9], exec, s[10:11]
	s_cbranch_execz .LBB20_121
; %bb.120:
	s_movk_i32 s10, 0x210
	v_mov_b32_e32 v20, 0
	v_mad_u32_u24 v9, v18, s10, v11
	v_mov_b32_e32 v21, v20
	v_mov_b32_e32 v22, v20
	;; [unrolled: 1-line block ×3, first 2 shown]
	ds_write_b128 v9, v[20:23]
.LBB20_121:
	s_andn2_saveexec_b64 s[8:9], s[8:9]
	s_cbranch_execz .LBB20_123
; %bb.122:
	v_mov_b32_e32 v9, 0x180
	v_mad_u64_u32 v[20:21], s[10:11], s20, v9, v[6:7]
	s_mul_i32 s10, s21, 0x180
	s_nop 0
	v_add_u32_e32 v21, s10, v21
	global_load_dwordx4 v[20:23], v[20:21], off
	s_movk_i32 s10, 0x210
	v_mad_u32_u24 v9, v18, s10, v11
	s_waitcnt vmcnt(0)
	ds_write2_b64 v9, v[20:21], v[22:23] offset1:1
.LBB20_123:
	s_or_b64 exec, exec, s[8:9]
	v_mov_b32_e32 v9, 0
	v_lshl_add_u64 v[6:7], v[6:7], 0, v[8:9]
	s_lshl_b64 s[8:9], s[24:25], 4
	v_mov_b32_e32 v8, s9
	v_subrev_co_u32_e64 v6, s[8:9], s8, v6
	s_nop 1
	v_subb_co_u32_e64 v7, s[8:9], v7, v8, s[8:9]
	v_lshl_add_u64 v[6:7], v[6:7], 0, 16
	v_cndmask_b32_e32 v41, v7, v5, vcc
	v_cndmask_b32_e32 v40, v6, v4, vcc
	s_branch .LBB20_138
.LBB20_124:
	ds_read_b128 v[4:7], v45
	s_mov_b64 s[6:7], exec
	v_add_u32_e32 v17, 16, v9
                                        ; implicit-def: $vgpr18
	s_waitcnt lgkmcnt(0)
	v_xor_b32_e32 v7, 0x80000000, v7
	ds_write_b64 v9, v[4:5] offset:16
	s_andn2_saveexec_b64 s[8:9], s[8:9]
	s_cbranch_execz .LBB20_94
.LBB20_125:
	v_cmp_eq_u32_e32 vcc, v18, v10
	s_mov_b64 s[16:17], s[6:7]
                                        ; implicit-def: $vgpr17
	s_and_saveexec_b64 s[30:31], vcc
; %bb.126:
	v_add_u32_e32 v17, v11, v15
	s_or_b64 s[16:17], s[6:7], exec
; %bb.127:
	s_or_b64 exec, exec, s[30:31]
	s_andn2_b64 s[6:7], s[6:7], exec
	s_and_b64 s[16:17], s[16:17], exec
	v_mov_b64_e32 v[6:7], 0
	s_or_b64 s[6:7], s[6:7], s[16:17]
	s_or_b64 exec, exec, s[8:9]
	s_and_saveexec_b64 s[8:9], s[6:7]
	s_cbranch_execnz .LBB20_95
	s_branch .LBB20_96
.LBB20_128:
	v_cmp_eq_u32_e32 vcc, v19, v10
                                        ; implicit-def: $vgpr17
	s_and_saveexec_b64 s[10:11], vcc
; %bb.129:
	s_mov_b64 s[6:7], exec
	v_add_u32_e32 v17, v11, v15
; %bb.130:
	s_or_b64 exec, exec, s[10:11]
	s_and_b64 s[6:7], s[6:7], exec
	s_or_saveexec_b64 s[8:9], s[8:9]
	v_mov_b64_e32 v[6:7], 0
	s_xor_b64 exec, exec, s[8:9]
	s_cbranch_execz .LBB20_98
.LBB20_131:
	ds_read_b128 v[4:7], v45 offset:528
	v_add_u32_e32 v17, 32, v9
	s_or_b64 s[6:7], s[6:7], exec
	s_waitcnt lgkmcnt(0)
	v_xor_b32_e32 v7, 0x80000000, v7
	ds_write_b64 v9, v[4:5] offset:32
	s_or_b64 exec, exec, s[8:9]
	s_and_saveexec_b64 s[8:9], s[6:7]
	s_cbranch_execnz .LBB20_99
	s_branch .LBB20_100
.LBB20_132:
	v_cmp_eq_u32_e32 vcc, v20, v10
                                        ; implicit-def: $vgpr18
	s_and_saveexec_b64 s[10:11], vcc
; %bb.133:
	s_mov_b64 s[6:7], exec
	v_add_u32_e32 v18, v11, v15
; %bb.134:
	s_or_b64 exec, exec, s[10:11]
	s_and_b64 s[6:7], s[6:7], exec
                                        ; implicit-def: $vgpr9
	s_or_saveexec_b64 s[8:9], s[8:9]
	v_mov_b64_e32 v[6:7], 0
	s_xor_b64 exec, exec, s[8:9]
	s_cbranch_execz .LBB20_102
.LBB20_135:
	ds_read_b128 v[4:7], v45 offset:1056
	v_add_u32_e32 v18, 48, v9
	s_or_b64 s[6:7], s[6:7], exec
	s_waitcnt lgkmcnt(0)
	v_xor_b32_e32 v7, 0x80000000, v7
	ds_write_b64 v9, v[4:5] offset:48
	s_or_b64 exec, exec, s[8:9]
	v_add_u32_e32 v17, 0x4700, v21
	s_and_saveexec_b64 s[8:9], s[6:7]
	s_cbranch_execnz .LBB20_103
	s_branch .LBB20_104
.LBB20_136:
                                        ; implicit-def: $vgpr40_vgpr41
                                        ; implicit-def: $vgpr10
                                        ; implicit-def: $vgpr15
                                        ; implicit-def: $vgpr18
	s_cbranch_execz .LBB20_138
; %bb.137:
	s_lshl_b64 s[8:9], s[20:21], 7
	v_lshl_add_u64 v[12:13], v[12:13], 0, s[8:9]
	global_load_dwordx4 v[6:9], v[4:5], off
	global_load_dwordx4 v[20:23], v[12:13], off offset:-512
	v_lshl_add_u64 v[12:13], v[12:13], 0, s[8:9]
	v_lshl_add_u64 v[18:19], v[12:13], 0, s[8:9]
	global_load_dwordx4 v[24:27], v[12:13], off offset:-512
	global_load_dwordx4 v[28:31], v[18:19], off offset:-512
	v_add_u32_e32 v10, 8, v14
	s_movk_i32 s8, 0x210
	v_add_u32_e32 v15, 16, v14
	v_add_u32_e32 v18, 24, v14
	v_mad_u32_u24 v11, v10, s8, v11
	v_mov_b64_e32 v[40:41], v[4:5]
	v_add_u32_e32 v12, 0x1080, v11
	v_add_u32_e32 v13, 0x2100, v11
	s_waitcnt vmcnt(3)
	ds_write2_b64 v16, v[6:7], v[8:9] offset1:1
	s_waitcnt vmcnt(2)
	ds_write2_b64 v11, v[20:21], v[22:23] offset1:1
	s_waitcnt vmcnt(1)
	ds_write2_b64 v12, v[24:25], v[26:27] offset1:1
	s_waitcnt vmcnt(0)
	ds_write2_b64 v13, v[28:29], v[30:31] offset1:1
.LBB20_138:
	v_lshlrev_b32_e32 v8, 4, v14
	v_add_u32_e32 v4, v43, v8
	v_lshlrev_b32_e32 v12, 4, v10
	s_waitcnt lgkmcnt(0)
	s_barrier
	ds_read_b128 v[4:7], v4
	ds_read_b128 v[22:25], v8 offset:18176
	v_add_u32_e32 v8, v43, v12
	v_lshlrev_b32_e32 v14, 4, v15
	ds_read_b128 v[8:11], v8
	ds_read_b128 v[46:49], v12 offset:18176
	v_add_u32_e32 v15, v43, v14
	ds_read_b128 v[50:53], v15
	ds_read_b128 v[54:57], v14 offset:18176
	v_lshlrev_b32_e32 v14, 4, v18
	v_add_u32_e32 v15, v43, v14
	ds_read_b128 v[58:61], v15
	ds_read_b128 v[62:65], v14 offset:18176
	s_waitcnt lgkmcnt(6)
	v_mul_f64 v[12:13], v[6:7], v[24:25]
	v_fmac_f64_e32 v[12:13], v[4:5], v[22:23]
	s_waitcnt lgkmcnt(4)
	v_mul_f64 v[20:21], v[10:11], v[48:49]
	v_add_f64 v[12:13], v[12:13], 0
	v_fmac_f64_e32 v[20:21], v[8:9], v[46:47]
	s_waitcnt lgkmcnt(2)
	v_mul_f64 v[14:15], v[52:53], v[56:57]
	v_mul_f64 v[6:7], v[6:7], v[22:23]
	v_add_f64 v[12:13], v[12:13], v[20:21]
	v_fmac_f64_e32 v[14:15], v[50:51], v[54:55]
	v_mul_f64 v[10:11], v[10:11], v[46:47]
	v_add_f64 v[12:13], v[12:13], v[14:15]
	s_waitcnt lgkmcnt(0)
	v_mul_f64 v[14:15], v[60:61], v[64:65]
	v_fma_f64 v[34:35], v[4:5], v[24:25], -v[6:7]
	v_fmac_f64_e32 v[14:15], v[58:59], v[62:63]
	v_fma_f64 v[8:9], v[8:9], v[48:49], -v[10:11]
	v_add_f64 v[10:11], v[34:35], 0
	v_add_f64 v[46:47], v[12:13], v[14:15]
	ds_read_b128 v[28:31], v17 offset:512
	ds_read_b128 v[20:23], v17 offset:528
	;; [unrolled: 1-line block ×4, first 2 shown]
	ds_read_b128 v[24:27], v45
	ds_read_b128 v[16:19], v45 offset:528
	v_add_f64 v[48:49], v[10:11], v[8:9]
	ds_read_b128 v[32:35], v32
	ds_read_b128 v[8:11], v45 offset:1056
	v_mul_f64 v[52:53], v[52:53], v[54:55]
	v_mul_f64 v[54:55], v[60:61], v[62:63]
	v_fma_f64 v[50:51], v[50:51], v[56:57], -v[52:53]
	v_add_f64 v[48:49], v[48:49], v[50:51]
	v_fma_f64 v[50:51], v[58:59], v[64:65], -v[54:55]
	v_add_f64 v[48:49], v[48:49], v[50:51]
	s_waitcnt lgkmcnt(0)
	s_barrier
	ds_write_b128 v44, v[46:49]
	s_waitcnt lgkmcnt(0)
	s_barrier
	s_and_saveexec_b64 s[8:9], s[6:7]
	s_cbranch_execz .LBB20_140
; %bb.139:
	ds_read_b128 v[46:49], v43
	ds_read_b128 v[50:53], v43 offset:16
	ds_read_b128 v[54:57], v43 offset:32
	;; [unrolled: 1-line block ×3, first 2 shown]
	s_waitcnt lgkmcnt(3)
	v_add_f64 v[0:1], v[0:1], v[46:47]
	v_add_f64 v[2:3], v[2:3], v[48:49]
	s_waitcnt lgkmcnt(2)
	v_add_f64 v[0:1], v[0:1], v[50:51]
	v_add_f64 v[46:47], v[2:3], v[52:53]
	s_waitcnt lgkmcnt(1)
	v_add_f64 v[48:49], v[0:1], v[54:55]
	ds_read_b128 v[0:3], v43 offset:64
	v_add_f64 v[46:47], v[46:47], v[56:57]
	s_waitcnt lgkmcnt(1)
	v_add_f64 v[50:51], v[48:49], v[58:59]
	v_add_f64 v[54:55], v[46:47], v[60:61]
	ds_read_b128 v[46:49], v43 offset:80
	s_waitcnt lgkmcnt(1)
	v_add_f64 v[56:57], v[50:51], v[0:1]
	ds_read_b128 v[50:53], v43 offset:96
	v_add_f64 v[54:55], v[54:55], v[2:3]
	ds_read_b128 v[0:3], v43 offset:112
	s_waitcnt lgkmcnt(2)
	v_add_f64 v[46:47], v[56:57], v[46:47]
	v_add_f64 v[48:49], v[54:55], v[48:49]
	s_waitcnt lgkmcnt(1)
	v_add_f64 v[46:47], v[46:47], v[50:51]
	v_add_f64 v[48:49], v[48:49], v[52:53]
	;; [unrolled: 3-line block ×3, first 2 shown]
.LBB20_140:
	s_or_b64 exec, exec, s[8:9]
	v_mul_f64 v[46:47], v[30:31], v[34:35]
	v_fma_f64 v[46:47], v[28:29], v[32:33], -v[46:47]
	v_mul_f64 v[28:29], v[28:29], v[34:35]
	v_fmac_f64_e32 v[28:29], v[30:31], v[32:33]
	v_mul_f64 v[32:33], v[22:23], v[26:27]
	v_fma_f64 v[32:33], v[20:21], v[24:25], -v[32:33]
	v_mul_f64 v[20:21], v[20:21], v[26:27]
	v_fmac_f64_e32 v[20:21], v[22:23], v[24:25]
	v_mul_f64 v[24:25], v[14:15], v[18:19]
	v_add_f64 v[30:31], v[46:47], 0
	v_add_f64 v[28:29], v[28:29], 0
	v_fma_f64 v[24:25], v[12:13], v[16:17], -v[24:25]
	v_mul_f64 v[12:13], v[12:13], v[18:19]
	v_add_f64 v[22:23], v[30:31], v[32:33]
	v_add_f64 v[20:21], v[28:29], v[20:21]
	v_fmac_f64_e32 v[12:13], v[14:15], v[16:17]
	v_mul_f64 v[16:17], v[6:7], v[10:11]
	v_mul_f64 v[10:11], v[4:5], v[10:11]
	v_add_f64 v[14:15], v[22:23], v[24:25]
	v_add_f64 v[12:13], v[20:21], v[12:13]
	v_fma_f64 v[16:17], v[4:5], v[8:9], -v[16:17]
	v_fmac_f64_e32 v[10:11], v[6:7], v[8:9]
	v_add_f64 v[4:5], v[14:15], v[16:17]
	v_add_f64 v[6:7], v[12:13], v[10:11]
	s_barrier
	ds_write_b128 v44, v[4:7]
	s_waitcnt lgkmcnt(0)
	s_barrier
	s_and_saveexec_b64 s[6:7], s[4:5]
	s_cbranch_execz .LBB20_142
; %bb.141:
	ds_read_b128 v[4:7], v43
	ds_read_b128 v[8:11], v43 offset:16
	ds_read_b128 v[12:15], v43 offset:32
	;; [unrolled: 1-line block ×3, first 2 shown]
	s_waitcnt lgkmcnt(3)
	v_add_f64 v[0:1], v[0:1], v[4:5]
	v_add_f64 v[2:3], v[2:3], v[6:7]
	s_waitcnt lgkmcnt(2)
	v_add_f64 v[0:1], v[0:1], v[8:9]
	v_add_f64 v[4:5], v[2:3], v[10:11]
	s_waitcnt lgkmcnt(1)
	v_add_f64 v[6:7], v[0:1], v[12:13]
	ds_read_b128 v[0:3], v43 offset:64
	v_add_f64 v[4:5], v[4:5], v[14:15]
	s_waitcnt lgkmcnt(1)
	v_add_f64 v[8:9], v[6:7], v[16:17]
	v_add_f64 v[12:13], v[4:5], v[18:19]
	ds_read_b128 v[4:7], v43 offset:80
	s_waitcnt lgkmcnt(1)
	v_add_f64 v[14:15], v[8:9], v[0:1]
	ds_read_b128 v[8:11], v43 offset:96
	v_add_f64 v[12:13], v[12:13], v[2:3]
	ds_read_b128 v[0:3], v43 offset:112
	s_waitcnt lgkmcnt(2)
	v_add_f64 v[4:5], v[14:15], v[4:5]
	v_add_f64 v[6:7], v[12:13], v[6:7]
	s_waitcnt lgkmcnt(1)
	v_add_f64 v[4:5], v[4:5], v[8:9]
	v_add_f64 v[6:7], v[6:7], v[10:11]
	s_waitcnt lgkmcnt(0)
	v_add_f64 v[0:1], v[4:5], v[0:1]
	v_add_f64 v[2:3], v[6:7], v[2:3]
.LBB20_142:
	s_or_b64 exec, exec, s[6:7]
	s_load_dwordx2 s[0:1], s[0:1], 0x78
	s_mul_hi_u32 s4, s35, s3
	s_mul_i32 s36, s36, s3
	s_add_i32 s4, s4, s36
	s_mul_i32 s3, s35, s3
	s_mul_i32 s4, s4, s33
	s_mul_hi_u32 s5, s3, s33
	s_add_i32 s5, s5, s4
	s_mul_i32 s4, s3, s33
	s_lshl_b64 s[4:5], s[4:5], 4
	s_waitcnt lgkmcnt(0)
	s_add_u32 s3, s0, s4
	s_addc_u32 s4, s1, s5
	s_mul_hi_i32 s1, s35, s2
	s_mul_i32 s0, s35, s2
	s_lshl_b64 s[0:1], s[0:1], 4
	s_add_u32 s6, s3, s0
	s_addc_u32 s7, s4, s1
	s_add_i32 s0, s2, 1
	s_cmp_ge_u32 s0, s33
	v_lshlrev_b32_e32 v166, 4, v202
	s_barrier
	s_cbranch_scc1 .LBB20_200
; %bb.143:
	s_mul_i32 s0, s28, s27
	s_mul_hi_u32 s1, s28, s26
	s_add_i32 s0, s1, s0
	s_mul_i32 s1, s29, s26
	s_add_i32 s1, s0, s1
	s_mul_i32 s0, s28, s26
	s_lshl_b64 s[0:1], s[0:1], 4
	v_mov_b32_e32 v4, s1
	v_subrev_co_u32_e32 v168, vcc, s0, v36
	v_and_b32_e32 v5, 15, v202
	s_nop 0
	v_subb_co_u32_e32 v169, vcc, v37, v4, vcc
	v_lshrrev_b32_e32 v4, 4, v42
	v_lshlrev_b32_e32 v6, 6, v4
	v_mul_i32_i24_e32 v44, 0xffffffd0, v4
	v_and_b32_e32 v4, 48, v202
	v_lshlrev_b32_e32 v43, 6, v203
	s_movk_i32 s4, 0x430
	v_lshlrev_b32_e32 v4, 4, v4
	v_mad_u32_u24 v210, v5, s4, v4
	v_or_b32_e32 v4, 0xf0, v166
	v_add_u32_e32 v7, 0x200, v43
	v_mad_u32_u24 v209, v5, s4, v6
	v_mad_u32_u24 v211, v5, s4, v4
	v_mad_u64_u32 v[4:5], s[4:5], s20, v7, 0
	v_mov_b32_e32 v6, v5
	v_lshlrev_b64 v[8:9], 4, v[38:39]
	v_mad_u64_u32 v[6:7], s[4:5], s21, v7, v[6:7]
	v_sub_co_u32_e32 v4, vcc, v4, v8
	v_add_u32_e32 v11, 0x530, v43
	s_nop 0
	v_subb_co_u32_e32 v5, vcc, v6, v9, vcc
	v_mad_u64_u32 v[6:7], s[4:5], s20, v11, 0
	v_mov_b32_e32 v10, v7
	v_mad_u64_u32 v[10:11], s[4:5], s21, v11, v[10:11]
	v_sub_co_u32_e32 v6, vcc, v6, v8
	v_add_u32_e32 v13, 0x220, v43
	s_nop 0
	v_subb_co_u32_e32 v7, vcc, v10, v9, vcc
	v_mad_u64_u32 v[10:11], s[4:5], s20, v13, 0
	v_mov_b32_e32 v12, v11
	;; [unrolled: 7-line block ×14, first 2 shown]
	v_mad_u64_u32 v[36:37], s[4:5], s21, v37, v[36:37]
	v_sub_co_u32_e32 v34, vcc, v34, v8
	v_add_u32_e32 v39, 0x400, v43
	s_nop 0
	v_subb_co_u32_e32 v35, vcc, v36, v9, vcc
	v_mad_u64_u32 v[36:37], s[4:5], s20, v39, 0
	v_or_b32_e32 v4, 8, v4
	v_mov_b32_e32 v38, v37
	v_mad_u64_u32 v[38:39], s[4:5], s21, v39, v[38:39]
	v_lshl_add_u64 v[170:171], v[40:41], 0, v[4:5]
	v_sub_co_u32_e32 v4, vcc, v36, v8
	v_lshlrev_b32_e32 v204, 2, v203
	s_movk_i32 s0, 0x10c0
	v_or_b32_e32 v14, 8, v14
	v_or_b32_e32 v18, 8, v18
	v_or_b32_e32 v22, 8, v22
	v_or_b32_e32 v26, 8, v26
	v_or_b32_e32 v30, 8, v30
	v_or_b32_e32 v34, 8, v34
	v_mov_b32_e32 v167, 0
	v_subb_co_u32_e32 v5, vcc, v38, v9, vcc
	v_or_b32_e32 v4, 8, v4
	s_add_i32 s3, s33, -2
	v_add_u32_e32 v205, 0x4300, v166
	v_add_u32_e32 v206, 0x4300, v43
	v_add_u32_e32 v207, 0x4700, v166
	v_mad_u32_u24 v208, v203, s0, v166
	v_cmp_gt_u32_e64 s[0:1], 64, v42
	v_or_b32_e32 v212, 1, v204
	v_or_b32_e32 v213, 2, v204
	v_or_b32_e32 v214, 3, v204
	v_add_u32_e32 v215, 16, v204
	v_add_u32_e32 v216, 17, v204
	;; [unrolled: 1-line block ×12, first 2 shown]
	s_add_i32 s22, s26, 64
	s_lshl_b64 s[8:9], s[20:21], 10
	v_lshl_add_u64 v[172:173], v[40:41], 0, v[6:7]
	v_lshl_add_u64 v[174:175], v[40:41], 0, v[10:11]
	;; [unrolled: 1-line block ×15, first 2 shown]
	v_add_u32_e32 v227, v209, v44
	v_mov_b32_e32 v228, v167
	v_mov_b32_e32 v229, v167
	;; [unrolled: 1-line block ×4, first 2 shown]
	s_cmp_eq_u32 s3, s2
	s_cselect_b32 s20, s34, 0
	s_and_saveexec_b64 s[4:5], s[14:15]
	s_cbranch_execz .LBB20_148
.LBB20_144:
	s_cmp_lg_u32 s20, 0
	s_cselect_b64 s[10:11], -1, 0
	v_cmp_le_i32_e32 vcc, s20, v202
	s_and_b64 s[10:11], s[10:11], vcc
	s_and_saveexec_b64 s[12:13], s[10:11]
	s_xor_b64 s[10:11], exec, s[12:13]
; %bb.145:
	ds_write_b128 v205, v[228:231]
; %bb.146:
	s_andn2_saveexec_b64 s[10:11], s[10:11]
	s_cbranch_execz .LBB20_148
; %bb.147:
	s_ashr_i32 s10, s22, 31
	s_mul_hi_u32 s11, s28, s22
	s_mul_i32 s10, s28, s10
	s_add_i32 s10, s11, s10
	s_mul_i32 s11, s29, s22
	s_add_i32 s11, s10, s11
	s_mul_i32 s10, s28, s22
	v_lshl_add_u64 v[4:5], s[10:11], 4, v[168:169]
	global_load_dwordx4 v[4:7], v[4:5], off
	s_waitcnt vmcnt(0)
	ds_write2_b64 v205, v[4:5], v[6:7] offset1:1
.LBB20_148:                             ; =>This Inner Loop Header: Depth=1
	s_or_b64 exec, exec, s[4:5]
	s_cmp_eq_u32 s20, 0
	s_cselect_b64 s[10:11], -1, 0
	s_cmp_lg_u32 s20, 0
	s_cselect_b64 s[12:13], -1, 0
	v_lshl_add_u64 v[16:17], v[170:171], 0, v[166:167]
	s_and_b64 vcc, exec, s[12:13]
	s_waitcnt lgkmcnt(0)
	s_barrier
	s_cbranch_vccz .LBB20_156
; %bb.149:                              ;   in Loop: Header=BB20_148 Depth=1
	v_cmp_gt_i32_e32 vcc, s20, v204
	v_mov_b64_e32 v[8:9], 0
	v_mov_b64_e32 v[4:5], 0
	;; [unrolled: 1-line block ×3, first 2 shown]
	s_and_saveexec_b64 s[4:5], vcc
	s_cbranch_execz .LBB20_151
; %bb.150:                              ;   in Loop: Header=BB20_148 Depth=1
	global_load_dwordx4 v[4:7], v[16:17], off offset:-8
.LBB20_151:                             ;   in Loop: Header=BB20_148 Depth=1
	s_or_b64 exec, exec, s[4:5]
	v_cmp_gt_i32_e32 vcc, s20, v212
	v_mov_b64_e32 v[10:11], 0
	s_and_saveexec_b64 s[4:5], vcc
	s_cbranch_execz .LBB20_153
; %bb.152:                              ;   in Loop: Header=BB20_148 Depth=1
	v_lshl_add_u64 v[8:9], v[178:179], 0, v[166:167]
	global_load_dwordx4 v[8:11], v[8:9], off offset:-8
.LBB20_153:                             ;   in Loop: Header=BB20_148 Depth=1
	s_or_b64 exec, exec, s[4:5]
	v_cmp_gt_i32_e32 vcc, s20, v213
	v_mov_b64_e32 v[12:13], 0
	v_mov_b64_e32 v[14:15], 0
	s_and_saveexec_b64 s[4:5], vcc
	s_cbranch_execz .LBB20_155
; %bb.154:                              ;   in Loop: Header=BB20_148 Depth=1
	v_lshl_add_u64 v[12:13], v[174:175], 0, v[166:167]
	global_load_dwordx4 v[12:15], v[12:13], off
.LBB20_155:                             ;   in Loop: Header=BB20_148 Depth=1
	s_or_b64 exec, exec, s[4:5]
	v_cmp_gt_i32_e64 s[4:5], s20, v214
	s_branch .LBB20_158
.LBB20_156:                             ;   in Loop: Header=BB20_148 Depth=1
	s_mov_b64 s[4:5], 0
                                        ; implicit-def: $vgpr14_vgpr15
                                        ; implicit-def: $vgpr10_vgpr11
                                        ; implicit-def: $vgpr6_vgpr7
	s_cbranch_execz .LBB20_158
; %bb.157:                              ;   in Loop: Header=BB20_148 Depth=1
	s_waitcnt vmcnt(0)
	v_lshl_add_u64 v[8:9], v[178:179], 0, v[166:167]
	v_lshl_add_u64 v[12:13], v[174:175], 0, v[166:167]
	global_load_dwordx4 v[4:7], v[16:17], off offset:-8
	s_or_b64 s[4:5], s[4:5], exec
	global_load_dwordx4 v[8:11], v[8:9], off offset:-8
	s_nop 0
	global_load_dwordx4 v[12:15], v[12:13], off
.LBB20_158:                             ;   in Loop: Header=BB20_148 Depth=1
	v_mov_b64_e32 v[16:17], 0
	v_mov_b64_e32 v[18:19], 0
	s_and_saveexec_b64 s[16:17], s[4:5]
	s_cbranch_execz .LBB20_160
; %bb.159:                              ;   in Loop: Header=BB20_148 Depth=1
	v_lshl_add_u64 v[16:17], v[182:183], 0, v[166:167]
	global_load_dwordx4 v[16:19], v[16:17], off offset:-8
.LBB20_160:                             ;   in Loop: Header=BB20_148 Depth=1
	s_or_b64 exec, exec, s[16:17]
	ds_read_b128 v[36:39], v207
	ds_read_b128 v[32:35], v206
	ds_read_b128 v[28:31], v206 offset:16
	ds_read_b128 v[24:27], v206 offset:32
	;; [unrolled: 1-line block ×3, first 2 shown]
	s_waitcnt vmcnt(0) lgkmcnt(4)
	v_mul_f64 v[40:41], v[6:7], v[38:39]
	v_mul_f64 v[42:43], v[6:7], v[36:37]
	v_fmac_f64_e32 v[40:41], v[4:5], v[36:37]
	v_fma_f64 v[42:43], v[4:5], v[38:39], -v[42:43]
	ds_write_b128 v208, v[40:43]
	v_mul_f64 v[40:41], v[10:11], v[38:39]
	v_mul_f64 v[42:43], v[10:11], v[36:37]
	v_fmac_f64_e32 v[40:41], v[8:9], v[36:37]
	v_fma_f64 v[42:43], v[8:9], v[38:39], -v[42:43]
	ds_write_b128 v208, v[40:43] offset:1072
	v_mul_f64 v[40:41], v[14:15], v[38:39]
	v_mul_f64 v[42:43], v[14:15], v[36:37]
	v_fmac_f64_e32 v[40:41], v[12:13], v[36:37]
	v_fma_f64 v[42:43], v[12:13], v[38:39], -v[42:43]
	ds_write_b128 v208, v[40:43] offset:2144
	v_mul_f64 v[40:41], v[18:19], v[38:39]
	v_fmac_f64_e32 v[40:41], v[16:17], v[36:37]
	v_mul_f64 v[36:37], v[18:19], v[36:37]
	v_fma_f64 v[42:43], v[16:17], v[38:39], -v[36:37]
	ds_write_b128 v208, v[40:43] offset:3216
	s_waitcnt lgkmcnt(0)
	s_barrier
	ds_read_b128 v[92:95], v209
	ds_read_b128 v[88:91], v209 offset:16
	ds_read_b128 v[84:87], v209 offset:32
	;; [unrolled: 1-line block ×3, first 2 shown]
	v_cndmask_b32_e64 v36, 0, 1, s[12:13]
	v_cmp_ne_u32_e64 s[4:5], 1, v36
	s_andn2_b64 vcc, exec, s[12:13]
	v_lshl_add_u64 v[48:49], v[186:187], 0, v[166:167]
	s_waitcnt lgkmcnt(0)
	s_barrier
	s_cbranch_vccnz .LBB20_168
; %bb.161:                              ;   in Loop: Header=BB20_148 Depth=1
	v_cmp_gt_i32_e32 vcc, s20, v215
	v_mov_b64_e32 v[40:41], 0
	v_mov_b64_e32 v[36:37], 0
	;; [unrolled: 1-line block ×3, first 2 shown]
	s_and_saveexec_b64 s[12:13], vcc
	s_cbranch_execz .LBB20_163
; %bb.162:                              ;   in Loop: Header=BB20_148 Depth=1
	global_load_dwordx4 v[36:39], v[48:49], off offset:-8
.LBB20_163:                             ;   in Loop: Header=BB20_148 Depth=1
	s_or_b64 exec, exec, s[12:13]
	v_cmp_gt_i32_e32 vcc, s20, v216
	v_mov_b64_e32 v[42:43], 0
	s_and_saveexec_b64 s[12:13], vcc
	s_cbranch_execz .LBB20_165
; %bb.164:                              ;   in Loop: Header=BB20_148 Depth=1
	v_lshl_add_u64 v[40:41], v[190:191], 0, v[166:167]
	global_load_dwordx4 v[40:43], v[40:41], off offset:-8
.LBB20_165:                             ;   in Loop: Header=BB20_148 Depth=1
	s_or_b64 exec, exec, s[12:13]
	v_cmp_gt_i32_e32 vcc, s20, v217
	v_mov_b64_e32 v[44:45], 0
	v_mov_b64_e32 v[46:47], 0
	s_and_saveexec_b64 s[12:13], vcc
	s_cbranch_execz .LBB20_167
; %bb.166:                              ;   in Loop: Header=BB20_148 Depth=1
	v_lshl_add_u64 v[44:45], v[194:195], 0, v[166:167]
	global_load_dwordx4 v[44:47], v[44:45], off offset:-8
.LBB20_167:                             ;   in Loop: Header=BB20_148 Depth=1
	s_or_b64 exec, exec, s[12:13]
	v_cmp_gt_i32_e64 s[12:13], s20, v218
	s_branch .LBB20_170
.LBB20_168:                             ;   in Loop: Header=BB20_148 Depth=1
	s_mov_b64 s[12:13], 0
                                        ; implicit-def: $vgpr46_vgpr47
                                        ; implicit-def: $vgpr42_vgpr43
                                        ; implicit-def: $vgpr38_vgpr39
	s_cbranch_execz .LBB20_170
; %bb.169:                              ;   in Loop: Header=BB20_148 Depth=1
	s_waitcnt vmcnt(0)
	v_lshl_add_u64 v[40:41], v[190:191], 0, v[166:167]
	v_lshl_add_u64 v[44:45], v[194:195], 0, v[166:167]
	global_load_dwordx4 v[36:39], v[48:49], off offset:-8
	s_or_b64 s[12:13], s[12:13], exec
	global_load_dwordx4 v[40:43], v[40:41], off offset:-8
	s_nop 0
	global_load_dwordx4 v[44:47], v[44:45], off offset:-8
.LBB20_170:                             ;   in Loop: Header=BB20_148 Depth=1
	v_mov_b64_e32 v[48:49], 0
	v_mov_b64_e32 v[50:51], 0
	s_and_saveexec_b64 s[16:17], s[12:13]
	s_cbranch_execz .LBB20_172
; %bb.171:                              ;   in Loop: Header=BB20_148 Depth=1
	v_lshl_add_u64 v[48:49], v[198:199], 0, v[166:167]
	global_load_dwordx4 v[48:51], v[48:49], off offset:-8
.LBB20_172:                             ;   in Loop: Header=BB20_148 Depth=1
	s_or_b64 exec, exec, s[16:17]
	ds_read_b128 v[68:71], v207
	ds_read_b128 v[64:67], v206 offset:256
	ds_read_b128 v[60:63], v206 offset:272
	;; [unrolled: 1-line block ×4, first 2 shown]
	s_waitcnt vmcnt(0) lgkmcnt(4)
	v_mul_f64 v[72:73], v[38:39], v[70:71]
	v_mul_f64 v[74:75], v[38:39], v[68:69]
	v_fmac_f64_e32 v[72:73], v[36:37], v[68:69]
	v_fma_f64 v[74:75], v[36:37], v[70:71], -v[74:75]
	ds_write_b128 v208, v[72:75]
	v_mul_f64 v[72:73], v[42:43], v[70:71]
	v_mul_f64 v[74:75], v[42:43], v[68:69]
	v_fmac_f64_e32 v[72:73], v[40:41], v[68:69]
	v_fma_f64 v[74:75], v[40:41], v[70:71], -v[74:75]
	ds_write_b128 v208, v[72:75] offset:1072
	v_mul_f64 v[72:73], v[46:47], v[70:71]
	v_mul_f64 v[74:75], v[46:47], v[68:69]
	v_fmac_f64_e32 v[72:73], v[44:45], v[68:69]
	v_fma_f64 v[74:75], v[44:45], v[70:71], -v[74:75]
	ds_write_b128 v208, v[72:75] offset:2144
	v_mul_f64 v[72:73], v[50:51], v[70:71]
	v_fmac_f64_e32 v[72:73], v[48:49], v[68:69]
	v_mul_f64 v[68:69], v[50:51], v[68:69]
	v_fma_f64 v[74:75], v[48:49], v[70:71], -v[68:69]
	ds_write_b128 v208, v[72:75] offset:3216
	s_waitcnt lgkmcnt(0)
	s_barrier
	ds_read_b128 v[144:147], v209
	ds_read_b128 v[140:143], v209 offset:16
	ds_read_b128 v[136:139], v209 offset:32
	;; [unrolled: 1-line block ×3, first 2 shown]
	s_and_b64 vcc, exec, s[4:5]
	v_lshl_add_u64 v[96:97], v[200:201], 0, v[166:167]
	s_waitcnt lgkmcnt(0)
	s_barrier
	s_cbranch_vccnz .LBB20_180
; %bb.173:                              ;   in Loop: Header=BB20_148 Depth=1
	v_cmp_gt_i32_e32 vcc, s20, v219
	v_mov_b64_e32 v[72:73], 0
	v_mov_b64_e32 v[68:69], 0
	;; [unrolled: 1-line block ×3, first 2 shown]
	s_and_saveexec_b64 s[12:13], vcc
	s_cbranch_execz .LBB20_175
; %bb.174:                              ;   in Loop: Header=BB20_148 Depth=1
	global_load_dwordx4 v[68:71], v[96:97], off offset:-8
.LBB20_175:                             ;   in Loop: Header=BB20_148 Depth=1
	s_or_b64 exec, exec, s[12:13]
	v_cmp_gt_i32_e32 vcc, s20, v220
	v_mov_b64_e32 v[74:75], 0
	s_and_saveexec_b64 s[12:13], vcc
	s_cbranch_execz .LBB20_177
; %bb.176:                              ;   in Loop: Header=BB20_148 Depth=1
	v_lshl_add_u64 v[72:73], v[196:197], 0, v[166:167]
	global_load_dwordx4 v[72:75], v[72:73], off
.LBB20_177:                             ;   in Loop: Header=BB20_148 Depth=1
	s_or_b64 exec, exec, s[12:13]
	v_cmp_gt_i32_e32 vcc, s20, v221
	v_mov_b64_e32 v[76:77], 0
	v_mov_b64_e32 v[78:79], 0
	s_and_saveexec_b64 s[12:13], vcc
	s_cbranch_execz .LBB20_179
; %bb.178:                              ;   in Loop: Header=BB20_148 Depth=1
	v_lshl_add_u64 v[76:77], v[192:193], 0, v[166:167]
	global_load_dwordx4 v[76:79], v[76:77], off
.LBB20_179:                             ;   in Loop: Header=BB20_148 Depth=1
	s_or_b64 exec, exec, s[12:13]
	v_cmp_gt_i32_e64 s[12:13], s20, v222
	s_branch .LBB20_182
.LBB20_180:                             ;   in Loop: Header=BB20_148 Depth=1
	s_mov_b64 s[12:13], 0
                                        ; implicit-def: $vgpr78_vgpr79
                                        ; implicit-def: $vgpr74_vgpr75
                                        ; implicit-def: $vgpr70_vgpr71
	s_cbranch_execz .LBB20_182
; %bb.181:                              ;   in Loop: Header=BB20_148 Depth=1
	s_waitcnt vmcnt(0)
	v_lshl_add_u64 v[72:73], v[196:197], 0, v[166:167]
	v_lshl_add_u64 v[76:77], v[192:193], 0, v[166:167]
	global_load_dwordx4 v[68:71], v[96:97], off offset:-8
	s_or_b64 s[12:13], s[12:13], exec
	global_load_dwordx4 v[72:75], v[72:73], off
	s_nop 0
	global_load_dwordx4 v[76:79], v[76:77], off
.LBB20_182:                             ;   in Loop: Header=BB20_148 Depth=1
	v_mov_b64_e32 v[96:97], 0
	v_mov_b64_e32 v[98:99], 0
	s_and_saveexec_b64 s[16:17], s[12:13]
	s_cbranch_execz .LBB20_184
; %bb.183:                              ;   in Loop: Header=BB20_148 Depth=1
	v_lshl_add_u64 v[96:97], v[188:189], 0, v[166:167]
	global_load_dwordx4 v[96:99], v[96:97], off
.LBB20_184:                             ;   in Loop: Header=BB20_148 Depth=1
	s_or_b64 exec, exec, s[16:17]
	ds_read_b128 v[116:119], v207
	ds_read_b128 v[112:115], v206 offset:512
	ds_read_b128 v[108:111], v206 offset:528
	;; [unrolled: 1-line block ×4, first 2 shown]
	s_waitcnt vmcnt(0) lgkmcnt(4)
	v_mul_f64 v[120:121], v[70:71], v[118:119]
	v_mul_f64 v[122:123], v[70:71], v[116:117]
	v_fmac_f64_e32 v[120:121], v[68:69], v[116:117]
	v_fma_f64 v[122:123], v[68:69], v[118:119], -v[122:123]
	ds_write_b128 v208, v[120:123]
	v_mul_f64 v[120:121], v[74:75], v[118:119]
	v_mul_f64 v[122:123], v[74:75], v[116:117]
	v_fmac_f64_e32 v[120:121], v[72:73], v[116:117]
	v_fma_f64 v[122:123], v[72:73], v[118:119], -v[122:123]
	ds_write_b128 v208, v[120:123] offset:1072
	v_mul_f64 v[120:121], v[78:79], v[118:119]
	v_mul_f64 v[122:123], v[78:79], v[116:117]
	v_fmac_f64_e32 v[120:121], v[76:77], v[116:117]
	v_fma_f64 v[122:123], v[76:77], v[118:119], -v[122:123]
	ds_write_b128 v208, v[120:123] offset:2144
	v_mul_f64 v[120:121], v[98:99], v[118:119]
	v_fmac_f64_e32 v[120:121], v[96:97], v[116:117]
	v_mul_f64 v[116:117], v[98:99], v[116:117]
	v_fma_f64 v[122:123], v[96:97], v[118:119], -v[116:117]
	ds_write_b128 v208, v[120:123] offset:3216
	s_waitcnt lgkmcnt(0)
	s_barrier
	ds_read_b128 v[160:163], v209
	ds_read_b128 v[156:159], v209 offset:16
	ds_read_b128 v[152:155], v209 offset:32
	;; [unrolled: 1-line block ×3, first 2 shown]
	s_and_b64 vcc, exec, s[4:5]
	v_lshl_add_u64 v[128:129], v[184:185], 0, v[166:167]
	s_waitcnt lgkmcnt(0)
	s_barrier
	s_cbranch_vccnz .LBB20_192
; %bb.185:                              ;   in Loop: Header=BB20_148 Depth=1
	v_cmp_gt_i32_e32 vcc, s20, v223
	v_mov_b64_e32 v[120:121], 0
	v_mov_b64_e32 v[116:117], 0
	;; [unrolled: 1-line block ×3, first 2 shown]
	s_and_saveexec_b64 s[4:5], vcc
	s_cbranch_execz .LBB20_187
; %bb.186:                              ;   in Loop: Header=BB20_148 Depth=1
	global_load_dwordx4 v[116:119], v[128:129], off
.LBB20_187:                             ;   in Loop: Header=BB20_148 Depth=1
	s_or_b64 exec, exec, s[4:5]
	v_cmp_gt_i32_e32 vcc, s20, v224
	v_mov_b64_e32 v[122:123], 0
	s_and_saveexec_b64 s[4:5], vcc
	s_cbranch_execz .LBB20_189
; %bb.188:                              ;   in Loop: Header=BB20_148 Depth=1
	v_lshl_add_u64 v[120:121], v[180:181], 0, v[166:167]
	global_load_dwordx4 v[120:123], v[120:121], off
.LBB20_189:                             ;   in Loop: Header=BB20_148 Depth=1
	s_or_b64 exec, exec, s[4:5]
	v_cmp_gt_i32_e32 vcc, s20, v225
	v_mov_b64_e32 v[124:125], 0
	v_mov_b64_e32 v[126:127], 0
	s_and_saveexec_b64 s[4:5], vcc
	s_cbranch_execz .LBB20_191
; %bb.190:                              ;   in Loop: Header=BB20_148 Depth=1
	v_lshl_add_u64 v[124:125], v[176:177], 0, v[166:167]
	global_load_dwordx4 v[124:127], v[124:125], off
.LBB20_191:                             ;   in Loop: Header=BB20_148 Depth=1
	s_or_b64 exec, exec, s[4:5]
	v_cmp_gt_i32_e64 s[4:5], s20, v226
	s_branch .LBB20_194
.LBB20_192:                             ;   in Loop: Header=BB20_148 Depth=1
	s_mov_b64 s[4:5], 0
                                        ; implicit-def: $vgpr126_vgpr127
                                        ; implicit-def: $vgpr122_vgpr123
                                        ; implicit-def: $vgpr118_vgpr119
	s_cbranch_execz .LBB20_194
; %bb.193:                              ;   in Loop: Header=BB20_148 Depth=1
	s_waitcnt vmcnt(0)
	v_lshl_add_u64 v[120:121], v[180:181], 0, v[166:167]
	v_lshl_add_u64 v[124:125], v[176:177], 0, v[166:167]
	global_load_dwordx4 v[116:119], v[128:129], off
	s_or_b64 s[4:5], s[4:5], exec
	global_load_dwordx4 v[120:123], v[120:121], off
	s_nop 0
	global_load_dwordx4 v[124:127], v[124:125], off
.LBB20_194:                             ;   in Loop: Header=BB20_148 Depth=1
	v_mov_b64_e32 v[128:129], 0
	v_mov_b64_e32 v[130:131], 0
	s_and_saveexec_b64 s[12:13], s[4:5]
	s_cbranch_execz .LBB20_196
; %bb.195:                              ;   in Loop: Header=BB20_148 Depth=1
	v_lshl_add_u64 v[128:129], v[172:173], 0, v[166:167]
	global_load_dwordx4 v[128:131], v[128:129], off
.LBB20_196:                             ;   in Loop: Header=BB20_148 Depth=1
	s_or_b64 exec, exec, s[12:13]
	v_add_f64 v[160:161], v[160:161], 0
	v_add_f64 v[144:145], v[144:145], 0
	;; [unrolled: 1-line block ×19, first 2 shown]
	ds_read_b128 v[140:143], v207
	ds_read_b128 v[132:135], v206 offset:768
	ds_read_b128 v[92:95], v206 offset:784
	;; [unrolled: 1-line block ×4, first 2 shown]
	s_waitcnt vmcnt(0) lgkmcnt(4)
	v_mul_f64 v[144:145], v[118:119], v[142:143]
	v_mul_f64 v[146:147], v[118:119], v[140:141]
	v_fmac_f64_e32 v[144:145], v[116:117], v[140:141]
	v_fma_f64 v[146:147], v[116:117], v[142:143], -v[146:147]
	ds_write_b128 v208, v[144:147]
	v_mul_f64 v[144:145], v[122:123], v[142:143]
	v_mul_f64 v[146:147], v[122:123], v[140:141]
	v_fmac_f64_e32 v[144:145], v[120:121], v[140:141]
	v_fma_f64 v[146:147], v[120:121], v[142:143], -v[146:147]
	ds_write_b128 v208, v[144:147] offset:1072
	v_mul_f64 v[144:145], v[126:127], v[142:143]
	v_mul_f64 v[146:147], v[126:127], v[140:141]
	v_fmac_f64_e32 v[144:145], v[124:125], v[140:141]
	v_fma_f64 v[146:147], v[124:125], v[142:143], -v[146:147]
	ds_write_b128 v208, v[144:147] offset:2144
	v_mul_f64 v[144:145], v[130:131], v[142:143]
	v_fmac_f64_e32 v[144:145], v[128:129], v[140:141]
	v_mul_f64 v[140:141], v[130:131], v[140:141]
	v_fma_f64 v[146:147], v[128:129], v[142:143], -v[140:141]
	v_add_f64 v[162:163], v[162:163], 0
	ds_write_b128 v208, v[144:147] offset:3216
	s_waitcnt lgkmcnt(0)
	s_barrier
	ds_read_b128 v[140:143], v209
	v_add_f64 v[158:159], v[162:163], v[158:159]
	v_add_f64 v[154:155], v[158:159], v[154:155]
	v_add_f64 v[150:151], v[154:155], v[150:151]
	v_add_f64 v[82:83], v[152:153], v[82:83]
	ds_read_b128 v[144:147], v209 offset:16
	ds_read_b128 v[152:155], v209 offset:32
	;; [unrolled: 1-line block ×3, first 2 shown]
	s_waitcnt lgkmcnt(3)
	v_add_f64 v[140:141], v[140:141], 0
	v_add_f64 v[142:143], v[142:143], 0
	v_cmp_gt_i32_e32 vcc, s20, v202
	s_waitcnt lgkmcnt(2)
	v_add_f64 v[140:141], v[140:141], v[144:145]
	v_add_f64 v[142:143], v[142:143], v[146:147]
	s_or_b64 s[4:5], s[10:11], vcc
	s_waitcnt lgkmcnt(1)
	v_add_f64 v[140:141], v[140:141], v[152:153]
	v_add_f64 v[142:143], v[142:143], v[154:155]
	s_and_b64 s[10:11], s[0:1], s[4:5]
	s_waitcnt lgkmcnt(0)
	v_add_f64 v[140:141], v[140:141], v[156:157]
	v_add_f64 v[142:143], v[142:143], v[158:159]
	s_barrier
	ds_write_b128 v227, v[80:83]
	ds_write_b128 v227, v[136:139] offset:256
	ds_write_b128 v227, v[148:151] offset:512
	;; [unrolled: 1-line block ×3, first 2 shown]
	s_waitcnt lgkmcnt(0)
	s_barrier
	s_and_saveexec_b64 s[4:5], s[10:11]
	s_cbranch_execz .LBB20_198
; %bb.197:                              ;   in Loop: Header=BB20_148 Depth=1
	ds_read_b128 v[80:83], v210
	ds_read_b128 v[136:139], v210 offset:16
	ds_read_b128 v[140:143], v210 offset:32
	;; [unrolled: 1-line block ×3, first 2 shown]
	s_waitcnt lgkmcnt(2)
	v_add_f64 v[80:81], v[136:137], v[80:81]
	v_add_f64 v[136:137], v[138:139], v[82:83]
	s_waitcnt lgkmcnt(1)
	v_add_f64 v[138:139], v[80:81], v[140:141]
	ds_read_b128 v[80:83], v210 offset:64
	v_add_f64 v[140:141], v[136:137], v[142:143]
	s_waitcnt lgkmcnt(1)
	v_add_f64 v[142:143], v[138:139], v[144:145]
	ds_read_b128 v[136:139], v210 offset:80
	;; [unrolled: 4-line block ×9, first 2 shown]
	v_add_f64 v[82:83], v[144:145], v[82:83]
	s_waitcnt lgkmcnt(1)
	v_add_f64 v[136:137], v[80:81], v[136:137]
	v_add_f64 v[144:145], v[82:83], v[138:139]
	ds_read_b128 v[80:83], v210 offset:208
	s_waitcnt lgkmcnt(1)
	v_add_f64 v[146:147], v[136:137], v[140:141]
	ds_read_b128 v[136:139], v210 offset:224
	v_add_f64 v[144:145], v[144:145], v[142:143]
	ds_read_b128 v[140:143], v211
	s_waitcnt lgkmcnt(2)
	v_add_f64 v[80:81], v[146:147], v[80:81]
	v_add_f64 v[82:83], v[144:145], v[82:83]
	s_waitcnt lgkmcnt(1)
	v_add_f64 v[80:81], v[80:81], v[136:137]
	v_add_u32_e32 v136, s22, v202
	v_add_f64 v[82:83], v[82:83], v[138:139]
	v_ashrrev_i32_e32 v137, 31, v136
	s_waitcnt lgkmcnt(0)
	v_add_f64 v[80:81], v[80:81], v[140:141]
	v_add_f64 v[82:83], v[82:83], v[142:143]
	v_lshl_add_u64 v[136:137], v[136:137], 4, s[6:7]
	global_store_dwordx4 v[136:137], v[80:83], off
.LBB20_198:                             ;   in Loop: Header=BB20_148 Depth=1
	s_or_b64 exec, exec, s[4:5]
	s_nop 0
	v_mul_f64 v[80:81], v[6:7], v[34:35]
	v_fma_f64 v[80:81], v[4:5], v[32:33], -v[80:81]
	v_mul_f64 v[4:5], v[4:5], v[34:35]
	v_mul_f64 v[34:35], v[10:11], v[30:31]
	v_add_f64 v[0:1], v[0:1], v[80:81]
	v_fma_f64 v[34:35], v[8:9], v[28:29], -v[34:35]
	v_mul_f64 v[8:9], v[8:9], v[30:31]
	v_mul_f64 v[30:31], v[14:15], v[26:27]
	v_add_f64 v[0:1], v[0:1], v[34:35]
	v_fma_f64 v[30:31], v[12:13], v[24:25], -v[30:31]
	v_mul_f64 v[12:13], v[12:13], v[26:27]
	v_mul_f64 v[26:27], v[18:19], v[22:23]
	v_fmac_f64_e32 v[4:5], v[6:7], v[32:33]
	v_add_f64 v[0:1], v[0:1], v[30:31]
	v_fma_f64 v[26:27], v[16:17], v[20:21], -v[26:27]
	v_add_f64 v[2:3], v[2:3], v[4:5]
	v_mul_f64 v[4:5], v[38:39], v[66:67]
	v_add_f64 v[0:1], v[0:1], v[26:27]
	v_fma_f64 v[4:5], v[36:37], v[64:65], -v[4:5]
	v_add_f64 v[0:1], v[0:1], v[4:5]
	v_mul_f64 v[4:5], v[42:43], v[62:63]
	v_fma_f64 v[4:5], v[40:41], v[60:61], -v[4:5]
	v_add_f64 v[0:1], v[0:1], v[4:5]
	v_mul_f64 v[4:5], v[46:47], v[58:59]
	;; [unrolled: 3-line block ×4, first 2 shown]
	v_fmac_f64_e32 v[8:9], v[10:11], v[28:29]
	v_fma_f64 v[4:5], v[68:69], v[112:113], -v[4:5]
	v_mul_f64 v[16:17], v[16:17], v[22:23]
	v_add_f64 v[2:3], v[2:3], v[8:9]
	v_fmac_f64_e32 v[12:13], v[14:15], v[24:25]
	v_add_f64 v[0:1], v[0:1], v[4:5]
	v_mul_f64 v[4:5], v[74:75], v[110:111]
	v_add_f64 v[2:3], v[2:3], v[12:13]
	v_fmac_f64_e32 v[16:17], v[18:19], v[20:21]
	v_mul_f64 v[6:7], v[36:37], v[66:67]
	v_fma_f64 v[4:5], v[72:73], v[108:109], -v[4:5]
	v_add_f64 v[2:3], v[2:3], v[16:17]
	v_mul_f64 v[8:9], v[40:41], v[62:63]
	v_fmac_f64_e32 v[6:7], v[38:39], v[64:65]
	v_add_f64 v[0:1], v[0:1], v[4:5]
	v_mul_f64 v[4:5], v[78:79], v[106:107]
	v_mul_f64 v[10:11], v[44:45], v[58:59]
	v_add_f64 v[2:3], v[2:3], v[6:7]
	v_fmac_f64_e32 v[8:9], v[42:43], v[60:61]
	v_fma_f64 v[4:5], v[76:77], v[104:105], -v[4:5]
	v_mul_f64 v[12:13], v[48:49], v[54:55]
	v_add_f64 v[2:3], v[2:3], v[8:9]
	v_fmac_f64_e32 v[10:11], v[46:47], v[56:57]
	v_add_f64 v[0:1], v[0:1], v[4:5]
	v_mul_f64 v[4:5], v[98:99], v[102:103]
	v_add_f64 v[2:3], v[2:3], v[10:11]
	v_fmac_f64_e32 v[12:13], v[50:51], v[52:53]
	v_mul_f64 v[6:7], v[68:69], v[114:115]
	v_fma_f64 v[4:5], v[96:97], v[100:101], -v[4:5]
	v_add_f64 v[2:3], v[2:3], v[12:13]
	v_mul_f64 v[8:9], v[72:73], v[110:111]
	v_add_f64 v[0:1], v[0:1], v[4:5]
	v_fmac_f64_e32 v[6:7], v[70:71], v[112:113]
	v_mul_f64 v[4:5], v[118:119], v[134:135]
	v_mul_f64 v[10:11], v[76:77], v[106:107]
	v_add_f64 v[2:3], v[2:3], v[6:7]
	v_fmac_f64_e32 v[8:9], v[74:75], v[108:109]
	v_fma_f64 v[4:5], v[116:117], v[132:133], -v[4:5]
	v_mul_f64 v[12:13], v[96:97], v[102:103]
	v_add_f64 v[2:3], v[2:3], v[8:9]
	v_fmac_f64_e32 v[10:11], v[78:79], v[104:105]
	v_add_f64 v[0:1], v[0:1], v[4:5]
	v_mul_f64 v[4:5], v[122:123], v[94:95]
	v_add_f64 v[2:3], v[2:3], v[10:11]
	v_fmac_f64_e32 v[12:13], v[98:99], v[100:101]
	v_mul_f64 v[6:7], v[116:117], v[134:135]
	v_fma_f64 v[4:5], v[120:121], v[92:93], -v[4:5]
	v_add_f64 v[2:3], v[2:3], v[12:13]
	v_mul_f64 v[8:9], v[120:121], v[94:95]
	v_add_f64 v[0:1], v[0:1], v[4:5]
	v_mul_f64 v[4:5], v[126:127], v[90:91]
	v_fmac_f64_e32 v[6:7], v[118:119], v[132:133]
	v_fma_f64 v[4:5], v[124:125], v[88:89], -v[4:5]
	v_mul_f64 v[10:11], v[124:125], v[90:91]
	v_fmac_f64_e32 v[8:9], v[122:123], v[92:93]
	v_add_f64 v[2:3], v[2:3], v[6:7]
	v_add_f64 v[0:1], v[0:1], v[4:5]
	v_mul_f64 v[4:5], v[130:131], v[86:87]
	v_mul_f64 v[12:13], v[128:129], v[86:87]
	v_fmac_f64_e32 v[10:11], v[126:127], v[88:89]
	v_add_f64 v[2:3], v[2:3], v[8:9]
	v_fma_f64 v[4:5], v[128:129], v[84:85], -v[4:5]
	v_fmac_f64_e32 v[12:13], v[130:131], v[84:85]
	v_add_f64 v[2:3], v[2:3], v[10:11]
	s_add_i32 s4, s2, 1
	s_add_i32 s22, s22, 64
	;; [unrolled: 1-line block ×3, first 2 shown]
	v_add_f64 v[0:1], v[0:1], v[4:5]
	v_add_f64 v[2:3], v[2:3], v[12:13]
	v_lshl_add_u64 v[170:171], v[170:171], 0, s[8:9]
	v_lshl_add_u64 v[172:173], v[172:173], 0, s[8:9]
	;; [unrolled: 1-line block ×15, first 2 shown]
	s_cmp_ge_u32 s2, s33
	v_lshl_add_u64 v[200:201], v[200:201], 0, s[8:9]
	s_barrier
	s_cbranch_scc1 .LBB20_200
; %bb.199:                              ;   in Loop: Header=BB20_148 Depth=1
	s_mov_b32 s2, s4
	s_cmp_eq_u32 s3, s2
	s_cselect_b32 s20, s34, 0
	s_and_saveexec_b64 s[4:5], s[14:15]
	s_cbranch_execnz .LBB20_144
	s_branch .LBB20_148
.LBB20_200:
	s_movk_i32 s0, 0x430
	v_cmp_gt_i32_e32 vcc, s24, v202
	v_mad_u32_u24 v4, v203, s0, v166
	s_or_b64 s[0:1], s[18:19], vcc
	s_and_b64 s[0:1], s[14:15], s[0:1]
	ds_write_b128 v4, v[0:3]
	s_waitcnt lgkmcnt(0)
	s_barrier
	s_and_saveexec_b64 s[2:3], s[0:1]
	s_cbranch_execz .LBB20_202
; %bb.201:
	ds_read_b128 v[0:3], v166 offset:1072
	ds_read_b128 v[4:7], v166
	ds_read_b128 v[8:11], v166 offset:2144
	ds_read_b128 v[12:15], v166 offset:3216
	s_waitcnt lgkmcnt(2)
	v_add_f64 v[0:1], v[0:1], v[4:5]
	v_add_f64 v[2:3], v[2:3], v[6:7]
	s_waitcnt lgkmcnt(1)
	v_add_f64 v[0:1], v[0:1], v[8:9]
	v_add_f64 v[2:3], v[2:3], v[10:11]
	;; [unrolled: 3-line block ×3, first 2 shown]
	v_lshl_add_u64 v[4:5], v[164:165], 4, s[6:7]
	global_store_dwordx4 v[4:5], v[0:3], off
.LBB20_202:
	s_endpgm
	.section	.rodata,"a",@progbits
	.p2align	6, 0x0
	.amdhsa_kernel _ZL26rocblas_hemvn_kernel_upperILb1ELi64ELi4ELi33ELi32ELi16El19rocblas_complex_numIdEPKS1_PS1_EviT6_lT7_lT5_lS6_lS7_lS5_lT8_i
		.amdhsa_group_segment_fixed_size 19200
		.amdhsa_private_segment_fixed_size 0
		.amdhsa_kernarg_size 392
		.amdhsa_user_sgpr_count 2
		.amdhsa_user_sgpr_dispatch_ptr 0
		.amdhsa_user_sgpr_queue_ptr 0
		.amdhsa_user_sgpr_kernarg_segment_ptr 1
		.amdhsa_user_sgpr_dispatch_id 0
		.amdhsa_user_sgpr_kernarg_preload_length 0
		.amdhsa_user_sgpr_kernarg_preload_offset 0
		.amdhsa_user_sgpr_private_segment_size 0
		.amdhsa_uses_dynamic_stack 0
		.amdhsa_enable_private_segment 0
		.amdhsa_system_sgpr_workgroup_id_x 1
		.amdhsa_system_sgpr_workgroup_id_y 0
		.amdhsa_system_sgpr_workgroup_id_z 1
		.amdhsa_system_sgpr_workgroup_info 0
		.amdhsa_system_vgpr_workitem_id 1
		.amdhsa_next_free_vgpr 232
		.amdhsa_next_free_sgpr 40
		.amdhsa_accum_offset 232
		.amdhsa_reserve_vcc 1
		.amdhsa_float_round_mode_32 0
		.amdhsa_float_round_mode_16_64 0
		.amdhsa_float_denorm_mode_32 3
		.amdhsa_float_denorm_mode_16_64 3
		.amdhsa_dx10_clamp 1
		.amdhsa_ieee_mode 1
		.amdhsa_fp16_overflow 0
		.amdhsa_tg_split 0
		.amdhsa_exception_fp_ieee_invalid_op 0
		.amdhsa_exception_fp_denorm_src 0
		.amdhsa_exception_fp_ieee_div_zero 0
		.amdhsa_exception_fp_ieee_overflow 0
		.amdhsa_exception_fp_ieee_underflow 0
		.amdhsa_exception_fp_ieee_inexact 0
		.amdhsa_exception_int_div_zero 0
	.end_amdhsa_kernel
	.section	.text._ZL26rocblas_hemvn_kernel_upperILb1ELi64ELi4ELi33ELi32ELi16El19rocblas_complex_numIdEPKS1_PS1_EviT6_lT7_lT5_lS6_lS7_lS5_lT8_i,"axG",@progbits,_ZL26rocblas_hemvn_kernel_upperILb1ELi64ELi4ELi33ELi32ELi16El19rocblas_complex_numIdEPKS1_PS1_EviT6_lT7_lT5_lS6_lS7_lS5_lT8_i,comdat
.Lfunc_end20:
	.size	_ZL26rocblas_hemvn_kernel_upperILb1ELi64ELi4ELi33ELi32ELi16El19rocblas_complex_numIdEPKS1_PS1_EviT6_lT7_lT5_lS6_lS7_lS5_lT8_i, .Lfunc_end20-_ZL26rocblas_hemvn_kernel_upperILb1ELi64ELi4ELi33ELi32ELi16El19rocblas_complex_numIdEPKS1_PS1_EviT6_lT7_lT5_lS6_lS7_lS5_lT8_i
                                        ; -- End function
	.set _ZL26rocblas_hemvn_kernel_upperILb1ELi64ELi4ELi33ELi32ELi16El19rocblas_complex_numIdEPKS1_PS1_EviT6_lT7_lT5_lS6_lS7_lS5_lT8_i.num_vgpr, 232
	.set _ZL26rocblas_hemvn_kernel_upperILb1ELi64ELi4ELi33ELi32ELi16El19rocblas_complex_numIdEPKS1_PS1_EviT6_lT7_lT5_lS6_lS7_lS5_lT8_i.num_agpr, 0
	.set _ZL26rocblas_hemvn_kernel_upperILb1ELi64ELi4ELi33ELi32ELi16El19rocblas_complex_numIdEPKS1_PS1_EviT6_lT7_lT5_lS6_lS7_lS5_lT8_i.numbered_sgpr, 40
	.set _ZL26rocblas_hemvn_kernel_upperILb1ELi64ELi4ELi33ELi32ELi16El19rocblas_complex_numIdEPKS1_PS1_EviT6_lT7_lT5_lS6_lS7_lS5_lT8_i.num_named_barrier, 0
	.set _ZL26rocblas_hemvn_kernel_upperILb1ELi64ELi4ELi33ELi32ELi16El19rocblas_complex_numIdEPKS1_PS1_EviT6_lT7_lT5_lS6_lS7_lS5_lT8_i.private_seg_size, 0
	.set _ZL26rocblas_hemvn_kernel_upperILb1ELi64ELi4ELi33ELi32ELi16El19rocblas_complex_numIdEPKS1_PS1_EviT6_lT7_lT5_lS6_lS7_lS5_lT8_i.uses_vcc, 1
	.set _ZL26rocblas_hemvn_kernel_upperILb1ELi64ELi4ELi33ELi32ELi16El19rocblas_complex_numIdEPKS1_PS1_EviT6_lT7_lT5_lS6_lS7_lS5_lT8_i.uses_flat_scratch, 0
	.set _ZL26rocblas_hemvn_kernel_upperILb1ELi64ELi4ELi33ELi32ELi16El19rocblas_complex_numIdEPKS1_PS1_EviT6_lT7_lT5_lS6_lS7_lS5_lT8_i.has_dyn_sized_stack, 0
	.set _ZL26rocblas_hemvn_kernel_upperILb1ELi64ELi4ELi33ELi32ELi16El19rocblas_complex_numIdEPKS1_PS1_EviT6_lT7_lT5_lS6_lS7_lS5_lT8_i.has_recursion, 0
	.set _ZL26rocblas_hemvn_kernel_upperILb1ELi64ELi4ELi33ELi32ELi16El19rocblas_complex_numIdEPKS1_PS1_EviT6_lT7_lT5_lS6_lS7_lS5_lT8_i.has_indirect_call, 0
	.section	.AMDGPU.csdata,"",@progbits
; Kernel info:
; codeLenInByte = 11196
; TotalNumSgprs: 46
; NumVgprs: 232
; NumAgprs: 0
; TotalNumVgprs: 232
; ScratchSize: 0
; MemoryBound: 1
; FloatMode: 240
; IeeeMode: 1
; LDSByteSize: 19200 bytes/workgroup (compile time only)
; SGPRBlocks: 5
; VGPRBlocks: 28
; NumSGPRsForWavesPerEU: 46
; NumVGPRsForWavesPerEU: 232
; AccumOffset: 232
; Occupancy: 2
; WaveLimiterHint : 0
; COMPUTE_PGM_RSRC2:SCRATCH_EN: 0
; COMPUTE_PGM_RSRC2:USER_SGPR: 2
; COMPUTE_PGM_RSRC2:TRAP_HANDLER: 0
; COMPUTE_PGM_RSRC2:TGID_X_EN: 1
; COMPUTE_PGM_RSRC2:TGID_Y_EN: 0
; COMPUTE_PGM_RSRC2:TGID_Z_EN: 1
; COMPUTE_PGM_RSRC2:TIDIG_COMP_CNT: 1
; COMPUTE_PGM_RSRC3_GFX90A:ACCUM_OFFSET: 57
; COMPUTE_PGM_RSRC3_GFX90A:TG_SPLIT: 0
	.section	.text._ZL36rocblas_hemvn_kernel_upper_block_sumILi64El19rocblas_complex_numIdEPS1_S1_EviT1_lS3_lT2_lT0_lPT3_i,"axG",@progbits,_ZL36rocblas_hemvn_kernel_upper_block_sumILi64El19rocblas_complex_numIdEPS1_S1_EviT1_lS3_lT2_lT0_lPT3_i,comdat
	.globl	_ZL36rocblas_hemvn_kernel_upper_block_sumILi64El19rocblas_complex_numIdEPS1_S1_EviT1_lS3_lT2_lT0_lPT3_i ; -- Begin function _ZL36rocblas_hemvn_kernel_upper_block_sumILi64El19rocblas_complex_numIdEPS1_S1_EviT1_lS3_lT2_lT0_lPT3_i
	.p2align	8
	.type	_ZL36rocblas_hemvn_kernel_upper_block_sumILi64El19rocblas_complex_numIdEPS1_S1_EviT1_lS3_lT2_lT0_lPT3_i,@function
_ZL36rocblas_hemvn_kernel_upper_block_sumILi64El19rocblas_complex_numIdEPS1_S1_EviT1_lS3_lT2_lT0_lPT3_i: ; @_ZL36rocblas_hemvn_kernel_upper_block_sumILi64El19rocblas_complex_numIdEPS1_S1_EviT1_lS3_lT2_lT0_lPT3_i
; %bb.0:
	s_load_dwordx4 s[16:19], s[0:1], 0x8
	s_load_dwordx4 s[12:15], s[0:1], 0x20
	s_waitcnt lgkmcnt(0)
	v_cmp_neq_f64_e64 s[4:5], s[16:17], 0
	v_cmp_neq_f64_e64 s[6:7], s[18:19], 0
	s_or_b64 s[20:21], s[4:5], s[6:7]
	s_mov_b64 s[4:5], -1
	s_and_b64 vcc, exec, s[20:21]
	s_cbranch_vccnz .LBB21_2
; %bb.1:
	v_cmp_neq_f64_e64 s[4:5], s[12:13], 1.0
	v_cmp_neq_f64_e64 s[6:7], s[14:15], 0
	s_or_b64 s[4:5], s[4:5], s[6:7]
.LBB21_2:
	s_andn2_b64 vcc, exec, s[4:5]
	s_cbranch_vccnz .LBB21_22
; %bb.3:
	s_load_dwordx8 s[4:11], s[0:1], 0x40
	s_load_dwordx2 s[24:25], s[0:1], 0x38
	s_load_dword s22, s[0:1], 0x0
	s_xor_b64 s[20:21], s[20:21], -1
	v_lshl_or_b32 v4, s2, 6, v0
	s_waitcnt lgkmcnt(0)
	s_mul_i32 s9, s9, s3
	s_mul_hi_u32 s23, s8, s3
	s_add_i32 s9, s23, s9
	s_mul_i32 s8, s8, s3
	s_lshl_b64 s[8:9], s[8:9], 4
	s_add_u32 s8, s24, s8
	s_addc_u32 s9, s25, s9
	s_lshl_b64 s[4:5], s[4:5], 4
	s_add_u32 s8, s8, s4
	s_addc_u32 s9, s9, s5
	s_andn2_b64 vcc, exec, s[20:21]
	v_cmp_gt_i32_e64 s[4:5], s22, v4
	s_cbranch_vccnz .LBB21_8
; %bb.4:
	s_mov_b64 s[24:25], 0
	s_mov_b64 s[20:21], 0
                                        ; implicit-def: $vgpr2_vgpr3
                                        ; implicit-def: $vgpr6_vgpr7
	s_and_saveexec_b64 s[26:27], s[4:5]
	s_cbranch_execz .LBB21_9
; %bb.5:
	v_cmp_neq_f64_e64 s[4:5], s[12:13], 0
	v_cmp_neq_f64_e64 s[20:21], s[14:15], 0
	v_ashrrev_i32_e32 v0, 31, v4
	v_mul_lo_u32 v1, s7, v4
	v_mul_lo_u32 v0, s6, v0
	v_mad_u64_u32 v[6:7], s[28:29], s6, v4, 0
	s_or_b64 s[4:5], s[4:5], s[20:21]
	v_mov_b64_e32 v[2:3], 0
	v_add3_u32 v7, v7, v0, v1
	s_andn2_b64 vcc, exec, s[4:5]
	v_mov_b64_e32 v[0:1], 0
	s_cbranch_vccnz .LBB21_7
; %bb.6:
	v_lshl_add_u64 v[0:1], v[6:7], 4, s[8:9]
	global_load_dwordx4 v[8:11], v[0:1], off
	s_waitcnt vmcnt(0)
	v_mul_f64 v[0:1], s[14:15], v[10:11]
	v_mul_f64 v[2:3], s[12:13], v[10:11]
	v_fma_f64 v[0:1], s[12:13], v[8:9], -v[0:1]
	v_fmac_f64_e32 v[2:3], s[14:15], v[8:9]
.LBB21_7:
	s_mov_b64 s[20:21], exec
	s_or_b64 exec, exec, s[26:27]
	s_and_b64 vcc, exec, s[24:25]
	s_cbranch_vccnz .LBB21_10
	s_branch .LBB21_20
.LBB21_8:
	s_mov_b64 s[20:21], 0
                                        ; implicit-def: $vgpr2_vgpr3
                                        ; implicit-def: $vgpr6_vgpr7
	s_cbranch_execnz .LBB21_10
	s_branch .LBB21_20
.LBB21_9:
	s_or_b64 exec, exec, s[26:27]
	s_and_b64 vcc, exec, s[24:25]
	s_cbranch_vccz .LBB21_20
.LBB21_10:
	v_cmp_gt_i32_e32 vcc, s22, v4
                                        ; implicit-def: $vgpr2_vgpr3
                                        ; implicit-def: $vgpr6_vgpr7
	s_and_saveexec_b64 s[4:5], vcc
	s_cbranch_execz .LBB21_19
; %bb.11:
	v_ashrrev_i32_e32 v5, 31, v4
	v_mov_b64_e32 v[0:1], 0
	s_cmp_lt_i32 s2, 0
	v_mov_b64_e32 v[6:7], 0
	s_cbranch_scc1 .LBB21_14
; %bb.12:
	s_load_dword s0, s[0:1], 0x68
	s_ashr_i32 s23, s22, 31
	s_mul_hi_u32 s1, s22, s3
	s_mul_i32 s24, s23, s3
	s_add_i32 s1, s1, s24
	s_mul_i32 s3, s22, s3
	s_waitcnt lgkmcnt(0)
	s_mul_i32 s1, s1, s0
	s_mul_hi_u32 s24, s3, s0
	s_add_i32 s1, s24, s1
	s_mul_i32 s0, s3, s0
	s_add_i32 s2, s2, 1
	s_lshl_b64 s[0:1], s[0:1], 4
	s_add_u32 s0, s10, s0
	s_addc_u32 s1, s11, s1
	v_lshl_add_u64 v[0:1], v[4:5], 4, s[0:1]
	v_lshl_add_u64 v[2:3], v[0:1], 0, 8
	s_lshl_b64 s[0:1], s[22:23], 4
	v_mov_b64_e32 v[0:1], 0
	v_mov_b64_e32 v[6:7], 0
.LBB21_13:                              ; =>This Inner Loop Header: Depth=1
	global_load_dwordx4 v[8:11], v[2:3], off offset:-8
	s_add_i32 s2, s2, -1
	v_lshl_add_u64 v[2:3], v[2:3], 0, s[0:1]
	s_cmp_eq_u32 s2, 0
	s_waitcnt vmcnt(0)
	v_add_f64 v[6:7], v[6:7], v[8:9]
	v_add_f64 v[0:1], v[0:1], v[10:11]
	s_cbranch_scc0 .LBB21_13
.LBB21_14:
	v_cmp_neq_f64_e64 s[2:3], s[12:13], 0
	v_cmp_neq_f64_e64 s[10:11], s[14:15], 0
	s_or_b64 s[2:3], s[2:3], s[10:11]
	v_mul_f64 v[8:9], s[18:19], v[0:1]
	v_mul_f64 v[2:3], s[16:17], v[0:1]
	s_mov_b64 s[0:1], 0
	s_andn2_b64 vcc, exec, s[2:3]
	v_fma_f64 v[0:1], s[16:17], v[6:7], -v[8:9]
	v_fmac_f64_e32 v[2:3], s[18:19], v[6:7]
	v_mul_lo_u32 v8, s7, v4
	v_mul_lo_u32 v5, s6, v5
	s_cbranch_vccz .LBB21_16
; %bb.15:
	v_mad_u64_u32 v[6:7], s[2:3], s6, v4, 0
	v_add3_u32 v7, v7, v5, v8
	s_andn2_b64 vcc, exec, s[0:1]
	s_cbranch_vccz .LBB21_17
	s_branch .LBB21_18
.LBB21_16:
                                        ; implicit-def: $vgpr6_vgpr7
.LBB21_17:
	v_mad_u64_u32 v[6:7], s[0:1], s6, v4, 0
	v_add3_u32 v7, v7, v5, v8
	v_lshl_add_u64 v[4:5], v[6:7], 4, s[8:9]
	global_load_dwordx4 v[8:11], v[4:5], off
	s_waitcnt vmcnt(0)
	v_mul_f64 v[4:5], s[14:15], v[10:11]
	v_mul_f64 v[10:11], s[12:13], v[10:11]
	v_fma_f64 v[4:5], s[12:13], v[8:9], -v[4:5]
	v_fmac_f64_e32 v[10:11], s[14:15], v[8:9]
	v_add_f64 v[0:1], v[0:1], v[4:5]
	v_add_f64 v[2:3], v[2:3], v[10:11]
.LBB21_18:
	s_or_b64 s[20:21], s[20:21], exec
.LBB21_19:
	s_or_b64 exec, exec, s[4:5]
.LBB21_20:
	s_and_saveexec_b64 s[0:1], s[20:21]
	s_cbranch_execz .LBB21_22
; %bb.21:
	v_lshl_add_u64 v[4:5], v[6:7], 4, s[8:9]
	global_store_dwordx4 v[4:5], v[0:3], off
.LBB21_22:
	s_endpgm
	.section	.rodata,"a",@progbits
	.p2align	6, 0x0
	.amdhsa_kernel _ZL36rocblas_hemvn_kernel_upper_block_sumILi64El19rocblas_complex_numIdEPS1_S1_EviT1_lS3_lT2_lT0_lPT3_i
		.amdhsa_group_segment_fixed_size 0
		.amdhsa_private_segment_fixed_size 0
		.amdhsa_kernarg_size 360
		.amdhsa_user_sgpr_count 2
		.amdhsa_user_sgpr_dispatch_ptr 0
		.amdhsa_user_sgpr_queue_ptr 0
		.amdhsa_user_sgpr_kernarg_segment_ptr 1
		.amdhsa_user_sgpr_dispatch_id 0
		.amdhsa_user_sgpr_kernarg_preload_length 0
		.amdhsa_user_sgpr_kernarg_preload_offset 0
		.amdhsa_user_sgpr_private_segment_size 0
		.amdhsa_uses_dynamic_stack 0
		.amdhsa_enable_private_segment 0
		.amdhsa_system_sgpr_workgroup_id_x 1
		.amdhsa_system_sgpr_workgroup_id_y 0
		.amdhsa_system_sgpr_workgroup_id_z 1
		.amdhsa_system_sgpr_workgroup_info 0
		.amdhsa_system_vgpr_workitem_id 0
		.amdhsa_next_free_vgpr 12
		.amdhsa_next_free_sgpr 30
		.amdhsa_accum_offset 12
		.amdhsa_reserve_vcc 1
		.amdhsa_float_round_mode_32 0
		.amdhsa_float_round_mode_16_64 0
		.amdhsa_float_denorm_mode_32 3
		.amdhsa_float_denorm_mode_16_64 3
		.amdhsa_dx10_clamp 1
		.amdhsa_ieee_mode 1
		.amdhsa_fp16_overflow 0
		.amdhsa_tg_split 0
		.amdhsa_exception_fp_ieee_invalid_op 0
		.amdhsa_exception_fp_denorm_src 0
		.amdhsa_exception_fp_ieee_div_zero 0
		.amdhsa_exception_fp_ieee_overflow 0
		.amdhsa_exception_fp_ieee_underflow 0
		.amdhsa_exception_fp_ieee_inexact 0
		.amdhsa_exception_int_div_zero 0
	.end_amdhsa_kernel
	.section	.text._ZL36rocblas_hemvn_kernel_upper_block_sumILi64El19rocblas_complex_numIdEPS1_S1_EviT1_lS3_lT2_lT0_lPT3_i,"axG",@progbits,_ZL36rocblas_hemvn_kernel_upper_block_sumILi64El19rocblas_complex_numIdEPS1_S1_EviT1_lS3_lT2_lT0_lPT3_i,comdat
.Lfunc_end21:
	.size	_ZL36rocblas_hemvn_kernel_upper_block_sumILi64El19rocblas_complex_numIdEPS1_S1_EviT1_lS3_lT2_lT0_lPT3_i, .Lfunc_end21-_ZL36rocblas_hemvn_kernel_upper_block_sumILi64El19rocblas_complex_numIdEPS1_S1_EviT1_lS3_lT2_lT0_lPT3_i
                                        ; -- End function
	.set _ZL36rocblas_hemvn_kernel_upper_block_sumILi64El19rocblas_complex_numIdEPS1_S1_EviT1_lS3_lT2_lT0_lPT3_i.num_vgpr, 12
	.set _ZL36rocblas_hemvn_kernel_upper_block_sumILi64El19rocblas_complex_numIdEPS1_S1_EviT1_lS3_lT2_lT0_lPT3_i.num_agpr, 0
	.set _ZL36rocblas_hemvn_kernel_upper_block_sumILi64El19rocblas_complex_numIdEPS1_S1_EviT1_lS3_lT2_lT0_lPT3_i.numbered_sgpr, 30
	.set _ZL36rocblas_hemvn_kernel_upper_block_sumILi64El19rocblas_complex_numIdEPS1_S1_EviT1_lS3_lT2_lT0_lPT3_i.num_named_barrier, 0
	.set _ZL36rocblas_hemvn_kernel_upper_block_sumILi64El19rocblas_complex_numIdEPS1_S1_EviT1_lS3_lT2_lT0_lPT3_i.private_seg_size, 0
	.set _ZL36rocblas_hemvn_kernel_upper_block_sumILi64El19rocblas_complex_numIdEPS1_S1_EviT1_lS3_lT2_lT0_lPT3_i.uses_vcc, 1
	.set _ZL36rocblas_hemvn_kernel_upper_block_sumILi64El19rocblas_complex_numIdEPS1_S1_EviT1_lS3_lT2_lT0_lPT3_i.uses_flat_scratch, 0
	.set _ZL36rocblas_hemvn_kernel_upper_block_sumILi64El19rocblas_complex_numIdEPS1_S1_EviT1_lS3_lT2_lT0_lPT3_i.has_dyn_sized_stack, 0
	.set _ZL36rocblas_hemvn_kernel_upper_block_sumILi64El19rocblas_complex_numIdEPS1_S1_EviT1_lS3_lT2_lT0_lPT3_i.has_recursion, 0
	.set _ZL36rocblas_hemvn_kernel_upper_block_sumILi64El19rocblas_complex_numIdEPS1_S1_EviT1_lS3_lT2_lT0_lPT3_i.has_indirect_call, 0
	.section	.AMDGPU.csdata,"",@progbits
; Kernel info:
; codeLenInByte = 748
; TotalNumSgprs: 36
; NumVgprs: 12
; NumAgprs: 0
; TotalNumVgprs: 12
; ScratchSize: 0
; MemoryBound: 0
; FloatMode: 240
; IeeeMode: 1
; LDSByteSize: 0 bytes/workgroup (compile time only)
; SGPRBlocks: 4
; VGPRBlocks: 1
; NumSGPRsForWavesPerEU: 36
; NumVGPRsForWavesPerEU: 12
; AccumOffset: 12
; Occupancy: 8
; WaveLimiterHint : 0
; COMPUTE_PGM_RSRC2:SCRATCH_EN: 0
; COMPUTE_PGM_RSRC2:USER_SGPR: 2
; COMPUTE_PGM_RSRC2:TRAP_HANDLER: 0
; COMPUTE_PGM_RSRC2:TGID_X_EN: 1
; COMPUTE_PGM_RSRC2:TGID_Y_EN: 0
; COMPUTE_PGM_RSRC2:TGID_Z_EN: 1
; COMPUTE_PGM_RSRC2:TIDIG_COMP_CNT: 0
; COMPUTE_PGM_RSRC3_GFX90A:ACCUM_OFFSET: 2
; COMPUTE_PGM_RSRC3_GFX90A:TG_SPLIT: 0
	.section	.text._ZL26rocblas_hemvn_kernel_upperILb1ELi64ELi4ELi33ELi32ELi16Ei19rocblas_complex_numIdEPKS1_PS1_EviT6_lT7_lT5_lS6_lS7_lS5_lT8_i,"axG",@progbits,_ZL26rocblas_hemvn_kernel_upperILb1ELi64ELi4ELi33ELi32ELi16Ei19rocblas_complex_numIdEPKS1_PS1_EviT6_lT7_lT5_lS6_lS7_lS5_lT8_i,comdat
	.globl	_ZL26rocblas_hemvn_kernel_upperILb1ELi64ELi4ELi33ELi32ELi16Ei19rocblas_complex_numIdEPKS1_PS1_EviT6_lT7_lT5_lS6_lS7_lS5_lT8_i ; -- Begin function _ZL26rocblas_hemvn_kernel_upperILb1ELi64ELi4ELi33ELi32ELi16Ei19rocblas_complex_numIdEPKS1_PS1_EviT6_lT7_lT5_lS6_lS7_lS5_lT8_i
	.p2align	8
	.type	_ZL26rocblas_hemvn_kernel_upperILb1ELi64ELi4ELi33ELi32ELi16Ei19rocblas_complex_numIdEPKS1_PS1_EviT6_lT7_lT5_lS6_lS7_lS5_lT8_i,@function
_ZL26rocblas_hemvn_kernel_upperILb1ELi64ELi4ELi33ELi32ELi16Ei19rocblas_complex_numIdEPKS1_PS1_EviT6_lT7_lT5_lS6_lS7_lS5_lT8_i: ; @_ZL26rocblas_hemvn_kernel_upperILb1ELi64ELi4ELi33ELi32ELi16Ei19rocblas_complex_numIdEPKS1_PS1_EviT6_lT7_lT5_lS6_lS7_lS5_lT8_i
; %bb.0:
	s_load_dwordx2 s[4:5], s[0:1], 0x94
	s_add_u32 s12, s0, 0x88
	s_addc_u32 s13, s1, 0
	s_waitcnt lgkmcnt(0)
	s_lshr_b32 s6, s4, 16
	s_and_b32 s4, s4, 0xffff
	s_and_b32 s5, s5, 0xffff
	s_mul_i32 s4, s6, s4
	s_mul_i32 s4, s4, s5
	s_cmpk_lg_i32 s4, 0x100
	s_cbranch_scc1 .LBB22_202
; %bb.1:
	s_load_dwordx4 s[16:19], s[0:1], 0x8
	s_load_dwordx4 s[8:11], s[0:1], 0x58
	s_load_dwordx2 s[6:7], s[0:1], 0x68
	s_waitcnt lgkmcnt(0)
	v_cmp_neq_f64_e64 s[4:5], s[16:17], 0
	v_cmp_neq_f64_e64 s[14:15], s[18:19], 0
	s_or_b64 s[4:5], s[4:5], s[14:15]
	s_mov_b64 s[14:15], -1
	s_and_b64 vcc, exec, s[4:5]
	s_cbranch_vccnz .LBB22_3
; %bb.2:
	v_cmp_neq_f64_e64 s[10:11], s[10:11], 1.0
	v_cmp_neq_f64_e64 s[6:7], s[6:7], 0
	s_or_b64 s[14:15], s[10:11], s[6:7]
.LBB22_3:
	s_andn2_b64 vcc, exec, s[14:15]
	s_cbranch_vccnz .LBB22_202
; %bb.4:
	s_andn2_b64 vcc, exec, s[4:5]
	s_cbranch_vccnz .LBB22_202
; %bb.5:
	s_load_dword s33, s[12:13], 0x0
	s_load_dword s36, s[0:1], 0x0
	s_load_dwordx4 s[4:7], s[0:1], 0x38
	s_load_dwordx2 s[10:11], s[0:1], 0x48
	s_load_dword s35, s[0:1], 0x50
	s_mul_i32 s9, s9, s3
	s_mul_hi_u32 s12, s8, s3
	s_add_i32 s9, s12, s9
	s_mul_i32 s8, s8, s3
	s_lshl_b64 s[8:9], s[8:9], 4
	s_waitcnt lgkmcnt(0)
	s_add_u32 s8, s6, s8
	s_addc_u32 s9, s7, s9
	s_lshl_b64 s[6:7], s[10:11], 4
	s_add_u32 s6, s8, s6
	s_addc_u32 s7, s9, s7
	s_ashr_i32 s37, s36, 31
	s_lshr_b32 s9, s37, 26
	v_and_b32_e32 v166, 0x3ff, v0
	s_lshl_b32 s24, s2, 6
	s_add_i32 s9, s36, s9
	s_andn2_b32 s9, s9, 63
	v_add_u32_e32 v164, s24, v166
	v_bfe_u32 v165, v0, 10, 10
	s_add_i32 s8, s33, -1
	s_sub_i32 s34, s36, s9
	v_mul_lo_u32 v0, s35, v164
	s_cmp_eq_u32 s2, s8
	v_ashrrev_i32_e32 v1, 31, v0
	s_cselect_b32 s18, s34, 0
	v_lshl_add_u64 v[36:37], v[0:1], 4, s[6:7]
	v_cmp_eq_u32_e64 s[14:15], 0, v165
	s_and_saveexec_b64 s[6:7], s[14:15]
	s_cbranch_execz .LBB22_10
; %bb.6:
	s_cmp_lg_u32 s18, 0
	s_cselect_b64 s[8:9], -1, 0
	v_cmp_le_i32_e32 vcc, s18, v166
	v_mov_b32_e32 v0, 0x4700
	s_and_b64 s[8:9], s[8:9], vcc
	v_lshl_add_u32 v0, v166, 4, v0
	s_and_saveexec_b64 s[10:11], s[8:9]
	s_xor_b64 s[8:9], exec, s[10:11]
; %bb.7:
	v_mov_b32_e32 v2, 0
	v_mov_b32_e32 v3, v2
	;; [unrolled: 1-line block ×4, first 2 shown]
	ds_write_b128 v0, v[2:5]
                                        ; implicit-def: $vgpr0
; %bb.8:
	s_andn2_saveexec_b64 s[8:9], s[8:9]
	s_cbranch_execz .LBB22_10
; %bb.9:
	global_load_dwordx4 v[2:5], v[36:37], off
	s_waitcnt vmcnt(0)
	ds_write2_b64 v0, v[2:3], v[4:5] offset1:1
.LBB22_10:
	s_or_b64 exec, exec, s[6:7]
	s_load_dwordx4 s[8:11], s[0:1], 0x20
	s_load_dword s22, s[0:1], 0x30
	s_mul_i32 s5, s5, s3
	s_mul_hi_u32 s6, s4, s3
	s_add_i32 s5, s6, s5
	s_mul_i32 s4, s4, s3
	s_lshl_b64 s[4:5], s[4:5], 4
	s_waitcnt lgkmcnt(0)
	s_add_u32 s6, s8, s4
	s_addc_u32 s7, s9, s5
	s_lshl_b64 s[4:5], s[10:11], 4
	s_add_u32 s6, s6, s4
	s_addc_u32 s7, s7, s5
	s_ashr_i32 s25, s24, 31
	v_lshl_add_u32 v42, v165, 6, v166
	s_lshl_b64 s[4:5], s[24:25], 4
	v_and_b32_e32 v10, 31, v166
	v_lshrrev_b32_e32 v11, 5, v42
	s_add_u32 s4, s6, s4
	s_addc_u32 s5, s7, s5
	v_mad_u64_u32 v[38:39], s[6:7], s22, v11, v[10:11]
	v_ashrrev_i32_e32 v39, 31, v38
	v_lshl_add_u64 v[0:1], v[38:39], 4, s[4:5]
	s_mul_i32 s4, s22, s24
	s_ashr_i32 s5, s4, 31
	s_cmp_eq_u32 s18, 0
	s_cselect_b64 s[20:21], -1, 0
	s_cmp_lg_u32 s18, 0
	s_cselect_b64 s[26:27], -1, 0
	v_lshl_add_u64 v[0:1], s[4:5], 4, v[0:1]
	s_and_b64 vcc, exec, s[26:27]
	v_cmp_gt_i32_e64 s[4:5], s18, v10
	v_lshlrev_b32_e32 v8, 4, v10
	s_cbranch_vccz .LBB22_28
; %bb.11:
	v_sub_co_u32_e32 v2, vcc, v0, v8
	s_ashr_i32 s19, s18, 31
	s_nop 0
	v_subbrev_co_u32_e32 v3, vcc, 0, v1, vcc
	v_lshl_add_u64 v[2:3], s[18:19], 4, v[2:3]
	v_lshl_add_u64 v[2:3], v[2:3], 0, -16
	s_movk_i32 s6, 0x210
	v_cndmask_b32_e64 v3, v3, v1, s[4:5]
	v_cndmask_b32_e64 v2, v2, v0, s[4:5]
	v_cmp_le_i32_e32 vcc, s18, v11
	v_mad_u32_u24 v5, v11, s6, v8
	s_and_saveexec_b64 s[6:7], vcc
	s_xor_b64 s[6:7], exec, s[6:7]
; %bb.12:
	v_mov_b32_e32 v12, 0
	v_mov_b32_e32 v13, v12
	;; [unrolled: 1-line block ×4, first 2 shown]
	ds_write_b128 v5, v[12:15]
                                        ; implicit-def: $vgpr5
; %bb.13:
	s_or_saveexec_b64 s[6:7], s[6:7]
	v_mul_u32_u24_e32 v4, 0x210, v11
	s_xor_b64 exec, exec, s[6:7]
	s_cbranch_execz .LBB22_15
; %bb.14:
	global_load_dwordx4 v[12:15], v[2:3], off
	s_waitcnt vmcnt(0)
	ds_write2_b64 v5, v[12:13], v[14:15] offset1:1
.LBB22_15:
	s_or_b64 exec, exec, s[6:7]
	v_add_u32_e32 v5, 8, v11
	v_cmp_le_i32_e32 vcc, s18, v5
	v_add_u32_e32 v5, v4, v8
	s_and_saveexec_b64 s[6:7], vcc
	s_xor_b64 s[6:7], exec, s[6:7]
; %bb.16:
	v_mov_b32_e32 v12, 0
	v_mov_b32_e32 v13, v12
	;; [unrolled: 1-line block ×4, first 2 shown]
	ds_write_b128 v5, v[12:15] offset:4224
; %bb.17:
	s_andn2_saveexec_b64 s[6:7], s[6:7]
	s_cbranch_execz .LBB22_19
; %bb.18:
	s_lshl_b32 s8, s22, 3
	s_ashr_i32 s9, s8, 31
	v_lshl_add_u64 v[6:7], s[8:9], 4, v[2:3]
	global_load_dwordx4 v[12:15], v[6:7], off
	s_movk_i32 s8, 0x1080
	v_add3_u32 v6, v4, v8, s8
	s_waitcnt vmcnt(0)
	ds_write2_b64 v6, v[12:13], v[14:15] offset1:1
.LBB22_19:
	s_or_b64 exec, exec, s[6:7]
	v_add_u32_e32 v6, 16, v11
	v_cmp_le_i32_e32 vcc, s18, v6
	s_and_saveexec_b64 s[6:7], vcc
	s_xor_b64 s[6:7], exec, s[6:7]
; %bb.20:
	v_mov_b32_e32 v12, 0
	v_mov_b32_e32 v13, v12
	;; [unrolled: 1-line block ×4, first 2 shown]
	ds_write_b128 v5, v[12:15] offset:8448
; %bb.21:
	s_andn2_saveexec_b64 s[6:7], s[6:7]
	s_cbranch_execz .LBB22_23
; %bb.22:
	s_lshl_b32 s8, s22, 4
	s_ashr_i32 s9, s8, 31
	v_lshl_add_u64 v[6:7], s[8:9], 4, v[2:3]
	global_load_dwordx4 v[12:15], v[6:7], off
	s_movk_i32 s8, 0x2100
	v_add3_u32 v6, v4, v8, s8
	s_waitcnt vmcnt(0)
	ds_write2_b64 v6, v[12:13], v[14:15] offset1:1
.LBB22_23:
	s_or_b64 exec, exec, s[6:7]
	v_add_u32_e32 v6, 24, v11
	v_cmp_le_i32_e32 vcc, s18, v6
	s_and_saveexec_b64 s[6:7], vcc
	s_xor_b64 s[6:7], exec, s[6:7]
; %bb.24:
	v_mov_b32_e32 v12, 0
	v_mov_b32_e32 v13, v12
	;; [unrolled: 1-line block ×4, first 2 shown]
	ds_write_b128 v5, v[12:15] offset:12672
                                        ; implicit-def: $vgpr4
; %bb.25:
	s_andn2_saveexec_b64 s[6:7], s[6:7]
	s_cbranch_execz .LBB22_27
; %bb.26:
	s_mul_i32 s8, s22, 24
	s_ashr_i32 s9, s8, 31
	v_lshl_add_u64 v[6:7], s[8:9], 4, v[2:3]
	global_load_dwordx4 v[12:15], v[6:7], off
	s_movk_i32 s8, 0x3180
	v_add3_u32 v4, v4, v8, s8
	s_waitcnt vmcnt(0)
	ds_write2_b64 v4, v[12:13], v[14:15] offset1:1
.LBB22_27:
	s_or_b64 exec, exec, s[6:7]
	v_mov_b32_e32 v9, 0
	v_lshl_add_u64 v[2:3], v[2:3], 0, v[8:9]
	s_lshl_b64 s[6:7], s[18:19], 4
	v_mov_b32_e32 v4, s7
	v_subrev_co_u32_e32 v2, vcc, s6, v2
	s_nop 1
	v_subb_co_u32_e32 v3, vcc, v3, v4, vcc
	v_lshl_add_u64 v[2:3], v[2:3], 0, 16
	v_cndmask_b32_e64 v5, v3, v1, s[4:5]
	v_cndmask_b32_e64 v4, v2, v0, s[4:5]
	s_branch .LBB22_30
.LBB22_28:
                                        ; implicit-def: $vgpr4_vgpr5
	s_cbranch_execz .LBB22_30
; %bb.29:
	s_lshl_b32 s4, s22, 3
	s_ashr_i32 s5, s4, 31
	s_ashr_i32 s23, s22, 31
	v_lshl_add_u64 v[6:7], s[4:5], 4, v[0:1]
	s_lshl_b64 s[4:5], s[22:23], 7
	global_load_dwordx4 v[2:5], v[0:1], off
	global_load_dwordx4 v[12:15], v[6:7], off
	v_lshl_add_u64 v[6:7], v[6:7], 0, s[4:5]
	v_lshl_add_u64 v[24:25], v[6:7], 0, s[4:5]
	global_load_dwordx4 v[16:19], v[6:7], off
	global_load_dwordx4 v[20:23], v[24:25], off
	v_mul_u32_u24_e32 v6, 0x210, v11
	v_lshl_add_u32 v6, v10, 4, v6
	v_add_u32_e32 v7, 0x1080, v6
	v_add_u32_e32 v9, 0x2100, v6
	;; [unrolled: 1-line block ×3, first 2 shown]
	s_waitcnt vmcnt(3)
	ds_write2_b64 v6, v[2:3], v[4:5] offset1:1
	s_waitcnt vmcnt(2)
	ds_write2_b64 v7, v[12:13], v[14:15] offset1:1
	;; [unrolled: 2-line block ×4, first 2 shown]
	v_mov_b64_e32 v[4:5], v[0:1]
.LBB22_30:
	v_lshlrev_b32_e32 v15, 2, v11
	v_mul_u32_u24_e32 v14, 0x210, v10
	v_cmp_le_u32_e64 s[6:7], v15, v10
	s_mov_b64 s[4:5], 0
	s_waitcnt lgkmcnt(0)
	s_barrier
                                        ; implicit-def: $vgpr0
	s_and_saveexec_b64 s[8:9], s[6:7]
	s_xor_b64 s[8:9], exec, s[8:9]
	s_cbranch_execz .LBB22_34
; %bb.31:
	v_cmp_eq_u32_e32 vcc, v15, v10
                                        ; implicit-def: $vgpr0
	s_and_saveexec_b64 s[10:11], vcc
	s_xor_b64 s[10:11], exec, s[10:11]
; %bb.32:
	s_mov_b64 s[4:5], exec
	v_add_u32_e32 v0, v8, v14
; %bb.33:
	s_or_b64 exec, exec, s[10:11]
	s_and_b64 s[4:5], s[4:5], exec
.LBB22_34:
	s_or_saveexec_b64 s[8:9], s[8:9]
	v_lshl_or_b32 v1, v10, 9, v8
	v_mov_b64_e32 v[2:3], 0
	v_lshl_add_u32 v6, v15, 4, v1
	s_xor_b64 exec, exec, s[8:9]
	s_cbranch_execz .LBB22_36
; %bb.35:
	s_movk_i32 s10, 0x840
	v_mad_u32_u24 v0, v11, s10, v8
	ds_read_b128 v[0:3], v0
	s_or_b64 s[4:5], s[4:5], exec
	s_waitcnt lgkmcnt(0)
	v_xor_b32_e32 v3, 0x80000000, v3
	ds_write_b64 v6, v[0:1]
	v_mov_b32_e32 v0, v6
.LBB22_36:
	s_or_b64 exec, exec, s[8:9]
	s_and_saveexec_b64 s[8:9], s[4:5]
; %bb.37:
	ds_write_b64 v0, v[2:3] offset:8
; %bb.38:
	s_or_b64 exec, exec, s[8:9]
	v_or_b32_e32 v16, 1, v15
	v_cmp_ge_u32_e64 s[8:9], v15, v10
	s_mov_b64 s[4:5], 0
                                        ; implicit-def: $vgpr2_vgpr3
                                        ; implicit-def: $vgpr7
	s_and_saveexec_b64 s[10:11], s[8:9]
	s_xor_b64 s[10:11], exec, s[10:11]
	s_cbranch_execnz .LBB22_70
; %bb.39:
	s_andn2_saveexec_b64 s[10:11], s[10:11]
	s_cbranch_execnz .LBB22_71
.LBB22_40:
	s_or_b64 exec, exec, s[10:11]
	s_and_saveexec_b64 s[10:11], s[4:5]
.LBB22_41:
	ds_write_b64 v7, v[2:3] offset:8
.LBB22_42:
	s_or_b64 exec, exec, s[10:11]
	v_or_b32_e32 v17, 2, v15
	v_cmp_le_u32_e64 s[10:11], v17, v10
	s_mov_b64 s[4:5], 0
                                        ; implicit-def: $vgpr7
	s_and_saveexec_b64 s[12:13], s[10:11]
	s_xor_b64 s[12:13], exec, s[12:13]
	s_cbranch_execnz .LBB22_74
; %bb.43:
	s_or_saveexec_b64 s[12:13], s[12:13]
	v_mov_b64_e32 v[2:3], 0
	s_xor_b64 exec, exec, s[12:13]
	s_cbranch_execnz .LBB22_77
.LBB22_44:
	s_or_b64 exec, exec, s[12:13]
	s_and_saveexec_b64 s[12:13], s[4:5]
.LBB22_45:
	ds_write_b64 v7, v[2:3] offset:8
.LBB22_46:
	s_or_b64 exec, exec, s[12:13]
	v_or_b32_e32 v18, 3, v15
	v_cmp_le_u32_e64 s[12:13], v18, v10
	s_mov_b64 s[4:5], 0
                                        ; implicit-def: $vgpr7
	s_and_saveexec_b64 s[16:17], s[12:13]
	s_xor_b64 s[16:17], exec, s[16:17]
	s_cbranch_execnz .LBB22_78
; %bb.47:
	s_or_saveexec_b64 s[16:17], s[16:17]
	v_mov_b64_e32 v[2:3], 0
	s_xor_b64 exec, exec, s[16:17]
	s_cbranch_execnz .LBB22_81
.LBB22_48:
	s_or_b64 exec, exec, s[16:17]
	s_and_saveexec_b64 s[16:17], s[4:5]
.LBB22_49:
	ds_write_b64 v7, v[2:3] offset:8
.LBB22_50:
	s_or_b64 exec, exec, s[16:17]
	s_movk_i32 s4, 0x840
	v_lshlrev_b32_e32 v19, 4, v15
	s_waitcnt lgkmcnt(0)
	s_barrier
	v_mad_u32_u24 v6, v11, s4, v8
	ds_read_b128 v[0:3], v19 offset:18176
	ds_read_b128 v[20:23], v6
	ds_read_b128 v[24:27], v19 offset:18192
	ds_read_b128 v[28:31], v19 offset:18208
	s_movk_i32 s4, 0x210
	v_mad_u32_u24 v9, v16, s4, v8
	s_waitcnt lgkmcnt(2)
	v_mul_f64 v[6:7], v[2:3], v[22:23]
	v_mul_f64 v[12:13], v[0:1], v[22:23]
	v_fma_f64 v[6:7], v[0:1], v[20:21], -v[6:7]
	v_fmac_f64_e32 v[12:13], v[2:3], v[20:21]
	ds_read_b128 v[20:23], v19 offset:18224
	ds_read_b128 v[32:35], v9
	v_add_f64 v[2:3], v[6:7], 0
	v_add_f64 v[6:7], v[12:13], 0
	ds_read_b128 v[44:47], v9 offset:528
	v_mov_b64_e32 v[0:1], 0
	s_waitcnt lgkmcnt(1)
	v_mul_f64 v[12:13], v[26:27], v[34:35]
	v_fma_f64 v[12:13], v[24:25], v[32:33], -v[12:13]
	v_mul_f64 v[24:25], v[24:25], v[34:35]
	v_fmac_f64_e32 v[24:25], v[26:27], v[32:33]
	v_add_f64 v[6:7], v[6:7], v[24:25]
	ds_read_b128 v[24:27], v9 offset:1056
	v_add_f64 v[2:3], v[2:3], v[12:13]
	s_waitcnt lgkmcnt(1)
	v_mul_f64 v[12:13], v[30:31], v[46:47]
	v_fma_f64 v[12:13], v[28:29], v[44:45], -v[12:13]
	v_add_f64 v[2:3], v[2:3], v[12:13]
	s_waitcnt lgkmcnt(0)
	v_mul_f64 v[12:13], v[22:23], v[26:27]
	v_mul_f64 v[28:29], v[28:29], v[46:47]
	v_fma_f64 v[12:13], v[20:21], v[24:25], -v[12:13]
	v_fmac_f64_e32 v[28:29], v[30:31], v[44:45]
	v_mul_f64 v[26:27], v[20:21], v[26:27]
	v_add_f64 v[20:21], v[2:3], v[12:13]
	v_mul_u32_u24_e32 v2, 33, v10
	v_add_f64 v[6:7], v[6:7], v[28:29]
	v_fmac_f64_e32 v[26:27], v[22:23], v[24:25]
	v_lshlrev_b32_e32 v43, 4, v2
	v_add_f64 v[22:23], v[6:7], v[26:27]
	v_lshl_add_u32 v44, v11, 4, v43
	v_cmp_gt_u32_e64 s[4:5], 32, v42
	v_mov_b64_e32 v[2:3], 0
	s_barrier
	ds_write_b128 v44, v[20:23]
	s_waitcnt lgkmcnt(0)
	s_barrier
	s_and_saveexec_b64 s[16:17], s[4:5]
	s_cbranch_execz .LBB22_52
; %bb.51:
	ds_read_b128 v[0:3], v43
	ds_read_b128 v[20:23], v43 offset:16
	ds_read_b128 v[24:27], v43 offset:32
	;; [unrolled: 1-line block ×3, first 2 shown]
	s_waitcnt lgkmcnt(2)
	v_add_f64 v[0:1], v[20:21], v[0:1]
	v_add_f64 v[6:7], v[22:23], v[2:3]
	s_waitcnt lgkmcnt(1)
	v_add_f64 v[12:13], v[0:1], v[24:25]
	ds_read_b128 v[0:3], v43 offset:64
	ds_read_b128 v[20:23], v43 offset:80
	v_add_f64 v[6:7], v[6:7], v[26:27]
	s_waitcnt lgkmcnt(2)
	v_add_f64 v[12:13], v[12:13], v[28:29]
	v_add_f64 v[6:7], v[6:7], v[30:31]
	ds_read_b128 v[24:27], v43 offset:96
	s_waitcnt lgkmcnt(2)
	v_add_f64 v[12:13], v[12:13], v[0:1]
	v_add_f64 v[6:7], v[6:7], v[2:3]
	ds_read_b128 v[0:3], v43 offset:112
	s_waitcnt lgkmcnt(2)
	v_add_f64 v[12:13], v[12:13], v[20:21]
	v_add_f64 v[6:7], v[6:7], v[22:23]
	s_waitcnt lgkmcnt(1)
	v_add_f64 v[12:13], v[12:13], v[24:25]
	v_add_f64 v[6:7], v[6:7], v[26:27]
	s_waitcnt lgkmcnt(0)
	v_add_f64 v[0:1], v[12:13], v[0:1]
	v_add_f64 v[2:3], v[6:7], v[2:3]
.LBB22_52:
	s_or_b64 exec, exec, s[16:17]
	s_lshl_b32 s28, s22, 5
	s_ashr_i32 s29, s28, 31
	v_lshl_add_u64 v[6:7], s[28:29], 4, v[4:5]
	s_mov_b64 s[16:17], 0x200
	v_lshl_add_u64 v[4:5], v[6:7], 0, s[16:17]
	s_and_b64 vcc, exec, s[26:27]
	s_barrier
	s_cbranch_vccz .LBB22_82
; %bb.53:
	v_sub_co_u32_e32 v12, vcc, v6, v8
	s_ashr_i32 s19, s18, 31
	s_nop 0
	v_subbrev_co_u32_e32 v13, vcc, 0, v7, vcc
	v_or_b32_e32 v9, 32, v10
	v_lshl_add_u64 v[12:13], s[18:19], 4, v[12:13]
	v_lshl_add_u64 v[12:13], v[12:13], 0, -16
	v_cmp_gt_i32_e32 vcc, s18, v9
	s_sub_i32 s23, s18, 32
	s_movk_i32 s25, 0x210
	v_cndmask_b32_e32 v13, v13, v5, vcc
	v_cndmask_b32_e32 v12, v12, v4, vcc
	v_cmp_le_i32_e64 s[16:17], s23, v11
	v_mad_u32_u24 v20, v11, s25, v8
	s_and_saveexec_b64 s[30:31], s[16:17]
	s_xor_b64 s[16:17], exec, s[30:31]
; %bb.54:
	v_mov_b32_e32 v22, 0
	v_mov_b32_e32 v23, v22
	;; [unrolled: 1-line block ×4, first 2 shown]
	ds_write_b128 v20, v[22:25]
                                        ; implicit-def: $vgpr20
; %bb.55:
	s_or_saveexec_b64 s[16:17], s[16:17]
	v_mul_u32_u24_e32 v9, 0x210, v11
	s_xor_b64 exec, exec, s[16:17]
	s_cbranch_execz .LBB22_57
; %bb.56:
	global_load_dwordx4 v[22:25], v[12:13], off
	s_waitcnt vmcnt(0)
	ds_write2_b64 v20, v[22:23], v[24:25] offset1:1
.LBB22_57:
	s_or_b64 exec, exec, s[16:17]
	v_add_u32_e32 v20, 8, v11
	v_cmp_le_i32_e64 s[16:17], s23, v20
	v_add_u32_e32 v20, v9, v8
	s_and_saveexec_b64 s[30:31], s[16:17]
	s_xor_b64 s[16:17], exec, s[30:31]
; %bb.58:
	v_mov_b32_e32 v22, 0
	v_mov_b32_e32 v23, v22
	;; [unrolled: 1-line block ×4, first 2 shown]
	ds_write_b128 v20, v[22:25] offset:4224
; %bb.59:
	s_andn2_saveexec_b64 s[16:17], s[16:17]
	s_cbranch_execz .LBB22_61
; %bb.60:
	s_lshl_b32 s30, s22, 3
	s_ashr_i32 s31, s30, 31
	v_lshl_add_u64 v[22:23], s[30:31], 4, v[12:13]
	global_load_dwordx4 v[22:25], v[22:23], off
	s_movk_i32 s25, 0x1080
	v_add3_u32 v21, v9, v8, s25
	s_waitcnt vmcnt(0)
	ds_write2_b64 v21, v[22:23], v[24:25] offset1:1
.LBB22_61:
	s_or_b64 exec, exec, s[16:17]
	v_add_u32_e32 v21, 16, v11
	v_cmp_le_i32_e64 s[16:17], s23, v21
	s_and_saveexec_b64 s[30:31], s[16:17]
	s_xor_b64 s[16:17], exec, s[30:31]
; %bb.62:
	v_mov_b32_e32 v22, 0
	v_mov_b32_e32 v23, v22
	;; [unrolled: 1-line block ×4, first 2 shown]
	ds_write_b128 v20, v[22:25] offset:8448
; %bb.63:
	s_andn2_saveexec_b64 s[16:17], s[16:17]
	s_cbranch_execz .LBB22_65
; %bb.64:
	s_lshl_b32 s30, s22, 4
	s_ashr_i32 s31, s30, 31
	v_lshl_add_u64 v[22:23], s[30:31], 4, v[12:13]
	global_load_dwordx4 v[22:25], v[22:23], off
	s_movk_i32 s25, 0x2100
	v_add3_u32 v21, v9, v8, s25
	s_waitcnt vmcnt(0)
	ds_write2_b64 v21, v[22:23], v[24:25] offset1:1
.LBB22_65:
	s_or_b64 exec, exec, s[16:17]
	v_add_u32_e32 v21, 24, v11
	v_cmp_le_i32_e64 s[16:17], s23, v21
	s_and_saveexec_b64 s[30:31], s[16:17]
	s_xor_b64 s[16:17], exec, s[30:31]
; %bb.66:
	v_mov_b32_e32 v22, 0
	v_mov_b32_e32 v23, v22
	;; [unrolled: 1-line block ×4, first 2 shown]
	ds_write_b128 v20, v[22:25] offset:12672
                                        ; implicit-def: $vgpr9
; %bb.67:
	s_andn2_saveexec_b64 s[16:17], s[16:17]
	s_cbranch_execz .LBB22_69
; %bb.68:
	s_mul_i32 s30, s22, 24
	s_ashr_i32 s31, s30, 31
	v_lshl_add_u64 v[20:21], s[30:31], 4, v[12:13]
	global_load_dwordx4 v[20:23], v[20:21], off
	s_movk_i32 s23, 0x3180
	v_add3_u32 v9, v9, v8, s23
	s_waitcnt vmcnt(0)
	ds_write2_b64 v9, v[20:21], v[22:23] offset1:1
.LBB22_69:
	s_or_b64 exec, exec, s[16:17]
	v_mov_b32_e32 v9, 0
	v_lshl_add_u64 v[12:13], v[12:13], 0, v[8:9]
	s_lshl_b64 s[16:17], s[18:19], 4
	v_mov_b32_e32 v9, s17
	v_subrev_co_u32_e64 v12, s[16:17], s16, v12
	s_nop 1
	v_subb_co_u32_e64 v13, s[16:17], v13, v9, s[16:17]
	s_mov_b64 s[16:17], 0x210
	s_nop 0
	v_lshl_add_u64 v[12:13], v[12:13], 0, s[16:17]
	v_cndmask_b32_e32 v13, v13, v5, vcc
	v_cndmask_b32_e32 v12, v12, v4, vcc
	s_branch .LBB22_84
.LBB22_70:
	s_movk_i32 s12, 0x210
	v_mad_u32_u24 v0, v16, s12, v8
	ds_read_b128 v[0:3], v0
	s_mov_b64 s[4:5], exec
	v_add_u32_e32 v7, 16, v6
	s_waitcnt lgkmcnt(0)
	v_xor_b32_e32 v3, 0x80000000, v3
	ds_write_b64 v6, v[0:1] offset:16
	s_andn2_saveexec_b64 s[10:11], s[10:11]
	s_cbranch_execz .LBB22_40
.LBB22_71:
	v_cmp_eq_u32_e32 vcc, v16, v10
	s_mov_b64 s[12:13], s[4:5]
                                        ; implicit-def: $vgpr7
	s_and_saveexec_b64 s[16:17], vcc
; %bb.72:
	v_add_u32_e32 v7, v8, v14
	s_or_b64 s[12:13], s[4:5], exec
; %bb.73:
	s_or_b64 exec, exec, s[16:17]
	s_andn2_b64 s[4:5], s[4:5], exec
	s_and_b64 s[12:13], s[12:13], exec
	v_mov_b64_e32 v[2:3], 0
	s_or_b64 s[4:5], s[4:5], s[12:13]
	s_or_b64 exec, exec, s[10:11]
	s_and_saveexec_b64 s[10:11], s[4:5]
	s_cbranch_execnz .LBB22_41
	s_branch .LBB22_42
.LBB22_74:
	v_cmp_eq_u32_e32 vcc, v17, v10
                                        ; implicit-def: $vgpr7
	s_and_saveexec_b64 s[16:17], vcc
; %bb.75:
	s_mov_b64 s[4:5], exec
	v_add_u32_e32 v7, v8, v14
; %bb.76:
	s_or_b64 exec, exec, s[16:17]
	s_and_b64 s[4:5], s[4:5], exec
	s_or_saveexec_b64 s[12:13], s[12:13]
	v_mov_b64_e32 v[2:3], 0
	s_xor_b64 exec, exec, s[12:13]
	s_cbranch_execz .LBB22_44
.LBB22_77:
	s_movk_i32 s16, 0x210
	v_mad_u32_u24 v0, v17, s16, v8
	ds_read_b128 v[0:3], v0
	v_add_u32_e32 v7, 32, v6
	s_or_b64 s[4:5], s[4:5], exec
	s_waitcnt lgkmcnt(0)
	v_xor_b32_e32 v3, 0x80000000, v3
	ds_write_b64 v6, v[0:1] offset:32
	s_or_b64 exec, exec, s[12:13]
	s_and_saveexec_b64 s[12:13], s[4:5]
	s_cbranch_execnz .LBB22_45
	s_branch .LBB22_46
.LBB22_78:
	v_cmp_eq_u32_e32 vcc, v18, v10
                                        ; implicit-def: $vgpr7
	s_and_saveexec_b64 s[28:29], vcc
; %bb.79:
	s_mov_b64 s[4:5], exec
	v_add_u32_e32 v7, v8, v14
; %bb.80:
	s_or_b64 exec, exec, s[28:29]
	s_and_b64 s[4:5], s[4:5], exec
                                        ; implicit-def: $vgpr6
	s_or_saveexec_b64 s[16:17], s[16:17]
	v_mov_b64_e32 v[2:3], 0
	s_xor_b64 exec, exec, s[16:17]
	s_cbranch_execz .LBB22_48
.LBB22_81:
	s_movk_i32 s19, 0x210
	v_mad_u32_u24 v0, v18, s19, v8
	ds_read_b128 v[0:3], v0
	v_add_u32_e32 v7, 48, v6
	s_or_b64 s[4:5], s[4:5], exec
	s_waitcnt lgkmcnt(0)
	v_xor_b32_e32 v3, 0x80000000, v3
	ds_write_b64 v6, v[0:1] offset:48
	s_or_b64 exec, exec, s[16:17]
	s_and_saveexec_b64 s[16:17], s[4:5]
	s_cbranch_execnz .LBB22_49
	s_branch .LBB22_50
.LBB22_82:
                                        ; implicit-def: $vgpr12_vgpr13
	s_cbranch_execz .LBB22_84
; %bb.83:
	s_lshl_b32 s16, s22, 3
	s_ashr_i32 s17, s16, 31
	s_ashr_i32 s23, s22, 31
	v_lshl_add_u64 v[6:7], s[16:17], 4, v[6:7]
	s_lshl_b64 s[16:17], s[22:23], 7
	global_load_dwordx4 v[20:23], v[4:5], off
	global_load_dwordx4 v[24:27], v[6:7], off offset:512
	v_lshl_add_u64 v[6:7], v[6:7], 0, s[16:17]
	v_lshl_add_u64 v[12:13], v[6:7], 0, s[16:17]
	global_load_dwordx4 v[28:31], v[6:7], off offset:512
	global_load_dwordx4 v[32:35], v[12:13], off offset:512
	s_movk_i32 s16, 0x210
	v_mad_u32_u24 v6, v11, s16, v8
	v_add_u32_e32 v12, 0x3180, v6
	v_add_u32_e32 v7, 0x1080, v6
	;; [unrolled: 1-line block ×3, first 2 shown]
	s_waitcnt vmcnt(3)
	ds_write2_b64 v6, v[20:21], v[22:23] offset1:1
	s_waitcnt vmcnt(2)
	ds_write2_b64 v7, v[24:25], v[26:27] offset1:1
	;; [unrolled: 2-line block ×4, first 2 shown]
	v_mov_b64_e32 v[12:13], v[4:5]
.LBB22_84:
	v_mul_u32_u24_e32 v5, 0x840, v11
	s_mov_b64 s[16:17], 0
	s_waitcnt lgkmcnt(0)
	s_barrier
                                        ; implicit-def: $vgpr4
	s_and_saveexec_b64 s[30:31], s[6:7]
	s_xor_b64 s[6:7], exec, s[30:31]
	s_cbranch_execz .LBB22_88
; %bb.85:
	v_cmp_eq_u32_e32 vcc, v15, v10
                                        ; implicit-def: $vgpr4
	s_and_saveexec_b64 s[30:31], vcc
	s_xor_b64 s[30:31], exec, s[30:31]
; %bb.86:
	s_mov_b64 s[16:17], exec
	v_add_u32_e32 v4, v8, v14
; %bb.87:
	s_or_b64 exec, exec, s[30:31]
	s_and_b64 s[16:17], s[16:17], exec
.LBB22_88:
	s_or_saveexec_b64 s[6:7], s[6:7]
	v_mov_b64_e32 v[6:7], 0
	v_add_u32_e32 v32, v8, v5
	v_lshl_add_u32 v9, v15, 4, v43
	s_xor_b64 exec, exec, s[6:7]
	s_cbranch_execz .LBB22_90
; %bb.89:
	ds_read_b128 v[4:7], v32
	s_or_b64 s[16:17], s[16:17], exec
	s_waitcnt lgkmcnt(0)
	v_xor_b32_e32 v7, 0x80000000, v7
	ds_write_b64 v9, v[4:5]
	v_mov_b32_e32 v4, v9
.LBB22_90:
	s_or_b64 exec, exec, s[6:7]
	v_mul_u32_u24_e32 v5, 0x210, v16
	s_and_saveexec_b64 s[6:7], s[16:17]
; %bb.91:
	ds_write_b64 v4, v[6:7] offset:8
; %bb.92:
	s_or_b64 exec, exec, s[6:7]
	s_mov_b64 s[6:7], 0
	v_add_u32_e32 v45, v8, v5
                                        ; implicit-def: $vgpr6_vgpr7
                                        ; implicit-def: $vgpr15
	s_and_saveexec_b64 s[16:17], s[8:9]
	s_xor_b64 s[8:9], exec, s[16:17]
	s_cbranch_execnz .LBB22_124
; %bb.93:
	s_andn2_saveexec_b64 s[8:9], s[8:9]
	s_cbranch_execnz .LBB22_125
.LBB22_94:
	s_or_b64 exec, exec, s[8:9]
	s_and_saveexec_b64 s[8:9], s[6:7]
.LBB22_95:
	ds_write_b64 v15, v[6:7] offset:8
.LBB22_96:
	s_or_b64 exec, exec, s[8:9]
	s_mov_b64 s[6:7], 0
                                        ; implicit-def: $vgpr15
	s_and_saveexec_b64 s[8:9], s[10:11]
	s_xor_b64 s[8:9], exec, s[8:9]
	s_cbranch_execnz .LBB22_128
; %bb.97:
	s_or_saveexec_b64 s[8:9], s[8:9]
	v_mov_b64_e32 v[6:7], 0
	s_xor_b64 exec, exec, s[8:9]
	s_cbranch_execnz .LBB22_131
.LBB22_98:
	s_or_b64 exec, exec, s[8:9]
	s_and_saveexec_b64 s[8:9], s[6:7]
.LBB22_99:
	ds_write_b64 v15, v[6:7] offset:8
.LBB22_100:
	s_or_b64 exec, exec, s[8:9]
	s_mov_b64 s[6:7], 0
                                        ; implicit-def: $vgpr15
	s_and_saveexec_b64 s[8:9], s[12:13]
	s_xor_b64 s[8:9], exec, s[8:9]
	s_cbranch_execnz .LBB22_132
; %bb.101:
	s_or_saveexec_b64 s[8:9], s[8:9]
	v_mov_b64_e32 v[6:7], 0
	s_xor_b64 exec, exec, s[8:9]
	s_cbranch_execnz .LBB22_135
.LBB22_102:
	s_or_b64 exec, exec, s[8:9]
	v_add_u32_e32 v16, 0x4700, v19
	s_and_saveexec_b64 s[8:9], s[6:7]
.LBB22_103:
	ds_write_b64 v15, v[6:7] offset:8
.LBB22_104:
	s_or_b64 exec, exec, s[8:9]
	s_waitcnt lgkmcnt(0)
	s_barrier
	ds_read_b128 v[4:7], v32
	ds_read_b128 v[18:21], v16 offset:512
	ds_read_b128 v[22:25], v16 offset:528
	ds_read_b128 v[26:29], v16 offset:544
	ds_read_b128 v[46:49], v16 offset:560
	ds_read_b128 v[50:53], v45 offset:1056
	s_waitcnt lgkmcnt(4)
	v_mul_f64 v[14:15], v[20:21], v[6:7]
	v_mul_f64 v[6:7], v[18:19], v[6:7]
	ds_read_b128 v[54:57], v45
	v_fmac_f64_e32 v[6:7], v[20:21], v[4:5]
	v_fma_f64 v[14:15], v[18:19], v[4:5], -v[14:15]
	v_add_f64 v[18:19], v[6:7], 0
	ds_read_b128 v[4:7], v45 offset:528
	s_waitcnt lgkmcnt(1)
	v_mul_f64 v[20:21], v[24:25], v[56:57]
	v_add_f64 v[14:15], v[14:15], 0
	v_fma_f64 v[20:21], v[22:23], v[54:55], -v[20:21]
	v_mul_f64 v[22:23], v[22:23], v[56:57]
	v_fmac_f64_e32 v[22:23], v[24:25], v[54:55]
	v_add_f64 v[14:15], v[14:15], v[20:21]
	s_waitcnt lgkmcnt(0)
	v_mul_f64 v[20:21], v[28:29], v[6:7]
	v_mul_f64 v[6:7], v[26:27], v[6:7]
	v_add_f64 v[18:19], v[18:19], v[22:23]
	v_fma_f64 v[20:21], v[26:27], v[4:5], -v[20:21]
	v_fmac_f64_e32 v[6:7], v[28:29], v[4:5]
	v_add_f64 v[4:5], v[14:15], v[20:21]
	v_add_f64 v[6:7], v[18:19], v[6:7]
	v_mul_f64 v[14:15], v[48:49], v[52:53]
	v_mul_f64 v[18:19], v[46:47], v[52:53]
	v_fma_f64 v[14:15], v[46:47], v[50:51], -v[14:15]
	v_fmac_f64_e32 v[18:19], v[48:49], v[50:51]
	v_add_f64 v[4:5], v[4:5], v[14:15]
	v_add_f64 v[6:7], v[6:7], v[18:19]
	v_cmp_eq_u32_e64 s[6:7], 1, v11
	s_barrier
	ds_write_b128 v44, v[4:7]
	s_waitcnt lgkmcnt(0)
	s_barrier
	s_and_saveexec_b64 s[8:9], s[6:7]
	s_cbranch_execz .LBB22_106
; %bb.105:
	ds_read_b128 v[0:3], v43
	ds_read_b128 v[4:7], v43 offset:16
	ds_read_b128 v[18:21], v43 offset:32
	;; [unrolled: 1-line block ×3, first 2 shown]
	s_waitcnt lgkmcnt(2)
	v_add_f64 v[0:1], v[4:5], v[0:1]
	v_add_f64 v[4:5], v[6:7], v[2:3]
	s_waitcnt lgkmcnt(1)
	v_add_f64 v[6:7], v[0:1], v[18:19]
	ds_read_b128 v[0:3], v43 offset:64
	v_add_f64 v[4:5], v[4:5], v[20:21]
	s_waitcnt lgkmcnt(1)
	v_add_f64 v[14:15], v[6:7], v[22:23]
	v_add_f64 v[22:23], v[4:5], v[24:25]
	ds_read_b128 v[4:7], v43 offset:80
	ds_read_b128 v[18:21], v43 offset:96
	s_waitcnt lgkmcnt(2)
	v_add_f64 v[14:15], v[14:15], v[0:1]
	v_add_f64 v[22:23], v[22:23], v[2:3]
	ds_read_b128 v[0:3], v43 offset:112
	s_waitcnt lgkmcnt(2)
	v_add_f64 v[4:5], v[14:15], v[4:5]
	v_add_f64 v[6:7], v[22:23], v[6:7]
	s_waitcnt lgkmcnt(1)
	v_add_f64 v[4:5], v[4:5], v[18:19]
	v_add_f64 v[6:7], v[6:7], v[20:21]
	;; [unrolled: 3-line block ×3, first 2 shown]
.LBB22_106:
	s_or_b64 exec, exec, s[8:9]
	s_movk_i32 s8, 0xfe00
	s_mov_b32 s9, -1
	v_lshl_add_u64 v[4:5], v[12:13], 0, s[8:9]
	s_and_b64 vcc, exec, s[26:27]
	s_barrier
	s_cbranch_vccz .LBB22_136
; %bb.107:
	v_sub_co_u32_e32 v6, vcc, v12, v8
	s_ashr_i32 s19, s18, 31
	s_nop 0
	v_subbrev_co_u32_e32 v7, vcc, 0, v13, vcc
	s_movk_i32 s8, 0xfdf0
	v_lshl_add_u64 v[6:7], s[18:19], 4, v[6:7]
	s_mov_b32 s9, -1
	v_lshl_add_u64 v[6:7], v[6:7], 0, s[8:9]
	v_cmp_gt_i32_e32 vcc, s18, v10
	s_sub_i32 s10, s18, 32
	s_movk_i32 s11, 0x210
	v_cndmask_b32_e32 v7, v7, v5, vcc
	v_cndmask_b32_e32 v6, v6, v4, vcc
	v_cmp_le_i32_e64 s[8:9], s10, v11
	v_mad_u32_u24 v10, v11, s11, v8
	s_and_saveexec_b64 s[12:13], s[8:9]
	s_xor_b64 s[8:9], exec, s[12:13]
; %bb.108:
	v_mov_b32_e32 v18, 0
	v_mov_b32_e32 v19, v18
	;; [unrolled: 1-line block ×4, first 2 shown]
	ds_write_b128 v10, v[18:21]
                                        ; implicit-def: $vgpr10
; %bb.109:
	s_or_saveexec_b64 s[8:9], s[8:9]
	v_mul_u32_u24_e32 v9, 0x210, v11
	s_xor_b64 exec, exec, s[8:9]
	s_cbranch_execz .LBB22_111
; %bb.110:
	global_load_dwordx4 v[18:21], v[6:7], off
	s_waitcnt vmcnt(0)
	ds_write2_b64 v10, v[18:19], v[20:21] offset1:1
.LBB22_111:
	s_or_b64 exec, exec, s[8:9]
	v_add_u32_e32 v10, 8, v11
	v_cmp_le_i32_e64 s[8:9], s10, v10
	v_add_u32_e32 v17, v9, v8
	s_and_saveexec_b64 s[12:13], s[8:9]
	s_xor_b64 s[8:9], exec, s[12:13]
; %bb.112:
	v_mov_b32_e32 v18, 0
	v_mov_b32_e32 v19, v18
	;; [unrolled: 1-line block ×4, first 2 shown]
	ds_write_b128 v17, v[18:21] offset:4224
; %bb.113:
	s_andn2_saveexec_b64 s[8:9], s[8:9]
	s_cbranch_execz .LBB22_115
; %bb.114:
	s_lshl_b32 s12, s22, 3
	s_ashr_i32 s13, s12, 31
	v_lshl_add_u64 v[14:15], s[12:13], 4, v[6:7]
	global_load_dwordx4 v[18:21], v[14:15], off
	s_movk_i32 s11, 0x1080
	v_add3_u32 v14, v9, v8, s11
	s_waitcnt vmcnt(0)
	ds_write2_b64 v14, v[18:19], v[20:21] offset1:1
.LBB22_115:
	s_or_b64 exec, exec, s[8:9]
	v_add_u32_e32 v14, 16, v11
	v_cmp_le_i32_e64 s[8:9], s10, v14
	s_and_saveexec_b64 s[12:13], s[8:9]
	s_xor_b64 s[8:9], exec, s[12:13]
; %bb.116:
	v_mov_b32_e32 v18, 0
	v_mov_b32_e32 v19, v18
	;; [unrolled: 1-line block ×4, first 2 shown]
	ds_write_b128 v17, v[18:21] offset:8448
; %bb.117:
	s_andn2_saveexec_b64 s[8:9], s[8:9]
	s_cbranch_execz .LBB22_119
; %bb.118:
	s_lshl_b32 s12, s22, 4
	s_ashr_i32 s13, s12, 31
	v_lshl_add_u64 v[18:19], s[12:13], 4, v[6:7]
	global_load_dwordx4 v[18:21], v[18:19], off
	s_movk_i32 s11, 0x2100
	v_add3_u32 v15, v9, v8, s11
	s_waitcnt vmcnt(0)
	ds_write2_b64 v15, v[18:19], v[20:21] offset1:1
.LBB22_119:
	s_or_b64 exec, exec, s[8:9]
	v_add_u32_e32 v15, 24, v11
	v_cmp_le_i32_e64 s[8:9], s10, v15
	s_and_saveexec_b64 s[10:11], s[8:9]
	s_xor_b64 s[8:9], exec, s[10:11]
; %bb.120:
	v_mov_b32_e32 v18, 0
	v_mov_b32_e32 v19, v18
	;; [unrolled: 1-line block ×4, first 2 shown]
	ds_write_b128 v17, v[18:21] offset:12672
                                        ; implicit-def: $vgpr9
; %bb.121:
	s_andn2_saveexec_b64 s[8:9], s[8:9]
	s_cbranch_execz .LBB22_123
; %bb.122:
	s_mul_i32 s10, s22, 24
	s_ashr_i32 s11, s10, 31
	v_lshl_add_u64 v[18:19], s[10:11], 4, v[6:7]
	global_load_dwordx4 v[18:21], v[18:19], off
	s_movk_i32 s10, 0x3180
	v_add3_u32 v9, v9, v8, s10
	s_waitcnt vmcnt(0)
	ds_write2_b64 v9, v[18:19], v[20:21] offset1:1
.LBB22_123:
	s_or_b64 exec, exec, s[8:9]
	v_mov_b32_e32 v9, 0
	v_lshl_add_u64 v[6:7], v[6:7], 0, v[8:9]
	s_lshl_b64 s[8:9], s[18:19], 4
	v_mov_b32_e32 v9, s9
	v_subrev_co_u32_e64 v6, s[8:9], s8, v6
	s_nop 1
	v_subb_co_u32_e64 v7, s[8:9], v7, v9, s[8:9]
	v_lshl_add_u64 v[6:7], v[6:7], 0, 16
	v_cndmask_b32_e32 v41, v7, v5, vcc
	v_cndmask_b32_e32 v40, v6, v4, vcc
	s_branch .LBB22_138
.LBB22_124:
	ds_read_b128 v[4:7], v45
	s_mov_b64 s[6:7], exec
	v_add_u32_e32 v15, 16, v9
                                        ; implicit-def: $vgpr16
	s_waitcnt lgkmcnt(0)
	v_xor_b32_e32 v7, 0x80000000, v7
	ds_write_b64 v9, v[4:5] offset:16
	s_andn2_saveexec_b64 s[8:9], s[8:9]
	s_cbranch_execz .LBB22_94
.LBB22_125:
	v_cmp_eq_u32_e32 vcc, v16, v10
	s_mov_b64 s[16:17], s[6:7]
                                        ; implicit-def: $vgpr15
	s_and_saveexec_b64 s[30:31], vcc
; %bb.126:
	v_add_u32_e32 v15, v8, v14
	s_or_b64 s[16:17], s[6:7], exec
; %bb.127:
	s_or_b64 exec, exec, s[30:31]
	s_andn2_b64 s[6:7], s[6:7], exec
	s_and_b64 s[16:17], s[16:17], exec
	v_mov_b64_e32 v[6:7], 0
	s_or_b64 s[6:7], s[6:7], s[16:17]
	s_or_b64 exec, exec, s[8:9]
	s_and_saveexec_b64 s[8:9], s[6:7]
	s_cbranch_execnz .LBB22_95
	s_branch .LBB22_96
.LBB22_128:
	v_cmp_eq_u32_e32 vcc, v17, v10
                                        ; implicit-def: $vgpr15
	s_and_saveexec_b64 s[10:11], vcc
; %bb.129:
	s_mov_b64 s[6:7], exec
	v_add_u32_e32 v15, v8, v14
; %bb.130:
	s_or_b64 exec, exec, s[10:11]
	s_and_b64 s[6:7], s[6:7], exec
	s_or_saveexec_b64 s[8:9], s[8:9]
	v_mov_b64_e32 v[6:7], 0
	s_xor_b64 exec, exec, s[8:9]
	s_cbranch_execz .LBB22_98
.LBB22_131:
	ds_read_b128 v[4:7], v45 offset:528
	v_add_u32_e32 v15, 32, v9
	s_or_b64 s[6:7], s[6:7], exec
	s_waitcnt lgkmcnt(0)
	v_xor_b32_e32 v7, 0x80000000, v7
	ds_write_b64 v9, v[4:5] offset:32
	s_or_b64 exec, exec, s[8:9]
	s_and_saveexec_b64 s[8:9], s[6:7]
	s_cbranch_execnz .LBB22_99
	s_branch .LBB22_100
.LBB22_132:
	v_cmp_eq_u32_e32 vcc, v18, v10
                                        ; implicit-def: $vgpr15
	s_and_saveexec_b64 s[10:11], vcc
; %bb.133:
	s_mov_b64 s[6:7], exec
	v_add_u32_e32 v15, v8, v14
; %bb.134:
	s_or_b64 exec, exec, s[10:11]
	s_and_b64 s[6:7], s[6:7], exec
                                        ; implicit-def: $vgpr9
	s_or_saveexec_b64 s[8:9], s[8:9]
	v_mov_b64_e32 v[6:7], 0
	s_xor_b64 exec, exec, s[8:9]
	s_cbranch_execz .LBB22_102
.LBB22_135:
	ds_read_b128 v[4:7], v45 offset:1056
	v_add_u32_e32 v15, 48, v9
	s_or_b64 s[6:7], s[6:7], exec
	s_waitcnt lgkmcnt(0)
	v_xor_b32_e32 v7, 0x80000000, v7
	ds_write_b64 v9, v[4:5] offset:48
	s_or_b64 exec, exec, s[8:9]
	v_add_u32_e32 v16, 0x4700, v19
	s_and_saveexec_b64 s[8:9], s[6:7]
	s_cbranch_execnz .LBB22_103
	s_branch .LBB22_104
.LBB22_136:
                                        ; implicit-def: $vgpr40_vgpr41
                                        ; implicit-def: $vgpr10
                                        ; implicit-def: $vgpr14
                                        ; implicit-def: $vgpr15
	s_cbranch_execz .LBB22_138
; %bb.137:
	s_lshl_b32 s8, s22, 3
	s_ashr_i32 s9, s8, 31
	s_ashr_i32 s23, s22, 31
	v_lshl_add_u64 v[6:7], s[8:9], 4, v[12:13]
	s_lshl_b64 s[8:9], s[22:23], 7
	global_load_dwordx4 v[18:21], v[4:5], off
	global_load_dwordx4 v[22:25], v[6:7], off offset:-512
	v_lshl_add_u64 v[6:7], v[6:7], 0, s[8:9]
	v_lshl_add_u64 v[12:13], v[6:7], 0, s[8:9]
	global_load_dwordx4 v[26:29], v[6:7], off offset:-512
	global_load_dwordx4 v[46:49], v[12:13], off offset:-512
	s_movk_i32 s8, 0x210
	v_add_u32_e32 v10, 8, v11
	v_add_u32_e32 v14, 16, v11
	;; [unrolled: 1-line block ×3, first 2 shown]
	v_mad_u32_u24 v6, v11, s8, v8
	v_mov_b64_e32 v[40:41], v[4:5]
	v_add_u32_e32 v7, 0x1080, v6
	v_add_u32_e32 v8, 0x2100, v6
	;; [unrolled: 1-line block ×3, first 2 shown]
	s_waitcnt vmcnt(3)
	ds_write2_b64 v6, v[18:19], v[20:21] offset1:1
	s_waitcnt vmcnt(2)
	ds_write2_b64 v7, v[22:23], v[24:25] offset1:1
	;; [unrolled: 2-line block ×4, first 2 shown]
.LBB22_138:
	v_lshlrev_b32_e32 v8, 4, v11
	v_add_u32_e32 v4, v43, v8
	v_lshlrev_b32_e32 v12, 4, v10
	s_waitcnt lgkmcnt(0)
	s_barrier
	ds_read_b128 v[4:7], v4
	ds_read_b128 v[22:25], v8 offset:18176
	v_add_u32_e32 v8, v43, v12
	v_lshlrev_b32_e32 v14, 4, v14
	ds_read_b128 v[8:11], v8
	ds_read_b128 v[46:49], v12 offset:18176
	v_add_u32_e32 v17, v43, v14
	ds_read_b128 v[50:53], v17
	ds_read_b128 v[54:57], v14 offset:18176
	v_lshlrev_b32_e32 v14, 4, v15
	v_add_u32_e32 v15, v43, v14
	ds_read_b128 v[58:61], v15
	ds_read_b128 v[62:65], v14 offset:18176
	s_waitcnt lgkmcnt(6)
	v_mul_f64 v[12:13], v[6:7], v[24:25]
	v_fmac_f64_e32 v[12:13], v[4:5], v[22:23]
	s_waitcnt lgkmcnt(4)
	v_mul_f64 v[18:19], v[10:11], v[48:49]
	v_add_f64 v[12:13], v[12:13], 0
	v_fmac_f64_e32 v[18:19], v[8:9], v[46:47]
	s_waitcnt lgkmcnt(2)
	v_mul_f64 v[14:15], v[52:53], v[56:57]
	v_mul_f64 v[6:7], v[6:7], v[22:23]
	v_add_f64 v[12:13], v[12:13], v[18:19]
	v_fmac_f64_e32 v[14:15], v[50:51], v[54:55]
	v_mul_f64 v[10:11], v[10:11], v[46:47]
	v_add_f64 v[12:13], v[12:13], v[14:15]
	s_waitcnt lgkmcnt(0)
	v_mul_f64 v[14:15], v[60:61], v[64:65]
	v_fma_f64 v[34:35], v[4:5], v[24:25], -v[6:7]
	v_fmac_f64_e32 v[14:15], v[58:59], v[62:63]
	v_fma_f64 v[8:9], v[8:9], v[48:49], -v[10:11]
	v_add_f64 v[10:11], v[34:35], 0
	v_add_f64 v[46:47], v[12:13], v[14:15]
	ds_read_b128 v[28:31], v16 offset:512
	ds_read_b128 v[20:23], v16 offset:528
	;; [unrolled: 1-line block ×4, first 2 shown]
	ds_read_b128 v[24:27], v45
	ds_read_b128 v[16:19], v45 offset:528
	v_add_f64 v[48:49], v[10:11], v[8:9]
	ds_read_b128 v[32:35], v32
	ds_read_b128 v[8:11], v45 offset:1056
	v_mul_f64 v[52:53], v[52:53], v[54:55]
	v_mul_f64 v[54:55], v[60:61], v[62:63]
	v_fma_f64 v[50:51], v[50:51], v[56:57], -v[52:53]
	v_add_f64 v[48:49], v[48:49], v[50:51]
	v_fma_f64 v[50:51], v[58:59], v[64:65], -v[54:55]
	v_add_f64 v[48:49], v[48:49], v[50:51]
	s_waitcnt lgkmcnt(0)
	s_barrier
	ds_write_b128 v44, v[46:49]
	s_waitcnt lgkmcnt(0)
	s_barrier
	s_and_saveexec_b64 s[8:9], s[6:7]
	s_cbranch_execz .LBB22_140
; %bb.139:
	ds_read_b128 v[46:49], v43
	ds_read_b128 v[50:53], v43 offset:16
	ds_read_b128 v[54:57], v43 offset:32
	ds_read_b128 v[58:61], v43 offset:48
	s_waitcnt lgkmcnt(3)
	v_add_f64 v[0:1], v[0:1], v[46:47]
	v_add_f64 v[2:3], v[2:3], v[48:49]
	s_waitcnt lgkmcnt(2)
	v_add_f64 v[0:1], v[0:1], v[50:51]
	v_add_f64 v[46:47], v[2:3], v[52:53]
	s_waitcnt lgkmcnt(1)
	v_add_f64 v[48:49], v[0:1], v[54:55]
	ds_read_b128 v[0:3], v43 offset:64
	v_add_f64 v[46:47], v[46:47], v[56:57]
	s_waitcnt lgkmcnt(1)
	v_add_f64 v[50:51], v[48:49], v[58:59]
	v_add_f64 v[54:55], v[46:47], v[60:61]
	ds_read_b128 v[46:49], v43 offset:80
	s_waitcnt lgkmcnt(1)
	v_add_f64 v[56:57], v[50:51], v[0:1]
	ds_read_b128 v[50:53], v43 offset:96
	v_add_f64 v[54:55], v[54:55], v[2:3]
	ds_read_b128 v[0:3], v43 offset:112
	s_waitcnt lgkmcnt(2)
	v_add_f64 v[46:47], v[56:57], v[46:47]
	v_add_f64 v[48:49], v[54:55], v[48:49]
	s_waitcnt lgkmcnt(1)
	v_add_f64 v[46:47], v[46:47], v[50:51]
	v_add_f64 v[48:49], v[48:49], v[52:53]
	;; [unrolled: 3-line block ×3, first 2 shown]
.LBB22_140:
	s_or_b64 exec, exec, s[8:9]
	v_mul_f64 v[46:47], v[30:31], v[34:35]
	v_fma_f64 v[46:47], v[28:29], v[32:33], -v[46:47]
	v_mul_f64 v[28:29], v[28:29], v[34:35]
	v_fmac_f64_e32 v[28:29], v[30:31], v[32:33]
	v_mul_f64 v[32:33], v[22:23], v[26:27]
	v_fma_f64 v[32:33], v[20:21], v[24:25], -v[32:33]
	v_mul_f64 v[20:21], v[20:21], v[26:27]
	v_fmac_f64_e32 v[20:21], v[22:23], v[24:25]
	v_mul_f64 v[24:25], v[14:15], v[18:19]
	v_add_f64 v[30:31], v[46:47], 0
	v_add_f64 v[28:29], v[28:29], 0
	v_fma_f64 v[24:25], v[12:13], v[16:17], -v[24:25]
	v_mul_f64 v[12:13], v[12:13], v[18:19]
	v_add_f64 v[22:23], v[30:31], v[32:33]
	v_add_f64 v[20:21], v[28:29], v[20:21]
	v_fmac_f64_e32 v[12:13], v[14:15], v[16:17]
	v_mul_f64 v[16:17], v[6:7], v[10:11]
	v_mul_f64 v[10:11], v[4:5], v[10:11]
	v_add_f64 v[14:15], v[22:23], v[24:25]
	v_add_f64 v[12:13], v[20:21], v[12:13]
	v_fma_f64 v[16:17], v[4:5], v[8:9], -v[16:17]
	v_fmac_f64_e32 v[10:11], v[6:7], v[8:9]
	v_add_f64 v[4:5], v[14:15], v[16:17]
	v_add_f64 v[6:7], v[12:13], v[10:11]
	s_barrier
	ds_write_b128 v44, v[4:7]
	s_waitcnt lgkmcnt(0)
	s_barrier
	s_and_saveexec_b64 s[6:7], s[4:5]
	s_cbranch_execz .LBB22_142
; %bb.141:
	ds_read_b128 v[4:7], v43
	ds_read_b128 v[8:11], v43 offset:16
	ds_read_b128 v[12:15], v43 offset:32
	;; [unrolled: 1-line block ×3, first 2 shown]
	s_waitcnt lgkmcnt(3)
	v_add_f64 v[0:1], v[0:1], v[4:5]
	v_add_f64 v[2:3], v[2:3], v[6:7]
	s_waitcnt lgkmcnt(2)
	v_add_f64 v[0:1], v[0:1], v[8:9]
	v_add_f64 v[4:5], v[2:3], v[10:11]
	s_waitcnt lgkmcnt(1)
	v_add_f64 v[6:7], v[0:1], v[12:13]
	ds_read_b128 v[0:3], v43 offset:64
	v_add_f64 v[4:5], v[4:5], v[14:15]
	s_waitcnt lgkmcnt(1)
	v_add_f64 v[8:9], v[6:7], v[16:17]
	v_add_f64 v[12:13], v[4:5], v[18:19]
	ds_read_b128 v[4:7], v43 offset:80
	s_waitcnt lgkmcnt(1)
	v_add_f64 v[14:15], v[8:9], v[0:1]
	ds_read_b128 v[8:11], v43 offset:96
	v_add_f64 v[12:13], v[12:13], v[2:3]
	ds_read_b128 v[0:3], v43 offset:112
	s_waitcnt lgkmcnt(2)
	v_add_f64 v[4:5], v[14:15], v[4:5]
	v_add_f64 v[6:7], v[12:13], v[6:7]
	s_waitcnt lgkmcnt(1)
	v_add_f64 v[4:5], v[4:5], v[8:9]
	v_add_f64 v[6:7], v[6:7], v[10:11]
	;; [unrolled: 3-line block ×3, first 2 shown]
.LBB22_142:
	s_or_b64 exec, exec, s[6:7]
	s_load_dwordx2 s[0:1], s[0:1], 0x78
	s_mul_hi_u32 s4, s36, s3
	s_mul_i32 s37, s37, s3
	s_add_i32 s4, s4, s37
	s_mul_i32 s3, s36, s3
	s_mul_i32 s4, s4, s33
	s_mul_hi_u32 s5, s3, s33
	s_add_i32 s5, s5, s4
	s_mul_i32 s4, s3, s33
	s_lshl_b64 s[4:5], s[4:5], 4
	s_waitcnt lgkmcnt(0)
	s_add_u32 s3, s0, s4
	s_addc_u32 s4, s1, s5
	s_mul_hi_i32 s1, s36, s2
	s_mul_i32 s0, s36, s2
	s_lshl_b64 s[0:1], s[0:1], 4
	s_add_u32 s6, s3, s0
	s_addc_u32 s7, s4, s1
	s_add_i32 s8, s2, 1
	s_cmp_ge_u32 s8, s33
	v_lshlrev_b32_e32 v167, 4, v166
	s_barrier
	s_cbranch_scc1 .LBB22_200
; %bb.143:
	s_mul_i32 s0, s35, s24
	v_lshrrev_b32_e32 v6, 4, v42
	v_mov_b32_e32 v8, 0x4300
	s_ashr_i32 s1, s0, 31
	v_lshl_add_u32 v216, v165, 6, v8
	v_lshlrev_b32_e32 v8, 6, v6
	v_mul_i32_i24_e32 v26, 0xffffffd0, v6
	v_and_b32_e32 v6, 48, v166
	s_lshl_b64 s[0:1], s[0:1], 4
	v_and_b32_e32 v7, 15, v166
	s_movk_i32 s4, 0x430
	v_lshlrev_b32_e32 v6, 4, v6
	v_lshlrev_b32_e32 v214, 2, v165
	v_mov_b32_e32 v4, s1
	v_subrev_co_u32_e32 v168, vcc, s0, v36
	v_mad_u32_u24 v220, v7, s4, v6
	v_or_b32_e32 v6, 0xf0, v167
	v_subb_co_u32_e32 v169, vcc, v37, v4, vcc
	v_mad_u64_u32 v[4:5], s[0:1], s22, v214, v[166:167]
	v_mad_u32_u24 v219, v7, s4, v8
	v_mad_u32_u24 v221, v7, s4, v6
	v_lshlrev_b64 v[6:7], 4, v[38:39]
	v_ashrrev_i32_e32 v5, 31, v4
	v_sub_co_u32_e32 v170, vcc, 0, v6
	s_lshl_b32 s12, s22, 4
	s_mul_i32 s16, s22, 3
	v_subb_co_u32_e32 v171, vcc, 0, v7, vcc
	v_lshlrev_b64 v[6:7], 4, v[4:5]
	v_lshl_add_u64 v[4:5], s[28:29], 0, v[4:5]
	s_lshl_b32 s19, s35, 6
	s_ashr_i32 s13, s12, 31
	s_ashr_i32 s23, s22, 31
	s_lshl_b32 s24, s22, 1
	s_ashr_i32 s17, s16, 31
	s_mul_i32 s35, s35, s8
	v_lshlrev_b64 v[4:5], 4, v[4:5]
	s_add_i32 s3, s33, -2
	s_ashr_i32 s25, s24, 31
	s_lshl_b64 s[4:5], s[22:23], 4
	s_lshl_b32 s8, s35, 6
	s_lshl_b64 s[26:27], s[28:29], 4
	s_lshl_b64 s[10:11], s[12:13], 6
	s_mul_i32 s9, s22, 0x300
	v_mad_i64_i32 v[10:11], s[28:29], s12, 48, v[4:5]
	s_lshl_b64 s[16:17], s[16:17], 4
	s_lshl_b64 s[22:23], s[22:23], 5
	s_add_u32 s28, s22, s26
	s_addc_u32 s29, s23, s27
	s_mul_hi_i32 s30, s12, 48
	s_add_u32 s22, s9, s22
	s_addc_u32 s23, s30, s23
	v_lshl_add_u64 v[4:5], s[22:23], 0, v[4:5]
	s_add_u32 s22, s4, s26
	s_addc_u32 s23, s5, s27
	s_lshl_b64 s[24:25], s[24:25], 4
	s_add_u32 s30, s26, s24
	v_lshl_add_u64 v[14:15], v[10:11], 0, s[24:25]
	s_addc_u32 s31, s27, s25
	v_lshl_add_u64 v[176:177], v[40:41], 0, v[14:15]
	v_lshl_add_u64 v[14:15], s[30:31], 0, v[6:7]
	s_add_u32 s30, s26, s16
	v_lshl_add_u64 v[16:17], v[10:11], 0, s[4:5]
	s_addc_u32 s31, s27, s17
	v_lshl_add_u64 v[178:179], v[40:41], 0, v[16:17]
	v_lshl_add_u64 v[16:17], s[30:31], 0, v[6:7]
	s_lshl_b64 s[30:31], s[12:13], 4
	s_add_u32 s36, s26, s30
	s_addc_u32 s37, s27, s31
	s_lshl_b64 s[12:13], s[12:13], 5
	v_lshl_add_u64 v[8:9], s[26:27], 0, v[6:7]
	s_add_u32 s26, s12, s26
	s_addc_u32 s27, s13, s27
	v_lshl_add_u64 v[12:13], v[10:11], 0, s[16:17]
	s_add_u32 s38, s26, s16
	v_lshl_add_u64 v[172:173], v[40:41], 0, v[12:13]
	v_lshl_add_u64 v[12:13], s[28:29], 0, v[6:7]
	s_addc_u32 s39, s27, s17
	v_lshl_add_u64 v[174:175], v[40:41], 0, v[12:13]
	v_lshl_add_u64 v[12:13], s[22:23], 0, v[6:7]
	s_add_u32 s22, s22, s30
	s_addc_u32 s23, s23, s31
	s_add_u32 s12, s28, s12
	s_addc_u32 s13, s29, s13
	v_lshl_add_u64 v[20:21], s[12:13], 0, v[6:7]
	s_add_u32 s12, s36, s24
	s_addc_u32 s13, s37, s25
	v_lshl_add_u64 v[22:23], s[12:13], 0, v[6:7]
	s_add_u32 s12, s26, s24
	s_addc_u32 s13, s27, s25
	v_lshl_add_u64 v[24:25], s[12:13], 0, v[6:7]
	s_add_u32 s12, s28, s30
	s_addc_u32 s13, s29, s31
	s_add_u32 s4, s26, s4
	v_lshl_add_u64 v[184:185], v[40:41], 0, v[24:25]
	v_lshl_add_u64 v[24:25], s[12:13], 0, v[6:7]
	s_addc_u32 s5, s27, s5
	v_lshl_add_u64 v[186:187], v[40:41], 0, v[24:25]
	v_lshl_add_u64 v[24:25], s[4:5], 0, v[6:7]
	s_add_u32 s4, s36, s16
	v_lshl_add_u64 v[18:19], s[38:39], 0, v[6:7]
	s_addc_u32 s5, s37, s17
	v_lshl_add_u64 v[180:181], v[40:41], 0, v[10:11]
	v_lshl_add_u64 v[10:11], s[36:37], 0, v[6:7]
	;; [unrolled: 1-line block ×7, first 2 shown]
	s_movk_i32 s0, 0x10c0
	v_lshl_add_u64 v[8:9], v[40:41], 0, v[8:9]
	v_lshl_add_u64 v[4:5], v[40:41], 0, v[4:5]
	;; [unrolled: 1-line block ×11, first 2 shown]
	v_mov_b32_e32 v238, 0
	v_add_u32_e32 v215, 0x4300, v167
	v_add_u32_e32 v217, 0x4700, v167
	v_mad_u32_u24 v218, v165, s0, v167
	v_cmp_gt_u32_e64 s[0:1], 64, v42
	v_or_b32_e32 v222, 1, v214
	v_or_b32_e32 v223, 2, v214
	;; [unrolled: 1-line block ×3, first 2 shown]
	v_add_u32_e32 v225, 16, v214
	v_add_u32_e32 v226, 17, v214
	;; [unrolled: 1-line block ×6, first 2 shown]
	v_lshl_add_u64 v[190:191], v[8:9], 0, 8
	v_lshl_add_u64 v[192:193], v[4:5], 0, 8
	;; [unrolled: 1-line block ×11, first 2 shown]
	v_add_u32_e32 v231, v219, v26
	v_mov_b32_e32 v239, v238
	v_mov_b32_e32 v240, v238
	;; [unrolled: 1-line block ×3, first 2 shown]
	v_add_u32_e32 v232, 34, v214
	v_add_u32_e32 v233, 35, v214
	;; [unrolled: 1-line block ×7, first 2 shown]
	s_cmp_eq_u32 s3, s2
	s_cselect_b32 s24, s34, 0
	s_and_saveexec_b64 s[4:5], s[14:15]
	s_cbranch_execz .LBB22_148
.LBB22_144:
	s_cmp_lg_u32 s24, 0
	s_cselect_b64 s[12:13], -1, 0
	v_cmp_le_i32_e32 vcc, s24, v166
	s_and_b64 s[12:13], s[12:13], vcc
	s_and_saveexec_b64 s[16:17], s[12:13]
	s_xor_b64 s[12:13], exec, s[16:17]
; %bb.145:
	ds_write_b128 v215, v[238:241]
; %bb.146:
	s_andn2_saveexec_b64 s[12:13], s[12:13]
	s_cbranch_execz .LBB22_148
; %bb.147:
	s_ashr_i32 s9, s8, 31
	v_lshl_add_u64 v[4:5], s[8:9], 4, v[168:169]
	global_load_dwordx4 v[4:7], v[4:5], off
	s_waitcnt vmcnt(0)
	ds_write2_b64 v215, v[4:5], v[6:7] offset1:1
.LBB22_148:                             ; =>This Inner Loop Header: Depth=1
	s_or_b64 exec, exec, s[4:5]
	s_cmp_eq_u32 s24, 0
	s_cselect_b64 s[12:13], -1, 0
	s_cmp_lg_u32 s24, 0
	s_cselect_b64 s[16:17], -1, 0
	v_lshl_add_u64 v[16:17], v[190:191], 0, v[170:171]
	s_and_b64 vcc, exec, s[16:17]
	s_waitcnt lgkmcnt(0)
	s_barrier
	s_cbranch_vccz .LBB22_156
; %bb.149:                              ;   in Loop: Header=BB22_148 Depth=1
	v_cmp_gt_i32_e32 vcc, s24, v214
	v_mov_b64_e32 v[8:9], 0
	v_mov_b64_e32 v[4:5], 0
	;; [unrolled: 1-line block ×3, first 2 shown]
	s_and_saveexec_b64 s[4:5], vcc
	s_cbranch_execz .LBB22_151
; %bb.150:                              ;   in Loop: Header=BB22_148 Depth=1
	global_load_dwordx4 v[4:7], v[16:17], off offset:-8
.LBB22_151:                             ;   in Loop: Header=BB22_148 Depth=1
	s_or_b64 exec, exec, s[4:5]
	v_cmp_gt_i32_e32 vcc, s24, v222
	v_mov_b64_e32 v[10:11], 0
	s_and_saveexec_b64 s[4:5], vcc
	s_cbranch_execz .LBB22_153
; %bb.152:                              ;   in Loop: Header=BB22_148 Depth=1
	v_lshl_add_u64 v[8:9], v[194:195], 0, v[170:171]
	global_load_dwordx4 v[8:11], v[8:9], off offset:-8
.LBB22_153:                             ;   in Loop: Header=BB22_148 Depth=1
	s_or_b64 exec, exec, s[4:5]
	v_cmp_gt_i32_e32 vcc, s24, v223
	v_mov_b64_e32 v[12:13], 0
	v_mov_b64_e32 v[14:15], 0
	s_and_saveexec_b64 s[4:5], vcc
	s_cbranch_execz .LBB22_155
; %bb.154:                              ;   in Loop: Header=BB22_148 Depth=1
	v_lshl_add_u64 v[12:13], v[196:197], 0, v[170:171]
	global_load_dwordx4 v[12:15], v[12:13], off offset:-8
.LBB22_155:                             ;   in Loop: Header=BB22_148 Depth=1
	s_or_b64 exec, exec, s[4:5]
	v_cmp_gt_i32_e64 s[4:5], s24, v224
	s_branch .LBB22_158
.LBB22_156:                             ;   in Loop: Header=BB22_148 Depth=1
	s_mov_b64 s[4:5], 0
                                        ; implicit-def: $vgpr14_vgpr15
                                        ; implicit-def: $vgpr10_vgpr11
                                        ; implicit-def: $vgpr6_vgpr7
	s_cbranch_execz .LBB22_158
; %bb.157:                              ;   in Loop: Header=BB22_148 Depth=1
	s_waitcnt vmcnt(0)
	v_lshl_add_u64 v[8:9], v[194:195], 0, v[170:171]
	v_lshl_add_u64 v[12:13], v[174:175], 0, v[170:171]
	global_load_dwordx4 v[4:7], v[16:17], off offset:-8
	s_or_b64 s[4:5], s[4:5], exec
	global_load_dwordx4 v[8:11], v[8:9], off offset:-8
	s_nop 0
	global_load_dwordx4 v[12:15], v[12:13], off
.LBB22_158:                             ;   in Loop: Header=BB22_148 Depth=1
	v_mov_b64_e32 v[16:17], 0
	v_mov_b64_e32 v[18:19], 0
	s_and_saveexec_b64 s[22:23], s[4:5]
	s_cbranch_execz .LBB22_160
; %bb.159:                              ;   in Loop: Header=BB22_148 Depth=1
	v_lshl_add_u64 v[16:17], v[198:199], 0, v[170:171]
	global_load_dwordx4 v[16:19], v[16:17], off offset:-8
.LBB22_160:                             ;   in Loop: Header=BB22_148 Depth=1
	s_or_b64 exec, exec, s[22:23]
	ds_read_b128 v[36:39], v217
	ds_read_b128 v[32:35], v216
	ds_read_b128 v[28:31], v216 offset:16
	ds_read_b128 v[24:27], v216 offset:32
	;; [unrolled: 1-line block ×3, first 2 shown]
	s_waitcnt vmcnt(0) lgkmcnt(4)
	v_mul_f64 v[40:41], v[6:7], v[38:39]
	v_mul_f64 v[42:43], v[6:7], v[36:37]
	v_fmac_f64_e32 v[40:41], v[4:5], v[36:37]
	v_fma_f64 v[42:43], v[4:5], v[38:39], -v[42:43]
	ds_write_b128 v218, v[40:43]
	v_mul_f64 v[40:41], v[10:11], v[38:39]
	v_mul_f64 v[42:43], v[10:11], v[36:37]
	v_fmac_f64_e32 v[40:41], v[8:9], v[36:37]
	v_fma_f64 v[42:43], v[8:9], v[38:39], -v[42:43]
	ds_write_b128 v218, v[40:43] offset:1072
	v_mul_f64 v[40:41], v[14:15], v[38:39]
	v_mul_f64 v[42:43], v[14:15], v[36:37]
	v_fmac_f64_e32 v[40:41], v[12:13], v[36:37]
	v_fma_f64 v[42:43], v[12:13], v[38:39], -v[42:43]
	ds_write_b128 v218, v[40:43] offset:2144
	v_mul_f64 v[40:41], v[18:19], v[38:39]
	v_fmac_f64_e32 v[40:41], v[16:17], v[36:37]
	v_mul_f64 v[36:37], v[18:19], v[36:37]
	v_fma_f64 v[42:43], v[16:17], v[38:39], -v[36:37]
	ds_write_b128 v218, v[40:43] offset:3216
	s_waitcnt lgkmcnt(0)
	s_barrier
	ds_read_b128 v[92:95], v219
	ds_read_b128 v[88:91], v219 offset:16
	ds_read_b128 v[84:87], v219 offset:32
	;; [unrolled: 1-line block ×3, first 2 shown]
	v_cndmask_b32_e64 v36, 0, 1, s[16:17]
	v_cmp_ne_u32_e64 s[4:5], 1, v36
	s_andn2_b64 vcc, exec, s[16:17]
	v_lshl_add_u64 v[48:49], v[200:201], 0, v[170:171]
	s_waitcnt lgkmcnt(0)
	s_barrier
	s_cbranch_vccnz .LBB22_168
; %bb.161:                              ;   in Loop: Header=BB22_148 Depth=1
	v_cmp_gt_i32_e32 vcc, s24, v225
	v_mov_b64_e32 v[40:41], 0
	v_mov_b64_e32 v[36:37], 0
	;; [unrolled: 1-line block ×3, first 2 shown]
	s_and_saveexec_b64 s[16:17], vcc
	s_cbranch_execz .LBB22_163
; %bb.162:                              ;   in Loop: Header=BB22_148 Depth=1
	global_load_dwordx4 v[36:39], v[48:49], off offset:-8
.LBB22_163:                             ;   in Loop: Header=BB22_148 Depth=1
	s_or_b64 exec, exec, s[16:17]
	v_cmp_gt_i32_e32 vcc, s24, v226
	v_mov_b64_e32 v[42:43], 0
	s_and_saveexec_b64 s[16:17], vcc
	s_cbranch_execz .LBB22_165
; %bb.164:                              ;   in Loop: Header=BB22_148 Depth=1
	v_lshl_add_u64 v[40:41], v[202:203], 0, v[170:171]
	global_load_dwordx4 v[40:43], v[40:41], off offset:-8
.LBB22_165:                             ;   in Loop: Header=BB22_148 Depth=1
	s_or_b64 exec, exec, s[16:17]
	v_cmp_gt_i32_e32 vcc, s24, v227
	v_mov_b64_e32 v[44:45], 0
	v_mov_b64_e32 v[46:47], 0
	s_and_saveexec_b64 s[16:17], vcc
	s_cbranch_execz .LBB22_167
; %bb.166:                              ;   in Loop: Header=BB22_148 Depth=1
	v_lshl_add_u64 v[44:45], v[206:207], 0, v[170:171]
	global_load_dwordx4 v[44:47], v[44:45], off offset:-8
.LBB22_167:                             ;   in Loop: Header=BB22_148 Depth=1
	s_or_b64 exec, exec, s[16:17]
	v_cmp_gt_i32_e64 s[16:17], s24, v228
	s_branch .LBB22_170
.LBB22_168:                             ;   in Loop: Header=BB22_148 Depth=1
	s_mov_b64 s[16:17], 0
                                        ; implicit-def: $vgpr46_vgpr47
                                        ; implicit-def: $vgpr42_vgpr43
                                        ; implicit-def: $vgpr38_vgpr39
	s_cbranch_execz .LBB22_170
; %bb.169:                              ;   in Loop: Header=BB22_148 Depth=1
	s_waitcnt vmcnt(0)
	v_lshl_add_u64 v[40:41], v[202:203], 0, v[170:171]
	v_lshl_add_u64 v[44:45], v[186:187], 0, v[170:171]
	global_load_dwordx4 v[36:39], v[48:49], off offset:-8
	s_or_b64 s[16:17], s[16:17], exec
	global_load_dwordx4 v[40:43], v[40:41], off offset:-8
	s_nop 0
	global_load_dwordx4 v[44:47], v[44:45], off
.LBB22_170:                             ;   in Loop: Header=BB22_148 Depth=1
	v_mov_b64_e32 v[48:49], 0
	v_mov_b64_e32 v[50:51], 0
	s_and_saveexec_b64 s[22:23], s[16:17]
	s_cbranch_execz .LBB22_172
; %bb.171:                              ;   in Loop: Header=BB22_148 Depth=1
	v_lshl_add_u64 v[48:49], v[208:209], 0, v[170:171]
	global_load_dwordx4 v[48:51], v[48:49], off offset:-8
.LBB22_172:                             ;   in Loop: Header=BB22_148 Depth=1
	s_or_b64 exec, exec, s[22:23]
	ds_read_b128 v[68:71], v217
	ds_read_b128 v[64:67], v216 offset:256
	ds_read_b128 v[60:63], v216 offset:272
	;; [unrolled: 1-line block ×4, first 2 shown]
	s_waitcnt vmcnt(0) lgkmcnt(4)
	v_mul_f64 v[72:73], v[38:39], v[70:71]
	v_mul_f64 v[74:75], v[38:39], v[68:69]
	v_fmac_f64_e32 v[72:73], v[36:37], v[68:69]
	v_fma_f64 v[74:75], v[36:37], v[70:71], -v[74:75]
	ds_write_b128 v218, v[72:75]
	v_mul_f64 v[72:73], v[42:43], v[70:71]
	v_mul_f64 v[74:75], v[42:43], v[68:69]
	v_fmac_f64_e32 v[72:73], v[40:41], v[68:69]
	v_fma_f64 v[74:75], v[40:41], v[70:71], -v[74:75]
	ds_write_b128 v218, v[72:75] offset:1072
	v_mul_f64 v[72:73], v[46:47], v[70:71]
	v_mul_f64 v[74:75], v[46:47], v[68:69]
	v_fmac_f64_e32 v[72:73], v[44:45], v[68:69]
	v_fma_f64 v[74:75], v[44:45], v[70:71], -v[74:75]
	ds_write_b128 v218, v[72:75] offset:2144
	v_mul_f64 v[72:73], v[50:51], v[70:71]
	v_fmac_f64_e32 v[72:73], v[48:49], v[68:69]
	v_mul_f64 v[68:69], v[50:51], v[68:69]
	v_fma_f64 v[74:75], v[48:49], v[70:71], -v[68:69]
	ds_write_b128 v218, v[72:75] offset:3216
	s_waitcnt lgkmcnt(0)
	s_barrier
	ds_read_b128 v[144:147], v219
	ds_read_b128 v[140:143], v219 offset:16
	ds_read_b128 v[136:139], v219 offset:32
	;; [unrolled: 1-line block ×3, first 2 shown]
	s_and_b64 vcc, exec, s[4:5]
	v_lshl_add_u64 v[96:97], v[210:211], 0, v[170:171]
	s_waitcnt lgkmcnt(0)
	s_barrier
	s_cbranch_vccnz .LBB22_180
; %bb.173:                              ;   in Loop: Header=BB22_148 Depth=1
	v_cmp_gt_i32_e32 vcc, s24, v229
	v_mov_b64_e32 v[72:73], 0
	v_mov_b64_e32 v[68:69], 0
	;; [unrolled: 1-line block ×3, first 2 shown]
	s_and_saveexec_b64 s[16:17], vcc
	s_cbranch_execz .LBB22_175
; %bb.174:                              ;   in Loop: Header=BB22_148 Depth=1
	global_load_dwordx4 v[68:71], v[96:97], off offset:-8
.LBB22_175:                             ;   in Loop: Header=BB22_148 Depth=1
	s_or_b64 exec, exec, s[16:17]
	v_cmp_gt_i32_e32 vcc, s24, v230
	v_mov_b64_e32 v[74:75], 0
	s_and_saveexec_b64 s[16:17], vcc
	s_cbranch_execz .LBB22_177
; %bb.176:                              ;   in Loop: Header=BB22_148 Depth=1
	v_lshl_add_u64 v[72:73], v[188:189], 0, v[170:171]
	global_load_dwordx4 v[72:75], v[72:73], off
.LBB22_177:                             ;   in Loop: Header=BB22_148 Depth=1
	s_or_b64 exec, exec, s[16:17]
	v_cmp_gt_i32_e32 vcc, s24, v232
	v_mov_b64_e32 v[76:77], 0
	v_mov_b64_e32 v[78:79], 0
	s_and_saveexec_b64 s[16:17], vcc
	s_cbranch_execz .LBB22_179
; %bb.178:                              ;   in Loop: Header=BB22_148 Depth=1
	v_lshl_add_u64 v[76:77], v[184:185], 0, v[170:171]
	global_load_dwordx4 v[76:79], v[76:77], off
.LBB22_179:                             ;   in Loop: Header=BB22_148 Depth=1
	s_or_b64 exec, exec, s[16:17]
	v_cmp_gt_i32_e64 s[16:17], s24, v233
	s_branch .LBB22_182
.LBB22_180:                             ;   in Loop: Header=BB22_148 Depth=1
	s_mov_b64 s[16:17], 0
                                        ; implicit-def: $vgpr78_vgpr79
                                        ; implicit-def: $vgpr74_vgpr75
                                        ; implicit-def: $vgpr70_vgpr71
	s_cbranch_execz .LBB22_182
; %bb.181:                              ;   in Loop: Header=BB22_148 Depth=1
	s_waitcnt vmcnt(0)
	v_lshl_add_u64 v[72:73], v[188:189], 0, v[170:171]
	v_lshl_add_u64 v[76:77], v[204:205], 0, v[170:171]
	global_load_dwordx4 v[68:71], v[96:97], off offset:-8
	s_or_b64 s[16:17], s[16:17], exec
	global_load_dwordx4 v[72:75], v[72:73], off
	s_nop 0
	global_load_dwordx4 v[76:79], v[76:77], off offset:-8
.LBB22_182:                             ;   in Loop: Header=BB22_148 Depth=1
	v_mov_b64_e32 v[96:97], 0
	v_mov_b64_e32 v[98:99], 0
	s_and_saveexec_b64 s[22:23], s[16:17]
	s_cbranch_execz .LBB22_184
; %bb.183:                              ;   in Loop: Header=BB22_148 Depth=1
	v_lshl_add_u64 v[96:97], v[182:183], 0, v[170:171]
	global_load_dwordx4 v[96:99], v[96:97], off
.LBB22_184:                             ;   in Loop: Header=BB22_148 Depth=1
	s_or_b64 exec, exec, s[22:23]
	ds_read_b128 v[116:119], v217
	ds_read_b128 v[112:115], v216 offset:512
	ds_read_b128 v[108:111], v216 offset:528
	;; [unrolled: 1-line block ×4, first 2 shown]
	s_waitcnt vmcnt(0) lgkmcnt(4)
	v_mul_f64 v[120:121], v[70:71], v[118:119]
	v_mul_f64 v[122:123], v[70:71], v[116:117]
	v_fmac_f64_e32 v[120:121], v[68:69], v[116:117]
	v_fma_f64 v[122:123], v[68:69], v[118:119], -v[122:123]
	ds_write_b128 v218, v[120:123]
	v_mul_f64 v[120:121], v[74:75], v[118:119]
	v_mul_f64 v[122:123], v[74:75], v[116:117]
	v_fmac_f64_e32 v[120:121], v[72:73], v[116:117]
	v_fma_f64 v[122:123], v[72:73], v[118:119], -v[122:123]
	ds_write_b128 v218, v[120:123] offset:1072
	v_mul_f64 v[120:121], v[78:79], v[118:119]
	v_mul_f64 v[122:123], v[78:79], v[116:117]
	v_fmac_f64_e32 v[120:121], v[76:77], v[116:117]
	v_fma_f64 v[122:123], v[76:77], v[118:119], -v[122:123]
	ds_write_b128 v218, v[120:123] offset:2144
	v_mul_f64 v[120:121], v[98:99], v[118:119]
	v_fmac_f64_e32 v[120:121], v[96:97], v[116:117]
	v_mul_f64 v[116:117], v[98:99], v[116:117]
	v_fma_f64 v[122:123], v[96:97], v[118:119], -v[116:117]
	ds_write_b128 v218, v[120:123] offset:3216
	s_waitcnt lgkmcnt(0)
	s_barrier
	ds_read_b128 v[160:163], v219
	ds_read_b128 v[156:159], v219 offset:16
	ds_read_b128 v[152:155], v219 offset:32
	;; [unrolled: 1-line block ×3, first 2 shown]
	s_and_b64 vcc, exec, s[4:5]
	v_lshl_add_u64 v[128:129], v[180:181], 0, v[170:171]
	s_waitcnt lgkmcnt(0)
	s_barrier
	s_cbranch_vccnz .LBB22_192
; %bb.185:                              ;   in Loop: Header=BB22_148 Depth=1
	v_cmp_gt_i32_e32 vcc, s24, v234
	v_mov_b64_e32 v[120:121], 0
	v_mov_b64_e32 v[116:117], 0
	;; [unrolled: 1-line block ×3, first 2 shown]
	s_and_saveexec_b64 s[4:5], vcc
	s_cbranch_execz .LBB22_187
; %bb.186:                              ;   in Loop: Header=BB22_148 Depth=1
	global_load_dwordx4 v[116:119], v[128:129], off
.LBB22_187:                             ;   in Loop: Header=BB22_148 Depth=1
	s_or_b64 exec, exec, s[4:5]
	v_cmp_gt_i32_e32 vcc, s24, v235
	v_mov_b64_e32 v[122:123], 0
	s_and_saveexec_b64 s[4:5], vcc
	s_cbranch_execz .LBB22_189
; %bb.188:                              ;   in Loop: Header=BB22_148 Depth=1
	v_lshl_add_u64 v[120:121], v[178:179], 0, v[170:171]
	global_load_dwordx4 v[120:123], v[120:121], off
.LBB22_189:                             ;   in Loop: Header=BB22_148 Depth=1
	s_or_b64 exec, exec, s[4:5]
	v_cmp_gt_i32_e32 vcc, s24, v236
	v_mov_b64_e32 v[124:125], 0
	v_mov_b64_e32 v[126:127], 0
	s_and_saveexec_b64 s[4:5], vcc
	s_cbranch_execz .LBB22_191
; %bb.190:                              ;   in Loop: Header=BB22_148 Depth=1
	v_lshl_add_u64 v[124:125], v[176:177], 0, v[170:171]
	global_load_dwordx4 v[124:127], v[124:125], off
.LBB22_191:                             ;   in Loop: Header=BB22_148 Depth=1
	s_or_b64 exec, exec, s[4:5]
	v_cmp_gt_i32_e64 s[4:5], s24, v237
	s_branch .LBB22_194
.LBB22_192:                             ;   in Loop: Header=BB22_148 Depth=1
	s_mov_b64 s[4:5], 0
                                        ; implicit-def: $vgpr126_vgpr127
                                        ; implicit-def: $vgpr122_vgpr123
                                        ; implicit-def: $vgpr118_vgpr119
	s_cbranch_execz .LBB22_194
; %bb.193:                              ;   in Loop: Header=BB22_148 Depth=1
	s_waitcnt vmcnt(0)
	v_lshl_add_u64 v[120:121], v[178:179], 0, v[170:171]
	v_lshl_add_u64 v[124:125], v[192:193], 0, v[170:171]
	global_load_dwordx4 v[116:119], v[128:129], off
	s_or_b64 s[4:5], s[4:5], exec
	global_load_dwordx4 v[120:123], v[120:121], off
	s_nop 0
	global_load_dwordx4 v[124:127], v[124:125], off offset:-8
.LBB22_194:                             ;   in Loop: Header=BB22_148 Depth=1
	v_mov_b64_e32 v[128:129], 0
	v_mov_b64_e32 v[130:131], 0
	s_and_saveexec_b64 s[16:17], s[4:5]
	s_cbranch_execz .LBB22_196
; %bb.195:                              ;   in Loop: Header=BB22_148 Depth=1
	v_lshl_add_u64 v[128:129], v[172:173], 0, v[170:171]
	global_load_dwordx4 v[128:131], v[128:129], off
.LBB22_196:                             ;   in Loop: Header=BB22_148 Depth=1
	s_or_b64 exec, exec, s[16:17]
	v_add_f64 v[160:161], v[160:161], 0
	v_add_f64 v[144:145], v[144:145], 0
	;; [unrolled: 1-line block ×19, first 2 shown]
	ds_read_b128 v[140:143], v217
	ds_read_b128 v[132:135], v216 offset:768
	ds_read_b128 v[92:95], v216 offset:784
	;; [unrolled: 1-line block ×4, first 2 shown]
	s_waitcnt vmcnt(0) lgkmcnt(4)
	v_mul_f64 v[144:145], v[118:119], v[142:143]
	v_mul_f64 v[146:147], v[118:119], v[140:141]
	v_fmac_f64_e32 v[144:145], v[116:117], v[140:141]
	v_fma_f64 v[146:147], v[116:117], v[142:143], -v[146:147]
	ds_write_b128 v218, v[144:147]
	v_mul_f64 v[144:145], v[122:123], v[142:143]
	v_mul_f64 v[146:147], v[122:123], v[140:141]
	v_fmac_f64_e32 v[144:145], v[120:121], v[140:141]
	v_fma_f64 v[146:147], v[120:121], v[142:143], -v[146:147]
	ds_write_b128 v218, v[144:147] offset:1072
	v_mul_f64 v[144:145], v[126:127], v[142:143]
	v_mul_f64 v[146:147], v[126:127], v[140:141]
	v_fmac_f64_e32 v[144:145], v[124:125], v[140:141]
	v_fma_f64 v[146:147], v[124:125], v[142:143], -v[146:147]
	ds_write_b128 v218, v[144:147] offset:2144
	v_mul_f64 v[144:145], v[130:131], v[142:143]
	v_fmac_f64_e32 v[144:145], v[128:129], v[140:141]
	v_mul_f64 v[140:141], v[130:131], v[140:141]
	v_fma_f64 v[146:147], v[128:129], v[142:143], -v[140:141]
	v_add_f64 v[162:163], v[162:163], 0
	ds_write_b128 v218, v[144:147] offset:3216
	s_waitcnt lgkmcnt(0)
	s_barrier
	ds_read_b128 v[140:143], v219
	v_add_f64 v[158:159], v[162:163], v[158:159]
	v_add_f64 v[154:155], v[158:159], v[154:155]
	;; [unrolled: 1-line block ×4, first 2 shown]
	ds_read_b128 v[144:147], v219 offset:16
	ds_read_b128 v[152:155], v219 offset:32
	;; [unrolled: 1-line block ×3, first 2 shown]
	s_waitcnt lgkmcnt(3)
	v_add_f64 v[140:141], v[140:141], 0
	v_add_f64 v[142:143], v[142:143], 0
	v_cmp_gt_i32_e32 vcc, s24, v166
	s_waitcnt lgkmcnt(2)
	v_add_f64 v[140:141], v[140:141], v[144:145]
	v_add_f64 v[142:143], v[142:143], v[146:147]
	s_or_b64 s[4:5], s[12:13], vcc
	s_waitcnt lgkmcnt(1)
	v_add_f64 v[140:141], v[140:141], v[152:153]
	v_add_f64 v[142:143], v[142:143], v[154:155]
	s_and_b64 s[12:13], s[0:1], s[4:5]
	s_waitcnt lgkmcnt(0)
	v_add_f64 v[140:141], v[140:141], v[156:157]
	v_add_f64 v[142:143], v[142:143], v[158:159]
	s_barrier
	ds_write_b128 v231, v[80:83]
	ds_write_b128 v231, v[136:139] offset:256
	ds_write_b128 v231, v[148:151] offset:512
	ds_write_b128 v231, v[140:143] offset:768
	s_waitcnt lgkmcnt(0)
	s_barrier
	s_and_saveexec_b64 s[4:5], s[12:13]
	s_cbranch_execz .LBB22_198
; %bb.197:                              ;   in Loop: Header=BB22_148 Depth=1
	ds_read_b128 v[80:83], v220
	ds_read_b128 v[136:139], v220 offset:16
	ds_read_b128 v[140:143], v220 offset:32
	;; [unrolled: 1-line block ×3, first 2 shown]
	v_ashrrev_i32_e32 v213, 31, v212
	s_waitcnt lgkmcnt(2)
	v_add_f64 v[80:81], v[136:137], v[80:81]
	v_add_f64 v[136:137], v[138:139], v[82:83]
	s_waitcnt lgkmcnt(1)
	v_add_f64 v[138:139], v[80:81], v[140:141]
	ds_read_b128 v[80:83], v220 offset:64
	v_add_f64 v[140:141], v[136:137], v[142:143]
	s_waitcnt lgkmcnt(1)
	v_add_f64 v[142:143], v[138:139], v[144:145]
	ds_read_b128 v[136:139], v220 offset:80
	;; [unrolled: 4-line block ×9, first 2 shown]
	v_add_f64 v[82:83], v[144:145], v[82:83]
	s_waitcnt lgkmcnt(1)
	v_add_f64 v[136:137], v[80:81], v[136:137]
	v_add_f64 v[144:145], v[82:83], v[138:139]
	ds_read_b128 v[80:83], v220 offset:208
	s_waitcnt lgkmcnt(1)
	v_add_f64 v[146:147], v[136:137], v[140:141]
	ds_read_b128 v[136:139], v220 offset:224
	v_add_f64 v[144:145], v[144:145], v[142:143]
	ds_read_b128 v[140:143], v221
	s_waitcnt lgkmcnt(2)
	v_add_f64 v[80:81], v[146:147], v[80:81]
	v_add_f64 v[82:83], v[144:145], v[82:83]
	s_waitcnt lgkmcnt(1)
	v_add_f64 v[80:81], v[80:81], v[136:137]
	v_add_f64 v[82:83], v[82:83], v[138:139]
	;; [unrolled: 3-line block ×3, first 2 shown]
	v_lshl_add_u64 v[136:137], v[212:213], 4, s[6:7]
	global_store_dwordx4 v[136:137], v[80:83], off
.LBB22_198:                             ;   in Loop: Header=BB22_148 Depth=1
	s_or_b64 exec, exec, s[4:5]
	s_nop 0
	v_mul_f64 v[80:81], v[6:7], v[34:35]
	v_fma_f64 v[80:81], v[4:5], v[32:33], -v[80:81]
	v_mul_f64 v[4:5], v[4:5], v[34:35]
	v_mul_f64 v[34:35], v[10:11], v[30:31]
	v_add_f64 v[0:1], v[0:1], v[80:81]
	v_fma_f64 v[34:35], v[8:9], v[28:29], -v[34:35]
	v_mul_f64 v[8:9], v[8:9], v[30:31]
	v_mul_f64 v[30:31], v[14:15], v[26:27]
	v_add_f64 v[0:1], v[0:1], v[34:35]
	v_fma_f64 v[30:31], v[12:13], v[24:25], -v[30:31]
	v_mul_f64 v[12:13], v[12:13], v[26:27]
	v_mul_f64 v[26:27], v[18:19], v[22:23]
	v_fmac_f64_e32 v[4:5], v[6:7], v[32:33]
	v_add_f64 v[0:1], v[0:1], v[30:31]
	v_fma_f64 v[26:27], v[16:17], v[20:21], -v[26:27]
	v_add_f64 v[2:3], v[2:3], v[4:5]
	v_mul_f64 v[4:5], v[38:39], v[66:67]
	v_add_f64 v[0:1], v[0:1], v[26:27]
	v_fma_f64 v[4:5], v[36:37], v[64:65], -v[4:5]
	v_add_f64 v[0:1], v[0:1], v[4:5]
	v_mul_f64 v[4:5], v[42:43], v[62:63]
	v_fma_f64 v[4:5], v[40:41], v[60:61], -v[4:5]
	v_add_f64 v[0:1], v[0:1], v[4:5]
	v_mul_f64 v[4:5], v[46:47], v[58:59]
	;; [unrolled: 3-line block ×4, first 2 shown]
	v_fmac_f64_e32 v[8:9], v[10:11], v[28:29]
	v_fma_f64 v[4:5], v[68:69], v[112:113], -v[4:5]
	v_mul_f64 v[16:17], v[16:17], v[22:23]
	v_add_f64 v[2:3], v[2:3], v[8:9]
	v_fmac_f64_e32 v[12:13], v[14:15], v[24:25]
	v_add_f64 v[0:1], v[0:1], v[4:5]
	v_mul_f64 v[4:5], v[74:75], v[110:111]
	v_add_f64 v[2:3], v[2:3], v[12:13]
	v_fmac_f64_e32 v[16:17], v[18:19], v[20:21]
	v_mul_f64 v[6:7], v[36:37], v[66:67]
	v_fma_f64 v[4:5], v[72:73], v[108:109], -v[4:5]
	v_add_f64 v[2:3], v[2:3], v[16:17]
	v_mul_f64 v[8:9], v[40:41], v[62:63]
	v_fmac_f64_e32 v[6:7], v[38:39], v[64:65]
	v_add_f64 v[0:1], v[0:1], v[4:5]
	v_mul_f64 v[4:5], v[78:79], v[106:107]
	v_mul_f64 v[10:11], v[44:45], v[58:59]
	v_add_f64 v[2:3], v[2:3], v[6:7]
	v_fmac_f64_e32 v[8:9], v[42:43], v[60:61]
	v_fma_f64 v[4:5], v[76:77], v[104:105], -v[4:5]
	v_mul_f64 v[12:13], v[48:49], v[54:55]
	v_add_f64 v[2:3], v[2:3], v[8:9]
	v_fmac_f64_e32 v[10:11], v[46:47], v[56:57]
	v_add_f64 v[0:1], v[0:1], v[4:5]
	v_mul_f64 v[4:5], v[98:99], v[102:103]
	v_add_f64 v[2:3], v[2:3], v[10:11]
	v_fmac_f64_e32 v[12:13], v[50:51], v[52:53]
	v_mul_f64 v[6:7], v[68:69], v[114:115]
	v_fma_f64 v[4:5], v[96:97], v[100:101], -v[4:5]
	v_add_f64 v[2:3], v[2:3], v[12:13]
	v_mul_f64 v[8:9], v[72:73], v[110:111]
	v_add_f64 v[0:1], v[0:1], v[4:5]
	v_fmac_f64_e32 v[6:7], v[70:71], v[112:113]
	v_mul_f64 v[4:5], v[118:119], v[134:135]
	v_mul_f64 v[10:11], v[76:77], v[106:107]
	v_add_f64 v[2:3], v[2:3], v[6:7]
	v_fmac_f64_e32 v[8:9], v[74:75], v[108:109]
	v_fma_f64 v[4:5], v[116:117], v[132:133], -v[4:5]
	v_mul_f64 v[12:13], v[96:97], v[102:103]
	v_add_f64 v[2:3], v[2:3], v[8:9]
	v_fmac_f64_e32 v[10:11], v[78:79], v[104:105]
	v_add_f64 v[0:1], v[0:1], v[4:5]
	v_mul_f64 v[4:5], v[122:123], v[94:95]
	v_add_f64 v[2:3], v[2:3], v[10:11]
	v_fmac_f64_e32 v[12:13], v[98:99], v[100:101]
	v_mul_f64 v[6:7], v[116:117], v[134:135]
	v_fma_f64 v[4:5], v[120:121], v[92:93], -v[4:5]
	v_add_f64 v[2:3], v[2:3], v[12:13]
	v_mul_f64 v[8:9], v[120:121], v[94:95]
	v_add_f64 v[0:1], v[0:1], v[4:5]
	v_mul_f64 v[4:5], v[126:127], v[90:91]
	v_fmac_f64_e32 v[6:7], v[118:119], v[132:133]
	v_fma_f64 v[4:5], v[124:125], v[88:89], -v[4:5]
	v_mul_f64 v[10:11], v[124:125], v[90:91]
	v_fmac_f64_e32 v[8:9], v[122:123], v[92:93]
	v_add_f64 v[2:3], v[2:3], v[6:7]
	v_add_f64 v[0:1], v[0:1], v[4:5]
	v_mul_f64 v[4:5], v[130:131], v[86:87]
	v_mul_f64 v[12:13], v[128:129], v[86:87]
	v_fmac_f64_e32 v[10:11], v[126:127], v[88:89]
	v_add_f64 v[2:3], v[2:3], v[8:9]
	v_fma_f64 v[4:5], v[128:129], v[84:85], -v[4:5]
	v_fmac_f64_e32 v[12:13], v[130:131], v[84:85]
	v_add_f64 v[2:3], v[2:3], v[10:11]
	s_add_i32 s4, s2, 1
	s_add_i32 s8, s8, s19
	;; [unrolled: 1-line block ×3, first 2 shown]
	v_add_f64 v[0:1], v[0:1], v[4:5]
	v_add_f64 v[2:3], v[2:3], v[12:13]
	v_add_u32_e32 v212, 64, v212
	v_lshl_add_u64 v[190:191], v[190:191], 0, s[10:11]
	v_lshl_add_u64 v[172:173], v[172:173], 0, s[10:11]
	;; [unrolled: 1-line block ×19, first 2 shown]
	s_cmp_ge_u32 s2, s33
	v_lshl_add_u64 v[210:211], v[210:211], 0, s[10:11]
	s_barrier
	s_cbranch_scc1 .LBB22_200
; %bb.199:                              ;   in Loop: Header=BB22_148 Depth=1
	s_mov_b32 s2, s4
	s_cmp_eq_u32 s3, s2
	s_cselect_b32 s24, s34, 0
	s_and_saveexec_b64 s[4:5], s[14:15]
	s_cbranch_execnz .LBB22_144
	s_branch .LBB22_148
.LBB22_200:
	s_movk_i32 s0, 0x430
	v_cmp_gt_i32_e32 vcc, s18, v166
	v_mad_u32_u24 v4, v165, s0, v167
	s_or_b64 s[0:1], s[20:21], vcc
	s_and_b64 s[0:1], s[14:15], s[0:1]
	ds_write_b128 v4, v[0:3]
	s_waitcnt lgkmcnt(0)
	s_barrier
	s_and_saveexec_b64 s[2:3], s[0:1]
	s_cbranch_execz .LBB22_202
; %bb.201:
	ds_read_b128 v[0:3], v167 offset:1072
	ds_read_b128 v[4:7], v167
	ds_read_b128 v[8:11], v167 offset:2144
	ds_read_b128 v[12:15], v167 offset:3216
	v_ashrrev_i32_e32 v165, 31, v164
	s_waitcnt lgkmcnt(2)
	v_add_f64 v[0:1], v[0:1], v[4:5]
	v_add_f64 v[2:3], v[2:3], v[6:7]
	s_waitcnt lgkmcnt(1)
	v_add_f64 v[0:1], v[0:1], v[8:9]
	v_add_f64 v[2:3], v[2:3], v[10:11]
	;; [unrolled: 3-line block ×3, first 2 shown]
	v_lshl_add_u64 v[4:5], v[164:165], 4, s[6:7]
	global_store_dwordx4 v[4:5], v[0:3], off
.LBB22_202:
	s_endpgm
	.section	.rodata,"a",@progbits
	.p2align	6, 0x0
	.amdhsa_kernel _ZL26rocblas_hemvn_kernel_upperILb1ELi64ELi4ELi33ELi32ELi16Ei19rocblas_complex_numIdEPKS1_PS1_EviT6_lT7_lT5_lS6_lS7_lS5_lT8_i
		.amdhsa_group_segment_fixed_size 19200
		.amdhsa_private_segment_fixed_size 0
		.amdhsa_kernarg_size 392
		.amdhsa_user_sgpr_count 2
		.amdhsa_user_sgpr_dispatch_ptr 0
		.amdhsa_user_sgpr_queue_ptr 0
		.amdhsa_user_sgpr_kernarg_segment_ptr 1
		.amdhsa_user_sgpr_dispatch_id 0
		.amdhsa_user_sgpr_kernarg_preload_length 0
		.amdhsa_user_sgpr_kernarg_preload_offset 0
		.amdhsa_user_sgpr_private_segment_size 0
		.amdhsa_uses_dynamic_stack 0
		.amdhsa_enable_private_segment 0
		.amdhsa_system_sgpr_workgroup_id_x 1
		.amdhsa_system_sgpr_workgroup_id_y 0
		.amdhsa_system_sgpr_workgroup_id_z 1
		.amdhsa_system_sgpr_workgroup_info 0
		.amdhsa_system_vgpr_workitem_id 1
		.amdhsa_next_free_vgpr 242
		.amdhsa_next_free_sgpr 40
		.amdhsa_accum_offset 244
		.amdhsa_reserve_vcc 1
		.amdhsa_float_round_mode_32 0
		.amdhsa_float_round_mode_16_64 0
		.amdhsa_float_denorm_mode_32 3
		.amdhsa_float_denorm_mode_16_64 3
		.amdhsa_dx10_clamp 1
		.amdhsa_ieee_mode 1
		.amdhsa_fp16_overflow 0
		.amdhsa_tg_split 0
		.amdhsa_exception_fp_ieee_invalid_op 0
		.amdhsa_exception_fp_denorm_src 0
		.amdhsa_exception_fp_ieee_div_zero 0
		.amdhsa_exception_fp_ieee_overflow 0
		.amdhsa_exception_fp_ieee_underflow 0
		.amdhsa_exception_fp_ieee_inexact 0
		.amdhsa_exception_int_div_zero 0
	.end_amdhsa_kernel
	.section	.text._ZL26rocblas_hemvn_kernel_upperILb1ELi64ELi4ELi33ELi32ELi16Ei19rocblas_complex_numIdEPKS1_PS1_EviT6_lT7_lT5_lS6_lS7_lS5_lT8_i,"axG",@progbits,_ZL26rocblas_hemvn_kernel_upperILb1ELi64ELi4ELi33ELi32ELi16Ei19rocblas_complex_numIdEPKS1_PS1_EviT6_lT7_lT5_lS6_lS7_lS5_lT8_i,comdat
.Lfunc_end22:
	.size	_ZL26rocblas_hemvn_kernel_upperILb1ELi64ELi4ELi33ELi32ELi16Ei19rocblas_complex_numIdEPKS1_PS1_EviT6_lT7_lT5_lS6_lS7_lS5_lT8_i, .Lfunc_end22-_ZL26rocblas_hemvn_kernel_upperILb1ELi64ELi4ELi33ELi32ELi16Ei19rocblas_complex_numIdEPKS1_PS1_EviT6_lT7_lT5_lS6_lS7_lS5_lT8_i
                                        ; -- End function
	.set _ZL26rocblas_hemvn_kernel_upperILb1ELi64ELi4ELi33ELi32ELi16Ei19rocblas_complex_numIdEPKS1_PS1_EviT6_lT7_lT5_lS6_lS7_lS5_lT8_i.num_vgpr, 242
	.set _ZL26rocblas_hemvn_kernel_upperILb1ELi64ELi4ELi33ELi32ELi16Ei19rocblas_complex_numIdEPKS1_PS1_EviT6_lT7_lT5_lS6_lS7_lS5_lT8_i.num_agpr, 0
	.set _ZL26rocblas_hemvn_kernel_upperILb1ELi64ELi4ELi33ELi32ELi16Ei19rocblas_complex_numIdEPKS1_PS1_EviT6_lT7_lT5_lS6_lS7_lS5_lT8_i.numbered_sgpr, 40
	.set _ZL26rocblas_hemvn_kernel_upperILb1ELi64ELi4ELi33ELi32ELi16Ei19rocblas_complex_numIdEPKS1_PS1_EviT6_lT7_lT5_lS6_lS7_lS5_lT8_i.num_named_barrier, 0
	.set _ZL26rocblas_hemvn_kernel_upperILb1ELi64ELi4ELi33ELi32ELi16Ei19rocblas_complex_numIdEPKS1_PS1_EviT6_lT7_lT5_lS6_lS7_lS5_lT8_i.private_seg_size, 0
	.set _ZL26rocblas_hemvn_kernel_upperILb1ELi64ELi4ELi33ELi32ELi16Ei19rocblas_complex_numIdEPKS1_PS1_EviT6_lT7_lT5_lS6_lS7_lS5_lT8_i.uses_vcc, 1
	.set _ZL26rocblas_hemvn_kernel_upperILb1ELi64ELi4ELi33ELi32ELi16Ei19rocblas_complex_numIdEPKS1_PS1_EviT6_lT7_lT5_lS6_lS7_lS5_lT8_i.uses_flat_scratch, 0
	.set _ZL26rocblas_hemvn_kernel_upperILb1ELi64ELi4ELi33ELi32ELi16Ei19rocblas_complex_numIdEPKS1_PS1_EviT6_lT7_lT5_lS6_lS7_lS5_lT8_i.has_dyn_sized_stack, 0
	.set _ZL26rocblas_hemvn_kernel_upperILb1ELi64ELi4ELi33ELi32ELi16Ei19rocblas_complex_numIdEPKS1_PS1_EviT6_lT7_lT5_lS6_lS7_lS5_lT8_i.has_recursion, 0
	.set _ZL26rocblas_hemvn_kernel_upperILb1ELi64ELi4ELi33ELi32ELi16Ei19rocblas_complex_numIdEPKS1_PS1_EviT6_lT7_lT5_lS6_lS7_lS5_lT8_i.has_indirect_call, 0
	.section	.AMDGPU.csdata,"",@progbits
; Kernel info:
; codeLenInByte = 11012
; TotalNumSgprs: 46
; NumVgprs: 242
; NumAgprs: 0
; TotalNumVgprs: 242
; ScratchSize: 0
; MemoryBound: 1
; FloatMode: 240
; IeeeMode: 1
; LDSByteSize: 19200 bytes/workgroup (compile time only)
; SGPRBlocks: 5
; VGPRBlocks: 30
; NumSGPRsForWavesPerEU: 46
; NumVGPRsForWavesPerEU: 242
; AccumOffset: 244
; Occupancy: 2
; WaveLimiterHint : 1
; COMPUTE_PGM_RSRC2:SCRATCH_EN: 0
; COMPUTE_PGM_RSRC2:USER_SGPR: 2
; COMPUTE_PGM_RSRC2:TRAP_HANDLER: 0
; COMPUTE_PGM_RSRC2:TGID_X_EN: 1
; COMPUTE_PGM_RSRC2:TGID_Y_EN: 0
; COMPUTE_PGM_RSRC2:TGID_Z_EN: 1
; COMPUTE_PGM_RSRC2:TIDIG_COMP_CNT: 1
; COMPUTE_PGM_RSRC3_GFX90A:ACCUM_OFFSET: 60
; COMPUTE_PGM_RSRC3_GFX90A:TG_SPLIT: 0
	.section	.text._ZL36rocblas_hemvn_kernel_upper_block_sumILi64Ei19rocblas_complex_numIdEPS1_S1_EviT1_lS3_lT2_lT0_lPT3_i,"axG",@progbits,_ZL36rocblas_hemvn_kernel_upper_block_sumILi64Ei19rocblas_complex_numIdEPS1_S1_EviT1_lS3_lT2_lT0_lPT3_i,comdat
	.globl	_ZL36rocblas_hemvn_kernel_upper_block_sumILi64Ei19rocblas_complex_numIdEPS1_S1_EviT1_lS3_lT2_lT0_lPT3_i ; -- Begin function _ZL36rocblas_hemvn_kernel_upper_block_sumILi64Ei19rocblas_complex_numIdEPS1_S1_EviT1_lS3_lT2_lT0_lPT3_i
	.p2align	8
	.type	_ZL36rocblas_hemvn_kernel_upper_block_sumILi64Ei19rocblas_complex_numIdEPS1_S1_EviT1_lS3_lT2_lT0_lPT3_i,@function
_ZL36rocblas_hemvn_kernel_upper_block_sumILi64Ei19rocblas_complex_numIdEPS1_S1_EviT1_lS3_lT2_lT0_lPT3_i: ; @_ZL36rocblas_hemvn_kernel_upper_block_sumILi64Ei19rocblas_complex_numIdEPS1_S1_EviT1_lS3_lT2_lT0_lPT3_i
; %bb.0:
	s_load_dwordx4 s[12:15], s[0:1], 0x8
	s_load_dwordx4 s[8:11], s[0:1], 0x20
	s_waitcnt lgkmcnt(0)
	v_cmp_neq_f64_e64 s[4:5], s[12:13], 0
	v_cmp_neq_f64_e64 s[6:7], s[14:15], 0
	s_or_b64 s[16:17], s[4:5], s[6:7]
	s_mov_b64 s[4:5], -1
	s_and_b64 vcc, exec, s[16:17]
	s_cbranch_vccnz .LBB23_2
; %bb.1:
	v_cmp_neq_f64_e64 s[4:5], s[8:9], 1.0
	v_cmp_neq_f64_e64 s[6:7], s[10:11], 0
	s_or_b64 s[4:5], s[4:5], s[6:7]
.LBB23_2:
	s_andn2_b64 vcc, exec, s[4:5]
	s_cbranch_vccnz .LBB23_22
; %bb.3:
	s_load_dwordx4 s[4:7], s[0:1], 0x50
	s_xor_b64 s[22:23], s[16:17], -1
	s_load_dwordx4 s[16:19], s[0:1], 0x38
	s_load_dword s26, s[0:1], 0x48
	s_load_dword s20, s[0:1], 0x0
	v_lshl_or_b32 v4, s2, 6, v0
	s_waitcnt lgkmcnt(0)
	s_mul_i32 s5, s5, s3
	s_mul_hi_u32 s21, s4, s3
	s_add_i32 s5, s21, s5
	s_mul_i32 s4, s4, s3
	s_lshl_b64 s[4:5], s[4:5], 4
	s_add_u32 s16, s16, s4
	s_addc_u32 s17, s17, s5
	s_lshl_b64 s[4:5], s[18:19], 4
	s_add_u32 s16, s16, s4
	s_addc_u32 s17, s17, s5
	s_andn2_b64 vcc, exec, s[22:23]
	v_cmp_gt_i32_e64 s[4:5], s20, v4
	s_cbranch_vccnz .LBB23_8
; %bb.4:
	s_mov_b64 s[22:23], 0
	s_mov_b64 s[18:19], 0
                                        ; implicit-def: $vgpr2_vgpr3
                                        ; implicit-def: $vgpr6_vgpr7
	s_and_saveexec_b64 s[24:25], s[4:5]
	s_cbranch_execz .LBB23_9
; %bb.5:
	v_cmp_neq_f64_e64 s[4:5], s[8:9], 0
	v_cmp_neq_f64_e64 s[18:19], s[10:11], 0
	v_mul_lo_u32 v6, s26, v4
	s_or_b64 s[4:5], s[4:5], s[18:19]
	v_mov_b64_e32 v[2:3], 0
	v_ashrrev_i32_e32 v7, 31, v6
	s_andn2_b64 vcc, exec, s[4:5]
	v_mov_b64_e32 v[0:1], 0
	s_cbranch_vccnz .LBB23_7
; %bb.6:
	v_lshl_add_u64 v[0:1], v[6:7], 4, s[16:17]
	global_load_dwordx4 v[8:11], v[0:1], off
	s_waitcnt vmcnt(0)
	v_mul_f64 v[0:1], s[10:11], v[10:11]
	v_mul_f64 v[2:3], s[8:9], v[10:11]
	v_fma_f64 v[0:1], s[8:9], v[8:9], -v[0:1]
	v_fmac_f64_e32 v[2:3], s[10:11], v[8:9]
.LBB23_7:
	s_mov_b64 s[18:19], exec
	s_or_b64 exec, exec, s[24:25]
	s_and_b64 vcc, exec, s[22:23]
	s_cbranch_vccnz .LBB23_10
	s_branch .LBB23_20
.LBB23_8:
	s_mov_b64 s[18:19], 0
                                        ; implicit-def: $vgpr2_vgpr3
                                        ; implicit-def: $vgpr6_vgpr7
	s_cbranch_execnz .LBB23_10
	s_branch .LBB23_20
.LBB23_9:
	s_or_b64 exec, exec, s[24:25]
	s_and_b64 vcc, exec, s[22:23]
	s_cbranch_vccz .LBB23_20
.LBB23_10:
	v_cmp_gt_i32_e32 vcc, s20, v4
                                        ; implicit-def: $vgpr2_vgpr3
                                        ; implicit-def: $vgpr6_vgpr7
	s_and_saveexec_b64 s[4:5], vcc
	s_cbranch_execz .LBB23_19
; %bb.11:
	v_mov_b64_e32 v[0:1], 0
	s_cmp_lt_i32 s2, 0
	v_mov_b64_e32 v[8:9], 0
	s_cbranch_scc1 .LBB23_14
; %bb.12:
	s_load_dword s0, s[0:1], 0x68
	s_ashr_i32 s21, s20, 31
	s_mul_hi_u32 s1, s20, s3
	s_mul_i32 s22, s21, s3
	s_add_i32 s1, s1, s22
	s_mul_i32 s3, s20, s3
	s_waitcnt lgkmcnt(0)
	s_mul_i32 s1, s1, s0
	s_mul_hi_u32 s22, s3, s0
	s_add_i32 s1, s22, s1
	s_mul_i32 s0, s3, s0
	s_add_i32 s2, s2, 1
	s_lshl_b64 s[0:1], s[0:1], 4
	s_add_u32 s0, s6, s0
	v_mov_b32_e32 v5, 0
	s_addc_u32 s1, s7, s1
	v_lshl_add_u64 v[0:1], v[4:5], 4, s[0:1]
	v_lshl_add_u64 v[2:3], v[0:1], 0, 8
	s_lshl_b64 s[0:1], s[20:21], 4
	v_mov_b64_e32 v[0:1], 0
	v_mov_b64_e32 v[8:9], 0
.LBB23_13:                              ; =>This Inner Loop Header: Depth=1
	global_load_dwordx4 v[10:13], v[2:3], off offset:-8
	s_add_i32 s2, s2, -1
	v_lshl_add_u64 v[2:3], v[2:3], 0, s[0:1]
	s_cmp_eq_u32 s2, 0
	s_waitcnt vmcnt(0)
	v_add_f64 v[8:9], v[8:9], v[10:11]
	v_add_f64 v[0:1], v[0:1], v[12:13]
	s_cbranch_scc0 .LBB23_13
.LBB23_14:
	v_cmp_neq_f64_e64 s[2:3], s[8:9], 0
	v_cmp_neq_f64_e64 s[6:7], s[10:11], 0
	s_or_b64 s[2:3], s[2:3], s[6:7]
	v_mul_f64 v[10:11], s[14:15], v[0:1]
	v_mul_f64 v[2:3], s[12:13], v[0:1]
	v_mul_lo_u32 v6, s26, v4
	s_mov_b64 s[0:1], 0
	s_andn2_b64 vcc, exec, s[2:3]
	v_fma_f64 v[0:1], s[12:13], v[8:9], -v[10:11]
	v_fmac_f64_e32 v[2:3], s[14:15], v[8:9]
	v_ashrrev_i32_e32 v7, 31, v6
	s_cbranch_vccnz .LBB23_16
; %bb.15:
	s_mov_b64 s[0:1], -1
.LBB23_16:
	s_andn2_b64 vcc, exec, s[0:1]
	s_cbranch_vccnz .LBB23_18
; %bb.17:
	v_lshl_add_u64 v[4:5], v[6:7], 4, s[16:17]
	global_load_dwordx4 v[8:11], v[4:5], off
	s_waitcnt vmcnt(0)
	v_mul_f64 v[4:5], s[10:11], v[10:11]
	v_mul_f64 v[10:11], s[8:9], v[10:11]
	v_fma_f64 v[4:5], s[8:9], v[8:9], -v[4:5]
	v_fmac_f64_e32 v[10:11], s[10:11], v[8:9]
	v_add_f64 v[0:1], v[0:1], v[4:5]
	v_add_f64 v[2:3], v[2:3], v[10:11]
.LBB23_18:
	s_or_b64 s[18:19], s[18:19], exec
.LBB23_19:
	s_or_b64 exec, exec, s[4:5]
.LBB23_20:
	s_and_saveexec_b64 s[0:1], s[18:19]
	s_cbranch_execz .LBB23_22
; %bb.21:
	v_lshl_add_u64 v[4:5], v[6:7], 4, s[16:17]
	global_store_dwordx4 v[4:5], v[0:3], off
.LBB23_22:
	s_endpgm
	.section	.rodata,"a",@progbits
	.p2align	6, 0x0
	.amdhsa_kernel _ZL36rocblas_hemvn_kernel_upper_block_sumILi64Ei19rocblas_complex_numIdEPS1_S1_EviT1_lS3_lT2_lT0_lPT3_i
		.amdhsa_group_segment_fixed_size 0
		.amdhsa_private_segment_fixed_size 0
		.amdhsa_kernarg_size 360
		.amdhsa_user_sgpr_count 2
		.amdhsa_user_sgpr_dispatch_ptr 0
		.amdhsa_user_sgpr_queue_ptr 0
		.amdhsa_user_sgpr_kernarg_segment_ptr 1
		.amdhsa_user_sgpr_dispatch_id 0
		.amdhsa_user_sgpr_kernarg_preload_length 0
		.amdhsa_user_sgpr_kernarg_preload_offset 0
		.amdhsa_user_sgpr_private_segment_size 0
		.amdhsa_uses_dynamic_stack 0
		.amdhsa_enable_private_segment 0
		.amdhsa_system_sgpr_workgroup_id_x 1
		.amdhsa_system_sgpr_workgroup_id_y 0
		.amdhsa_system_sgpr_workgroup_id_z 1
		.amdhsa_system_sgpr_workgroup_info 0
		.amdhsa_system_vgpr_workitem_id 0
		.amdhsa_next_free_vgpr 14
		.amdhsa_next_free_sgpr 27
		.amdhsa_accum_offset 16
		.amdhsa_reserve_vcc 1
		.amdhsa_float_round_mode_32 0
		.amdhsa_float_round_mode_16_64 0
		.amdhsa_float_denorm_mode_32 3
		.amdhsa_float_denorm_mode_16_64 3
		.amdhsa_dx10_clamp 1
		.amdhsa_ieee_mode 1
		.amdhsa_fp16_overflow 0
		.amdhsa_tg_split 0
		.amdhsa_exception_fp_ieee_invalid_op 0
		.amdhsa_exception_fp_denorm_src 0
		.amdhsa_exception_fp_ieee_div_zero 0
		.amdhsa_exception_fp_ieee_overflow 0
		.amdhsa_exception_fp_ieee_underflow 0
		.amdhsa_exception_fp_ieee_inexact 0
		.amdhsa_exception_int_div_zero 0
	.end_amdhsa_kernel
	.section	.text._ZL36rocblas_hemvn_kernel_upper_block_sumILi64Ei19rocblas_complex_numIdEPS1_S1_EviT1_lS3_lT2_lT0_lPT3_i,"axG",@progbits,_ZL36rocblas_hemvn_kernel_upper_block_sumILi64Ei19rocblas_complex_numIdEPS1_S1_EviT1_lS3_lT2_lT0_lPT3_i,comdat
.Lfunc_end23:
	.size	_ZL36rocblas_hemvn_kernel_upper_block_sumILi64Ei19rocblas_complex_numIdEPS1_S1_EviT1_lS3_lT2_lT0_lPT3_i, .Lfunc_end23-_ZL36rocblas_hemvn_kernel_upper_block_sumILi64Ei19rocblas_complex_numIdEPS1_S1_EviT1_lS3_lT2_lT0_lPT3_i
                                        ; -- End function
	.set _ZL36rocblas_hemvn_kernel_upper_block_sumILi64Ei19rocblas_complex_numIdEPS1_S1_EviT1_lS3_lT2_lT0_lPT3_i.num_vgpr, 14
	.set _ZL36rocblas_hemvn_kernel_upper_block_sumILi64Ei19rocblas_complex_numIdEPS1_S1_EviT1_lS3_lT2_lT0_lPT3_i.num_agpr, 0
	.set _ZL36rocblas_hemvn_kernel_upper_block_sumILi64Ei19rocblas_complex_numIdEPS1_S1_EviT1_lS3_lT2_lT0_lPT3_i.numbered_sgpr, 27
	.set _ZL36rocblas_hemvn_kernel_upper_block_sumILi64Ei19rocblas_complex_numIdEPS1_S1_EviT1_lS3_lT2_lT0_lPT3_i.num_named_barrier, 0
	.set _ZL36rocblas_hemvn_kernel_upper_block_sumILi64Ei19rocblas_complex_numIdEPS1_S1_EviT1_lS3_lT2_lT0_lPT3_i.private_seg_size, 0
	.set _ZL36rocblas_hemvn_kernel_upper_block_sumILi64Ei19rocblas_complex_numIdEPS1_S1_EviT1_lS3_lT2_lT0_lPT3_i.uses_vcc, 1
	.set _ZL36rocblas_hemvn_kernel_upper_block_sumILi64Ei19rocblas_complex_numIdEPS1_S1_EviT1_lS3_lT2_lT0_lPT3_i.uses_flat_scratch, 0
	.set _ZL36rocblas_hemvn_kernel_upper_block_sumILi64Ei19rocblas_complex_numIdEPS1_S1_EviT1_lS3_lT2_lT0_lPT3_i.has_dyn_sized_stack, 0
	.set _ZL36rocblas_hemvn_kernel_upper_block_sumILi64Ei19rocblas_complex_numIdEPS1_S1_EviT1_lS3_lT2_lT0_lPT3_i.has_recursion, 0
	.set _ZL36rocblas_hemvn_kernel_upper_block_sumILi64Ei19rocblas_complex_numIdEPS1_S1_EviT1_lS3_lT2_lT0_lPT3_i.has_indirect_call, 0
	.section	.AMDGPU.csdata,"",@progbits
; Kernel info:
; codeLenInByte = 696
; TotalNumSgprs: 33
; NumVgprs: 14
; NumAgprs: 0
; TotalNumVgprs: 14
; ScratchSize: 0
; MemoryBound: 0
; FloatMode: 240
; IeeeMode: 1
; LDSByteSize: 0 bytes/workgroup (compile time only)
; SGPRBlocks: 4
; VGPRBlocks: 1
; NumSGPRsForWavesPerEU: 33
; NumVGPRsForWavesPerEU: 14
; AccumOffset: 16
; Occupancy: 8
; WaveLimiterHint : 0
; COMPUTE_PGM_RSRC2:SCRATCH_EN: 0
; COMPUTE_PGM_RSRC2:USER_SGPR: 2
; COMPUTE_PGM_RSRC2:TRAP_HANDLER: 0
; COMPUTE_PGM_RSRC2:TGID_X_EN: 1
; COMPUTE_PGM_RSRC2:TGID_Y_EN: 0
; COMPUTE_PGM_RSRC2:TGID_Z_EN: 1
; COMPUTE_PGM_RSRC2:TIDIG_COMP_CNT: 0
; COMPUTE_PGM_RSRC3_GFX90A:ACCUM_OFFSET: 3
; COMPUTE_PGM_RSRC3_GFX90A:TG_SPLIT: 0
	.section	.text._ZL26rocblas_hemvn_kernel_lowerILb1ELi64ELi4ELi33ELi32ELi16ElPK19rocblas_complex_numIdES3_PS1_EviT6_lT7_lT5_lS6_lS7_lS5_lT8_i,"axG",@progbits,_ZL26rocblas_hemvn_kernel_lowerILb1ELi64ELi4ELi33ELi32ELi16ElPK19rocblas_complex_numIdES3_PS1_EviT6_lT7_lT5_lS6_lS7_lS5_lT8_i,comdat
	.globl	_ZL26rocblas_hemvn_kernel_lowerILb1ELi64ELi4ELi33ELi32ELi16ElPK19rocblas_complex_numIdES3_PS1_EviT6_lT7_lT5_lS6_lS7_lS5_lT8_i ; -- Begin function _ZL26rocblas_hemvn_kernel_lowerILb1ELi64ELi4ELi33ELi32ELi16ElPK19rocblas_complex_numIdES3_PS1_EviT6_lT7_lT5_lS6_lS7_lS5_lT8_i
	.p2align	8
	.type	_ZL26rocblas_hemvn_kernel_lowerILb1ELi64ELi4ELi33ELi32ELi16ElPK19rocblas_complex_numIdES3_PS1_EviT6_lT7_lT5_lS6_lS7_lS5_lT8_i,@function
_ZL26rocblas_hemvn_kernel_lowerILb1ELi64ELi4ELi33ELi32ELi16ElPK19rocblas_complex_numIdES3_PS1_EviT6_lT7_lT5_lS6_lS7_lS5_lT8_i: ; @_ZL26rocblas_hemvn_kernel_lowerILb1ELi64ELi4ELi33ELi32ELi16ElPK19rocblas_complex_numIdES3_PS1_EviT6_lT7_lT5_lS6_lS7_lS5_lT8_i
; %bb.0:
	s_load_dwordx2 s[6:7], s[0:1], 0x84
	s_add_u32 s4, s0, 0x78
	s_addc_u32 s5, s1, 0
	s_waitcnt lgkmcnt(0)
	s_lshr_b32 s8, s6, 16
	s_and_b32 s6, s6, 0xffff
	s_and_b32 s7, s7, 0xffff
	s_mul_i32 s6, s8, s6
	s_mul_i32 s6, s6, s7
	s_cmpk_lg_i32 s6, 0x100
	s_cbranch_scc1 .LBB24_151
; %bb.1:
	s_load_dwordx16 s[16:31], s[0:1], 0x8
	s_waitcnt lgkmcnt(0)
	s_mul_i32 s7, s19, s3
	s_mul_hi_u32 s8, s18, s3
	s_mul_i32 s6, s18, s3
	s_add_i32 s7, s8, s7
	s_lshl_b64 s[6:7], s[6:7], 4
	s_add_u32 s6, s16, s6
	s_addc_u32 s7, s17, s7
	s_load_dwordx4 s[8:11], s[6:7], 0x0
	s_load_dwordx2 s[34:35], s[0:1], 0x68
	s_load_dwordx8 s[36:43], s[0:1], 0x48
	s_waitcnt lgkmcnt(0)
	v_cmp_neq_f64_e64 s[6:7], s[8:9], 0
	v_cmp_neq_f64_e64 s[8:9], s[10:11], 0
	s_or_b64 s[6:7], s[6:7], s[8:9]
	s_mov_b64 s[8:9], -1
	s_and_b64 vcc, exec, s[6:7]
	s_cbranch_vccnz .LBB24_3
; %bb.2:
	s_mul_i32 s8, s43, s3
	s_mul_hi_u32 s9, s42, s3
	s_add_i32 s9, s9, s8
	s_mul_i32 s8, s42, s3
	s_lshl_b64 s[8:9], s[8:9], 4
	s_add_u32 s12, s40, s8
	s_addc_u32 s13, s41, s9
	s_load_dwordx4 s[8:11], s[12:13], 0x0
	s_waitcnt lgkmcnt(0)
	v_cmp_neq_f64_e64 s[8:9], s[8:9], 1.0
	v_cmp_neq_f64_e64 s[10:11], s[10:11], 0
	s_or_b64 s[8:9], s[8:9], s[10:11]
.LBB24_3:
	s_andn2_b64 vcc, exec, s[8:9]
	s_cbranch_vccnz .LBB24_151
; %bb.4:
	s_andn2_b64 vcc, exec, s[6:7]
	s_cbranch_vccnz .LBB24_151
; %bb.5:
	s_load_dword s40, s[4:5], 0x0
	s_load_dword s33, s[0:1], 0x0
	s_mul_i32 s0, s39, s3
	s_mul_hi_u32 s1, s38, s3
	s_add_i32 s1, s1, s0
	s_mul_i32 s0, s38, s3
	s_lshl_b64 s[0:1], s[0:1], 4
	s_add_u32 s4, s28, s0
	s_addc_u32 s5, s29, s1
	s_lshl_b64 s[0:1], s[30:31], 4
	s_add_u32 s0, s4, s0
	s_addc_u32 s1, s5, s1
	s_waitcnt lgkmcnt(0)
	s_ashr_i32 s41, s33, 31
	s_lshr_b32 s5, s41, 26
	s_add_i32 s5, s33, s5
	v_and_b32_e32 v159, 0x3ff, v0
	s_lshl_b32 s30, s2, 6
	s_andn2_b32 s5, s5, 63
	s_add_i32 s4, s40, -1
	s_sub_i32 s5, s33, s5
	v_add_u32_e32 v148, s30, v159
	s_cmp_eq_u32 s2, s4
	v_ashrrev_i32_e32 v149, 31, v148
	v_bfe_u32 v158, v0, 10, 10
	s_cselect_b32 s28, s5, 0
	v_mul_lo_u32 v2, s36, v149
	v_mul_lo_u32 v3, s37, v148
	v_mad_u64_u32 v[0:1], s[4:5], s36, v148, 0
	v_add3_u32 v1, v1, v2, v3
	v_lshl_add_u64 v[36:37], v[0:1], 4, s[0:1]
	v_cmp_ne_u32_e64 s[0:1], 0, v158
	v_cmp_eq_u32_e64 s[16:17], 0, v158
	s_and_saveexec_b64 s[4:5], s[16:17]
	s_cbranch_execz .LBB24_10
; %bb.6:
	s_cmp_lg_u32 s28, 0
	s_cselect_b64 s[6:7], -1, 0
	v_cmp_le_i32_e32 vcc, s28, v159
	v_mov_b32_e32 v0, 0x4700
	s_and_b64 s[6:7], s[6:7], vcc
	v_lshl_add_u32 v0, v159, 4, v0
	s_and_saveexec_b64 s[8:9], s[6:7]
	s_xor_b64 s[6:7], exec, s[8:9]
; %bb.7:
	v_mov_b32_e32 v2, 0
	v_mov_b32_e32 v3, v2
	;; [unrolled: 1-line block ×4, first 2 shown]
	ds_write_b128 v0, v[2:5]
                                        ; implicit-def: $vgpr0
; %bb.8:
	s_andn2_saveexec_b64 s[6:7], s[6:7]
	s_cbranch_execz .LBB24_10
; %bb.9:
	global_load_dwordx4 v[2:5], v[36:37], off
	s_waitcnt vmcnt(0)
	ds_write2_b64 v0, v[2:3], v[4:5] offset1:1
.LBB24_10:
	s_or_b64 exec, exec, s[4:5]
	s_mul_i32 s4, s27, s3
	s_mul_hi_u32 s5, s26, s3
	s_add_i32 s5, s5, s4
	s_mul_i32 s4, s26, s3
	s_lshl_b64 s[4:5], s[4:5], 4
	s_add_u32 s6, s20, s4
	s_addc_u32 s7, s21, s5
	s_lshl_b64 s[4:5], s[22:23], 4
	s_add_u32 s6, s6, s4
	s_addc_u32 s7, s7, s5
	s_ashr_i32 s31, s30, 31
	v_lshl_add_u32 v42, v158, 6, v159
	s_lshl_b64 s[4:5], s[30:31], 4
	v_and_b32_e32 v8, 31, v159
	v_lshrrev_b32_e32 v12, 5, v42
	s_add_u32 s4, s6, s4
	v_mov_b32_e32 v9, 0
	s_addc_u32 s5, s7, s5
	v_mad_u64_u32 v[38:39], s[6:7], s24, v12, v[8:9]
	v_mov_b32_e32 v0, v39
	v_mad_u64_u32 v[0:1], s[6:7], s25, v12, v[0:1]
	v_mov_b32_e32 v39, v0
	v_lshl_add_u64 v[0:1], v[38:39], 4, s[4:5]
	s_mul_hi_u32 s4, s24, s30
	s_mul_i32 s5, s24, s31
	s_add_i32 s4, s4, s5
	s_mul_i32 s5, s25, s30
	s_add_i32 s21, s4, s5
	s_cmp_lg_u32 s28, 0
	s_mul_i32 s20, s24, s30
	s_cselect_b64 s[22:23], -1, 0
	s_cmp_eq_u32 s28, 0
	v_lshl_add_u64 v[4:5], s[20:21], 4, v[0:1]
	s_cselect_b64 s[18:19], -1, 0
	s_mov_b64 s[4:5], -1
	s_and_b64 vcc, exec, s[22:23]
	s_cbranch_vccnz .LBB24_12
; %bb.11:
	s_lshl_b64 s[4:5], s[24:25], 7
	v_lshl_add_u64 v[6:7], v[4:5], 0, s[4:5]
	global_load_dwordx4 v[0:3], v[4:5], off
	v_lshl_add_u64 v[10:11], v[6:7], 0, s[4:5]
	global_load_dwordx4 v[14:17], v[6:7], off
	global_load_dwordx4 v[18:21], v[10:11], off
	v_lshl_add_u64 v[6:7], v[10:11], 0, s[4:5]
	global_load_dwordx4 v[22:25], v[6:7], off
	v_mul_u32_u24_e32 v6, 0x210, v12
	v_lshl_add_u32 v6, v8, 4, v6
	s_mov_b64 s[4:5], 0
	v_add_u32_e32 v7, 0x1080, v6
	v_add_u32_e32 v9, 0x2100, v6
	;; [unrolled: 1-line block ×3, first 2 shown]
	s_waitcnt vmcnt(3)
	ds_write2_b64 v6, v[0:1], v[2:3] offset1:1
	s_waitcnt vmcnt(2)
	ds_write2_b64 v7, v[14:15], v[16:17] offset1:1
	;; [unrolled: 2-line block ×4, first 2 shown]
.LBB24_12:
	s_andn2_b64 vcc, exec, s[4:5]
	v_lshlrev_b32_e32 v9, 4, v8
	s_cbranch_vccnz .LBB24_30
; %bb.13:
	v_lshlrev_b32_e32 v0, 4, v8
	v_sub_co_u32_e32 v2, vcc, v4, v0
	s_ashr_i32 s29, s28, 31
	s_nop 0
	v_subbrev_co_u32_e32 v3, vcc, 0, v5, vcc
	v_lshl_add_u64 v[2:3], s[28:29], 4, v[2:3]
	v_lshl_add_u64 v[2:3], v[2:3], 0, -16
	v_cmp_gt_i32_e32 vcc, s28, v8
	s_movk_i32 s6, 0x210
	v_cmp_le_i32_e64 s[4:5], s28, v12
	v_cndmask_b32_e32 v3, v3, v5, vcc
	v_cndmask_b32_e32 v2, v2, v4, vcc
	v_mad_u32_u24 v1, v12, s6, v9
	s_and_saveexec_b64 s[6:7], s[4:5]
	s_xor_b64 s[4:5], exec, s[6:7]
; %bb.14:
	v_mov_b32_e32 v14, 0
	v_mov_b32_e32 v15, v14
	;; [unrolled: 1-line block ×4, first 2 shown]
	ds_write_b128 v1, v[14:17]
                                        ; implicit-def: $vgpr1
; %bb.15:
	s_andn2_saveexec_b64 s[4:5], s[4:5]
	s_cbranch_execz .LBB24_17
; %bb.16:
	global_load_dwordx4 v[14:17], v[2:3], off
	s_waitcnt vmcnt(0)
	ds_write2_b64 v1, v[14:15], v[16:17] offset1:1
.LBB24_17:
	s_or_b64 exec, exec, s[4:5]
	v_add_u32_e32 v6, 8, v12
	v_mul_u32_u24_e32 v1, 0x210, v12
	v_cmp_le_i32_e64 s[4:5], s28, v6
	s_and_saveexec_b64 s[6:7], s[4:5]
	s_xor_b64 s[4:5], exec, s[6:7]
	s_cbranch_execz .LBB24_19
; %bb.18:
	v_mov_b32_e32 v14, 0
	v_add_u32_e32 v6, v1, v9
	v_mov_b32_e32 v15, v14
	v_mov_b32_e32 v16, v14
	;; [unrolled: 1-line block ×3, first 2 shown]
	ds_write_b128 v6, v[14:17] offset:4224
.LBB24_19:
	s_andn2_saveexec_b64 s[4:5], s[4:5]
	s_cbranch_execz .LBB24_21
; %bb.20:
	s_lshl_b64 s[6:7], s[24:25], 7
	v_lshl_add_u64 v[6:7], v[2:3], 0, s[6:7]
	global_load_dwordx4 v[14:17], v[6:7], off
	s_movk_i32 s6, 0x1080
	v_add3_u32 v6, v1, v9, s6
	s_waitcnt vmcnt(0)
	ds_write2_b64 v6, v[14:15], v[16:17] offset1:1
.LBB24_21:
	s_or_b64 exec, exec, s[4:5]
	v_add_u32_e32 v6, 16, v12
	v_cmp_le_i32_e64 s[4:5], s28, v6
	s_and_saveexec_b64 s[6:7], s[4:5]
	s_xor_b64 s[4:5], exec, s[6:7]
	s_cbranch_execz .LBB24_23
; %bb.22:
	v_mov_b32_e32 v14, 0
	v_add_u32_e32 v6, v1, v9
	v_mov_b32_e32 v15, v14
	v_mov_b32_e32 v16, v14
	v_mov_b32_e32 v17, v14
	ds_write_b128 v6, v[14:17] offset:8448
.LBB24_23:
	s_andn2_saveexec_b64 s[4:5], s[4:5]
	s_cbranch_execz .LBB24_25
; %bb.24:
	s_lshl_b64 s[6:7], s[24:25], 8
	v_lshl_add_u64 v[6:7], v[2:3], 0, s[6:7]
	global_load_dwordx4 v[14:17], v[6:7], off
	s_movk_i32 s6, 0x2100
	v_add3_u32 v6, v1, v9, s6
	s_waitcnt vmcnt(0)
	ds_write2_b64 v6, v[14:15], v[16:17] offset1:1
.LBB24_25:
	s_or_b64 exec, exec, s[4:5]
	v_add_u32_e32 v6, 24, v12
	v_cmp_le_i32_e64 s[4:5], s28, v6
	s_and_saveexec_b64 s[6:7], s[4:5]
	s_xor_b64 s[4:5], exec, s[6:7]
	s_cbranch_execz .LBB24_27
; %bb.26:
	v_mov_b32_e32 v14, 0
	v_add_u32_e32 v1, v1, v9
	v_mov_b32_e32 v15, v14
	v_mov_b32_e32 v16, v14
	;; [unrolled: 1-line block ×3, first 2 shown]
	ds_write_b128 v1, v[14:17] offset:12672
                                        ; implicit-def: $vgpr1
.LBB24_27:
	s_andn2_saveexec_b64 s[4:5], s[4:5]
	s_cbranch_execz .LBB24_29
; %bb.28:
	v_mov_b32_e32 v6, 0x180
	v_mad_u64_u32 v[6:7], s[6:7], s24, v6, v[2:3]
	s_mul_i32 s6, s25, 0x180
	s_nop 0
	v_add_u32_e32 v7, s6, v7
	global_load_dwordx4 v[14:17], v[6:7], off
	s_movk_i32 s6, 0x3180
	v_add3_u32 v1, v1, v9, s6
	s_waitcnt vmcnt(0)
	ds_write2_b64 v1, v[14:15], v[16:17] offset1:1
.LBB24_29:
	s_or_b64 exec, exec, s[4:5]
	v_mov_b32_e32 v1, 0
	v_lshl_add_u64 v[0:1], v[2:3], 0, v[0:1]
	s_lshl_b64 s[4:5], s[28:29], 4
	v_mov_b32_e32 v2, s5
	v_subrev_co_u32_e64 v0, s[4:5], s4, v0
	s_nop 1
	v_subb_co_u32_e64 v1, s[4:5], v1, v2, s[4:5]
	v_lshl_add_u64 v[0:1], v[0:1], 0, 16
	v_cndmask_b32_e32 v5, v1, v5, vcc
	v_cndmask_b32_e32 v4, v0, v4, vcc
.LBB24_30:
	v_lshlrev_b32_e32 v13, 2, v12
	v_mul_u32_u24_e32 v15, 0x210, v8
	v_cmp_ge_u32_e64 s[6:7], v13, v8
	s_mov_b64 s[4:5], 0
	s_waitcnt lgkmcnt(0)
	s_barrier
                                        ; implicit-def: $vgpr7
	s_and_saveexec_b64 s[8:9], s[6:7]
	s_xor_b64 s[8:9], exec, s[8:9]
	s_cbranch_execz .LBB24_34
; %bb.31:
	v_cmp_eq_u32_e32 vcc, v13, v8
                                        ; implicit-def: $vgpr7
	s_and_saveexec_b64 s[10:11], vcc
	s_xor_b64 s[10:11], exec, s[10:11]
; %bb.32:
	s_mov_b64 s[4:5], exec
	v_add_u32_e32 v7, v9, v15
; %bb.33:
	s_or_b64 exec, exec, s[10:11]
	s_and_b64 s[4:5], s[4:5], exec
.LBB24_34:
	s_or_saveexec_b64 s[8:9], s[8:9]
	v_lshl_or_b32 v6, v8, 9, v9
	v_mov_b64_e32 v[2:3], 0
	s_xor_b64 exec, exec, s[8:9]
	s_cbranch_execz .LBB24_36
; %bb.35:
	s_movk_i32 s10, 0x840
	v_mad_u32_u24 v0, v12, s10, v9
	ds_read_b128 v[0:3], v0
	v_lshl_add_u32 v7, v13, 4, v6
	s_or_b64 s[4:5], s[4:5], exec
	s_waitcnt lgkmcnt(0)
	v_xor_b32_e32 v3, 0x80000000, v3
	ds_write_b64 v7, v[0:1]
.LBB24_36:
	s_or_b64 exec, exec, s[8:9]
	s_and_saveexec_b64 s[8:9], s[4:5]
; %bb.37:
	ds_write_b64 v7, v[2:3] offset:8
; %bb.38:
	s_or_b64 exec, exec, s[8:9]
	v_or_b32_e32 v16, 1, v13
	v_cmp_ge_u32_e64 s[8:9], v16, v8
	s_mov_b64 s[4:5], 0
                                        ; implicit-def: $vgpr7
	s_and_saveexec_b64 s[10:11], s[8:9]
	s_xor_b64 s[10:11], exec, s[10:11]
	s_cbranch_execnz .LBB24_100
; %bb.39:
	s_or_saveexec_b64 s[10:11], s[10:11]
	v_mov_b64_e32 v[2:3], 0
	s_xor_b64 exec, exec, s[10:11]
	s_cbranch_execnz .LBB24_103
.LBB24_40:
	s_or_b64 exec, exec, s[10:11]
	s_and_saveexec_b64 s[10:11], s[4:5]
.LBB24_41:
	ds_write_b64 v7, v[2:3] offset:8
.LBB24_42:
	s_or_b64 exec, exec, s[10:11]
	v_or_b32_e32 v17, 2, v13
	v_cmp_ge_u32_e64 s[10:11], v17, v8
	s_mov_b64 s[4:5], 0
                                        ; implicit-def: $vgpr7
	s_and_saveexec_b64 s[12:13], s[10:11]
	s_xor_b64 s[12:13], exec, s[12:13]
	s_cbranch_execnz .LBB24_104
; %bb.43:
	s_or_saveexec_b64 s[12:13], s[12:13]
	v_mov_b64_e32 v[2:3], 0
	s_xor_b64 exec, exec, s[12:13]
	s_cbranch_execnz .LBB24_107
.LBB24_44:
	s_or_b64 exec, exec, s[12:13]
	s_and_saveexec_b64 s[12:13], s[4:5]
.LBB24_45:
	ds_write_b64 v7, v[2:3] offset:8
.LBB24_46:
	s_or_b64 exec, exec, s[12:13]
	v_or_b32_e32 v18, 3, v13
	v_cmp_ge_u32_e64 s[12:13], v18, v8
	s_mov_b64 s[4:5], 0
                                        ; implicit-def: $vgpr7
	s_and_saveexec_b64 s[14:15], s[12:13]
	s_xor_b64 s[14:15], exec, s[14:15]
	s_cbranch_execnz .LBB24_108
; %bb.47:
	s_or_saveexec_b64 s[14:15], s[14:15]
	v_mov_b64_e32 v[2:3], 0
	s_xor_b64 exec, exec, s[14:15]
	s_cbranch_execnz .LBB24_111
.LBB24_48:
	s_or_b64 exec, exec, s[14:15]
	s_and_saveexec_b64 s[14:15], s[4:5]
.LBB24_49:
	ds_write_b64 v7, v[2:3] offset:8
.LBB24_50:
	s_or_b64 exec, exec, s[14:15]
	s_movk_i32 s4, 0x840
	v_lshlrev_b32_e32 v19, 4, v13
	s_waitcnt lgkmcnt(0)
	s_barrier
	v_mad_u32_u24 v6, v12, s4, v9
	ds_read_b128 v[0:3], v19 offset:18176
	ds_read_b128 v[20:23], v6
	ds_read_b128 v[24:27], v19 offset:18192
	ds_read_b128 v[28:31], v19 offset:18208
	s_movk_i32 s26, 0x210
	v_mad_u32_u24 v14, v16, s26, v9
	s_waitcnt lgkmcnt(2)
	v_mul_f64 v[6:7], v[2:3], v[22:23]
	v_mul_f64 v[10:11], v[0:1], v[22:23]
	v_fma_f64 v[6:7], v[0:1], v[20:21], -v[6:7]
	v_fmac_f64_e32 v[10:11], v[2:3], v[20:21]
	ds_read_b128 v[20:23], v19 offset:18224
	ds_read_b128 v[32:35], v14
	v_add_f64 v[2:3], v[6:7], 0
	v_add_f64 v[6:7], v[10:11], 0
	ds_read_b128 v[44:47], v14 offset:528
	v_mov_b64_e32 v[0:1], 0
	s_waitcnt lgkmcnt(1)
	v_mul_f64 v[10:11], v[26:27], v[34:35]
	v_fma_f64 v[10:11], v[24:25], v[32:33], -v[10:11]
	v_mul_f64 v[24:25], v[24:25], v[34:35]
	v_fmac_f64_e32 v[24:25], v[26:27], v[32:33]
	v_add_f64 v[6:7], v[6:7], v[24:25]
	ds_read_b128 v[24:27], v14 offset:1056
	v_add_f64 v[2:3], v[2:3], v[10:11]
	s_waitcnt lgkmcnt(1)
	v_mul_f64 v[10:11], v[30:31], v[46:47]
	v_fma_f64 v[10:11], v[28:29], v[44:45], -v[10:11]
	v_add_f64 v[2:3], v[2:3], v[10:11]
	s_waitcnt lgkmcnt(0)
	v_mul_f64 v[10:11], v[22:23], v[26:27]
	v_mul_f64 v[28:29], v[28:29], v[46:47]
	v_fma_f64 v[10:11], v[20:21], v[24:25], -v[10:11]
	v_fmac_f64_e32 v[28:29], v[30:31], v[44:45]
	v_mul_f64 v[26:27], v[20:21], v[26:27]
	v_add_f64 v[20:21], v[2:3], v[10:11]
	v_mul_u32_u24_e32 v2, 33, v8
	v_add_f64 v[6:7], v[6:7], v[28:29]
	v_fmac_f64_e32 v[26:27], v[22:23], v[24:25]
	v_lshlrev_b32_e32 v43, 4, v2
	v_add_f64 v[22:23], v[6:7], v[26:27]
	v_lshl_add_u32 v44, v12, 4, v43
	v_cmp_gt_u32_e64 s[4:5], 32, v42
	v_mov_b64_e32 v[2:3], 0
	s_barrier
	ds_write_b128 v44, v[20:23]
	s_waitcnt lgkmcnt(0)
	s_barrier
	s_and_saveexec_b64 s[14:15], s[4:5]
	s_cbranch_execz .LBB24_52
; %bb.51:
	ds_read_b128 v[0:3], v43
	ds_read_b128 v[20:23], v43 offset:16
	ds_read_b128 v[24:27], v43 offset:32
	;; [unrolled: 1-line block ×3, first 2 shown]
	s_waitcnt lgkmcnt(2)
	v_add_f64 v[0:1], v[20:21], v[0:1]
	v_add_f64 v[6:7], v[22:23], v[2:3]
	s_waitcnt lgkmcnt(1)
	v_add_f64 v[10:11], v[0:1], v[24:25]
	ds_read_b128 v[0:3], v43 offset:64
	ds_read_b128 v[20:23], v43 offset:80
	v_add_f64 v[6:7], v[6:7], v[26:27]
	s_waitcnt lgkmcnt(2)
	v_add_f64 v[10:11], v[10:11], v[28:29]
	v_add_f64 v[6:7], v[6:7], v[30:31]
	ds_read_b128 v[24:27], v43 offset:96
	s_waitcnt lgkmcnt(2)
	v_add_f64 v[10:11], v[10:11], v[0:1]
	v_add_f64 v[6:7], v[6:7], v[2:3]
	ds_read_b128 v[0:3], v43 offset:112
	s_waitcnt lgkmcnt(2)
	v_add_f64 v[10:11], v[10:11], v[20:21]
	v_add_f64 v[6:7], v[6:7], v[22:23]
	s_waitcnt lgkmcnt(1)
	v_add_f64 v[10:11], v[10:11], v[24:25]
	v_add_f64 v[6:7], v[6:7], v[26:27]
	;; [unrolled: 3-line block ×3, first 2 shown]
.LBB24_52:
	s_or_b64 exec, exec, s[14:15]
	s_lshl_b64 s[14:15], s[24:25], 9
	v_lshl_add_u64 v[6:7], v[4:5], 0, s[14:15]
	s_mov_b64 s[14:15], 0x200
	v_cndmask_b32_e64 v4, 0, 1, s[18:19]
	v_lshl_add_u64 v[10:11], v[6:7], 0, s[14:15]
	v_mad_u32_u24 v14, v12, s26, v9
	v_cmp_ne_u32_e64 s[14:15], 1, v4
	s_andn2_b64 vcc, exec, s[18:19]
	s_mov_b64 s[18:19], -1
	s_barrier
	s_cbranch_vccnz .LBB24_54
; %bb.53:
	s_lshl_b64 s[18:19], s[24:25], 7
	v_lshl_add_u64 v[4:5], v[6:7], 0, s[18:19]
	global_load_dwordx4 v[20:23], v[10:11], off
	v_lshl_add_u64 v[32:33], v[4:5], 0, s[18:19]
	global_load_dwordx4 v[24:27], v[4:5], off offset:512
	global_load_dwordx4 v[28:31], v[32:33], off offset:512
	v_lshl_add_u64 v[4:5], v[32:33], 0, s[18:19]
	global_load_dwordx4 v[32:35], v[4:5], off offset:512
	s_mov_b64 s[18:19], 0
	v_add_u32_e32 v4, 0x1080, v14
	v_add_u32_e32 v5, 0x2100, v14
	;; [unrolled: 1-line block ×3, first 2 shown]
	s_waitcnt vmcnt(3)
	ds_write2_b64 v14, v[20:21], v[22:23] offset1:1
	s_waitcnt vmcnt(2)
	ds_write2_b64 v4, v[24:25], v[26:27] offset1:1
	;; [unrolled: 2-line block ×4, first 2 shown]
.LBB24_54:
	s_andn2_b64 vcc, exec, s[18:19]
	s_cbranch_vccnz .LBB24_72
; %bb.55:
	v_lshlrev_b32_e32 v4, 4, v8
	v_sub_co_u32_e32 v6, vcc, v6, v4
	s_ashr_i32 s29, s28, 31
	s_nop 0
	v_subbrev_co_u32_e32 v7, vcc, 0, v7, vcc
	v_or_b32_e32 v5, 32, v8
	v_lshl_add_u64 v[6:7], s[28:29], 4, v[6:7]
	v_lshl_add_u64 v[6:7], v[6:7], 0, -16
	v_cmp_gt_i32_e32 vcc, s28, v5
	s_sub_i32 s26, s28, 32
	v_cmp_le_i32_e64 s[18:19], s26, v12
	v_cndmask_b32_e32 v7, v7, v11, vcc
	v_cndmask_b32_e32 v6, v6, v10, vcc
	s_and_saveexec_b64 s[38:39], s[18:19]
	s_xor_b64 s[18:19], exec, s[38:39]
; %bb.56:
	v_mov_b32_e32 v20, 0
	v_mov_b32_e32 v21, v20
	;; [unrolled: 1-line block ×4, first 2 shown]
	ds_write_b128 v14, v[20:23]
; %bb.57:
	s_andn2_saveexec_b64 s[18:19], s[18:19]
	s_cbranch_execz .LBB24_59
; %bb.58:
	global_load_dwordx4 v[20:23], v[6:7], off
	s_waitcnt vmcnt(0)
	ds_write2_b64 v14, v[20:21], v[22:23] offset1:1
.LBB24_59:
	s_or_b64 exec, exec, s[18:19]
	v_add_u32_e32 v20, 8, v12
	v_mul_u32_u24_e32 v5, 0x210, v12
	v_cmp_le_i32_e64 s[18:19], s26, v20
	s_and_saveexec_b64 s[38:39], s[18:19]
	s_xor_b64 s[18:19], exec, s[38:39]
	s_cbranch_execz .LBB24_61
; %bb.60:
	v_mov_b32_e32 v22, 0
	v_add_u32_e32 v20, v5, v9
	v_mov_b32_e32 v23, v22
	v_mov_b32_e32 v24, v22
	;; [unrolled: 1-line block ×3, first 2 shown]
	ds_write_b128 v20, v[22:25] offset:4224
.LBB24_61:
	s_andn2_saveexec_b64 s[18:19], s[18:19]
	s_cbranch_execz .LBB24_63
; %bb.62:
	s_lshl_b64 s[38:39], s[24:25], 7
	v_lshl_add_u64 v[20:21], v[6:7], 0, s[38:39]
	global_load_dwordx4 v[20:23], v[20:21], off
	s_movk_i32 s27, 0x1080
	v_add3_u32 v24, v5, v9, s27
	s_waitcnt vmcnt(0)
	ds_write2_b64 v24, v[20:21], v[22:23] offset1:1
.LBB24_63:
	s_or_b64 exec, exec, s[18:19]
	v_add_u32_e32 v20, 16, v12
	v_cmp_le_i32_e64 s[18:19], s26, v20
	s_and_saveexec_b64 s[38:39], s[18:19]
	s_xor_b64 s[18:19], exec, s[38:39]
	s_cbranch_execz .LBB24_65
; %bb.64:
	v_mov_b32_e32 v22, 0
	v_add_u32_e32 v20, v5, v9
	v_mov_b32_e32 v23, v22
	v_mov_b32_e32 v24, v22
	;; [unrolled: 1-line block ×3, first 2 shown]
	ds_write_b128 v20, v[22:25] offset:8448
.LBB24_65:
	s_andn2_saveexec_b64 s[18:19], s[18:19]
	s_cbranch_execz .LBB24_67
; %bb.66:
	s_lshl_b64 s[38:39], s[24:25], 8
	v_lshl_add_u64 v[20:21], v[6:7], 0, s[38:39]
	global_load_dwordx4 v[20:23], v[20:21], off
	s_movk_i32 s27, 0x2100
	v_add3_u32 v24, v5, v9, s27
	s_waitcnt vmcnt(0)
	ds_write2_b64 v24, v[20:21], v[22:23] offset1:1
.LBB24_67:
	s_or_b64 exec, exec, s[18:19]
	v_add_u32_e32 v20, 24, v12
	v_cmp_le_i32_e64 s[18:19], s26, v20
	s_and_saveexec_b64 s[26:27], s[18:19]
	s_xor_b64 s[18:19], exec, s[26:27]
	s_cbranch_execz .LBB24_69
; %bb.68:
	v_mov_b32_e32 v20, 0
	v_add_u32_e32 v5, v5, v9
	v_mov_b32_e32 v21, v20
	v_mov_b32_e32 v22, v20
	;; [unrolled: 1-line block ×3, first 2 shown]
	ds_write_b128 v5, v[20:23] offset:12672
                                        ; implicit-def: $vgpr5
.LBB24_69:
	s_andn2_saveexec_b64 s[18:19], s[18:19]
	s_cbranch_execz .LBB24_71
; %bb.70:
	v_mov_b32_e32 v20, 0x180
	v_mad_u64_u32 v[20:21], s[26:27], s24, v20, v[6:7]
	s_mul_i32 s26, s25, 0x180
	s_nop 0
	v_add_u32_e32 v21, s26, v21
	global_load_dwordx4 v[20:23], v[20:21], off
	s_movk_i32 s26, 0x3180
	v_add3_u32 v5, v5, v9, s26
	s_waitcnt vmcnt(0)
	ds_write2_b64 v5, v[20:21], v[22:23] offset1:1
.LBB24_71:
	s_or_b64 exec, exec, s[18:19]
	v_mov_b32_e32 v5, 0
	v_lshl_add_u64 v[4:5], v[6:7], 0, v[4:5]
	s_lshl_b64 s[18:19], s[28:29], 4
	v_mov_b32_e32 v6, s19
	v_subrev_co_u32_e64 v4, s[18:19], s18, v4
	s_nop 1
	v_subb_co_u32_e64 v5, s[18:19], v5, v6, s[18:19]
	s_mov_b64 s[18:19], 0x210
	s_nop 0
	v_lshl_add_u64 v[4:5], v[4:5], 0, s[18:19]
	v_cndmask_b32_e32 v11, v5, v11, vcc
	v_cndmask_b32_e32 v10, v4, v10, vcc
.LBB24_72:
	v_mul_u32_u24_e32 v4, 0x840, v12
	v_add_u32_e32 v45, 0x4700, v19
	v_mul_u32_u24_e32 v20, 0x210, v16
	s_lshl_b64 s[18:19], s[24:25], 5
	s_mov_b64 s[26:27], 0
	s_waitcnt lgkmcnt(0)
	s_barrier
                                        ; implicit-def: $vgpr21
	s_and_saveexec_b64 s[38:39], s[6:7]
	s_xor_b64 s[6:7], exec, s[38:39]
	s_cbranch_execz .LBB24_76
; %bb.73:
	v_cmp_eq_u32_e32 vcc, v13, v8
                                        ; implicit-def: $vgpr21
	s_and_saveexec_b64 s[38:39], vcc
	s_xor_b64 s[38:39], exec, s[38:39]
; %bb.74:
	s_mov_b64 s[26:27], exec
	v_add_u32_e32 v21, v9, v15
; %bb.75:
	s_or_b64 exec, exec, s[38:39]
	s_and_b64 s[26:27], s[26:27], exec
.LBB24_76:
	s_or_saveexec_b64 s[6:7], s[6:7]
	v_mov_b64_e32 v[6:7], 0
	v_add_u32_e32 v19, v9, v4
	s_xor_b64 exec, exec, s[6:7]
	s_cbranch_execz .LBB24_78
; %bb.77:
	ds_read_b128 v[4:7], v19
	v_lshl_add_u32 v21, v13, 4, v43
	s_or_b64 s[26:27], s[26:27], exec
	s_waitcnt lgkmcnt(0)
	v_xor_b32_e32 v7, 0x80000000, v7
	ds_write_b64 v21, v[4:5]
.LBB24_78:
	s_or_b64 exec, exec, s[6:7]
	s_and_saveexec_b64 s[6:7], s[26:27]
; %bb.79:
	ds_write_b64 v21, v[6:7] offset:8
; %bb.80:
	s_or_b64 exec, exec, s[6:7]
	s_mov_b64 s[6:7], 0
                                        ; implicit-def: $vgpr21
	s_and_saveexec_b64 s[26:27], s[8:9]
	s_xor_b64 s[8:9], exec, s[26:27]
	s_cbranch_execz .LBB24_84
; %bb.81:
	v_cmp_eq_u32_e32 vcc, v16, v8
                                        ; implicit-def: $vgpr21
	s_and_saveexec_b64 s[26:27], vcc
; %bb.82:
	s_mov_b64 s[6:7], exec
	v_add_u32_e32 v21, v9, v15
; %bb.83:
	s_or_b64 exec, exec, s[26:27]
	s_and_b64 s[6:7], s[6:7], exec
.LBB24_84:
	s_or_saveexec_b64 s[8:9], s[8:9]
	v_mov_b64_e32 v[6:7], 0
	v_add_u32_e32 v16, v9, v20
	s_xor_b64 exec, exec, s[8:9]
	s_cbranch_execz .LBB24_86
; %bb.85:
	ds_read_b128 v[4:7], v16
	v_lshl_add_u32 v20, v13, 4, v43
	v_add_u32_e32 v21, 16, v20
	s_or_b64 s[6:7], s[6:7], exec
	s_waitcnt lgkmcnt(0)
	v_xor_b32_e32 v7, 0x80000000, v7
	ds_write_b64 v20, v[4:5] offset:16
.LBB24_86:
	s_or_b64 exec, exec, s[8:9]
	s_and_saveexec_b64 s[8:9], s[6:7]
; %bb.87:
	ds_write_b64 v21, v[6:7] offset:8
; %bb.88:
	s_or_b64 exec, exec, s[8:9]
	s_mov_b64 s[6:7], 0
                                        ; implicit-def: $vgpr20
	s_and_saveexec_b64 s[8:9], s[10:11]
	s_xor_b64 s[8:9], exec, s[8:9]
	s_cbranch_execnz .LBB24_112
; %bb.89:
	s_or_saveexec_b64 s[8:9], s[8:9]
	v_mov_b64_e32 v[6:7], 0
	s_xor_b64 exec, exec, s[8:9]
	s_cbranch_execnz .LBB24_115
.LBB24_90:
	s_or_b64 exec, exec, s[8:9]
	s_and_saveexec_b64 s[8:9], s[6:7]
.LBB24_91:
	ds_write_b64 v20, v[6:7] offset:8
.LBB24_92:
	s_or_b64 exec, exec, s[8:9]
	s_mov_b64 s[6:7], 0
                                        ; implicit-def: $vgpr17
	s_and_saveexec_b64 s[8:9], s[12:13]
	s_xor_b64 s[8:9], exec, s[8:9]
	s_cbranch_execnz .LBB24_116
; %bb.93:
	s_or_saveexec_b64 s[8:9], s[8:9]
	v_mov_b64_e32 v[6:7], 0
	s_xor_b64 exec, exec, s[8:9]
	s_cbranch_execnz .LBB24_119
.LBB24_94:
	s_or_b64 exec, exec, s[8:9]
	s_and_saveexec_b64 s[8:9], s[6:7]
.LBB24_95:
	ds_write_b64 v17, v[6:7] offset:8
.LBB24_96:
	s_or_b64 exec, exec, s[8:9]
	s_waitcnt lgkmcnt(0)
	s_barrier
	ds_read_b128 v[4:7], v19
	ds_read_b128 v[18:21], v45 offset:512
	ds_read_b128 v[22:25], v45 offset:528
	;; [unrolled: 1-line block ×5, first 2 shown]
	ds_read_b128 v[50:53], v16
	s_waitcnt lgkmcnt(5)
	v_mul_f64 v[34:35], v[20:21], v[6:7]
	v_mul_f64 v[6:7], v[18:19], v[6:7]
	v_fmac_f64_e32 v[6:7], v[20:21], v[4:5]
	v_fma_f64 v[34:35], v[18:19], v[4:5], -v[34:35]
	v_add_f64 v[20:21], v[6:7], 0
	ds_read_b128 v[4:7], v16 offset:528
	s_waitcnt lgkmcnt(1)
	v_mul_f64 v[16:17], v[24:25], v[52:53]
	v_fma_f64 v[16:17], v[22:23], v[50:51], -v[16:17]
	v_mul_f64 v[22:23], v[22:23], v[52:53]
	v_add_f64 v[18:19], v[34:35], 0
	v_fmac_f64_e32 v[22:23], v[24:25], v[50:51]
	v_add_f64 v[16:17], v[18:19], v[16:17]
	v_add_f64 v[18:19], v[20:21], v[22:23]
	s_waitcnt lgkmcnt(0)
	v_mul_f64 v[20:21], v[28:29], v[6:7]
	v_mul_f64 v[6:7], v[26:27], v[6:7]
	v_fma_f64 v[20:21], v[26:27], v[4:5], -v[20:21]
	v_fmac_f64_e32 v[6:7], v[28:29], v[4:5]
	v_add_f64 v[4:5], v[16:17], v[20:21]
	v_add_f64 v[6:7], v[18:19], v[6:7]
	v_mul_f64 v[16:17], v[32:33], v[48:49]
	v_mul_f64 v[18:19], v[30:31], v[48:49]
	v_fma_f64 v[16:17], v[30:31], v[46:47], -v[16:17]
	v_fmac_f64_e32 v[18:19], v[32:33], v[46:47]
	v_add_f64 v[4:5], v[4:5], v[16:17]
	v_add_f64 v[6:7], v[6:7], v[18:19]
	v_cmp_eq_u32_e64 s[6:7], 1, v12
	s_barrier
	ds_write_b128 v44, v[4:7]
	s_waitcnt lgkmcnt(0)
	s_barrier
	s_and_saveexec_b64 s[8:9], s[6:7]
	s_cbranch_execz .LBB24_98
; %bb.97:
	ds_read_b128 v[0:3], v43
	ds_read_b128 v[4:7], v43 offset:16
	ds_read_b128 v[16:19], v43 offset:32
	;; [unrolled: 1-line block ×3, first 2 shown]
	s_waitcnt lgkmcnt(2)
	v_add_f64 v[0:1], v[4:5], v[0:1]
	v_add_f64 v[4:5], v[6:7], v[2:3]
	s_waitcnt lgkmcnt(1)
	v_add_f64 v[6:7], v[0:1], v[16:17]
	ds_read_b128 v[0:3], v43 offset:64
	v_add_f64 v[4:5], v[4:5], v[18:19]
	s_waitcnt lgkmcnt(1)
	v_add_f64 v[16:17], v[6:7], v[20:21]
	v_add_f64 v[20:21], v[4:5], v[22:23]
	ds_read_b128 v[4:7], v43 offset:80
	s_waitcnt lgkmcnt(1)
	v_add_f64 v[22:23], v[16:17], v[0:1]
	ds_read_b128 v[16:19], v43 offset:96
	v_add_f64 v[20:21], v[20:21], v[2:3]
	ds_read_b128 v[0:3], v43 offset:112
	s_waitcnt lgkmcnt(2)
	v_add_f64 v[4:5], v[22:23], v[4:5]
	v_add_f64 v[6:7], v[20:21], v[6:7]
	s_waitcnt lgkmcnt(1)
	v_add_f64 v[4:5], v[4:5], v[16:17]
	v_add_f64 v[6:7], v[6:7], v[18:19]
	;; [unrolled: 3-line block ×3, first 2 shown]
.LBB24_98:
	s_or_b64 exec, exec, s[8:9]
	s_lshl_b64 s[8:9], s[18:19], 4
	v_mov_b32_e32 v4, s9
	v_subrev_co_u32_e64 v40, s[8:9], s8, v10
	s_and_b64 vcc, exec, s[14:15]
	s_nop 0
	v_subb_co_u32_e64 v41, s[8:9], v11, v4, s[8:9]
	s_barrier
	s_cbranch_vccnz .LBB24_120
; %bb.99:
	s_lshl_b64 s[8:9], s[24:25], 7
	v_lshl_add_u64 v[4:5], v[40:41], 0, s[8:9]
	global_load_dwordx4 v[18:21], v[40:41], off
	v_lshl_add_u64 v[6:7], v[4:5], 0, s[8:9]
	global_load_dwordx4 v[22:25], v[4:5], off
	global_load_dwordx4 v[26:29], v[6:7], off
	v_lshl_add_u64 v[4:5], v[6:7], 0, s[8:9]
	global_load_dwordx4 v[30:33], v[4:5], off
	v_add_u32_e32 v10, 8, v12
	s_movk_i32 s8, 0x210
	v_mov_b32_e32 v4, 0x1080
	v_mov_b32_e32 v6, 0x2100
	v_add_u32_e32 v11, 16, v12
	v_add_u32_e32 v15, 24, v12
	v_mul_u32_u24_e32 v5, 0x210, v10
	v_mad_u32_u24 v7, v10, s8, v9
	v_mad_u32_u24 v4, v10, s8, v4
	;; [unrolled: 1-line block ×3, first 2 shown]
	v_add_u32_e32 v6, v9, v4
	v_add_u32_e32 v17, v9, v16
	s_waitcnt vmcnt(3)
	ds_write2_b64 v14, v[18:19], v[20:21] offset1:1
	s_waitcnt vmcnt(2)
	ds_write2_b64 v7, v[22:23], v[24:25] offset1:1
	;; [unrolled: 2-line block ×4, first 2 shown]
	s_cbranch_execz .LBB24_121
	s_branch .LBB24_138
.LBB24_100:
	v_cmp_eq_u32_e32 vcc, v16, v8
                                        ; implicit-def: $vgpr7
	s_and_saveexec_b64 s[12:13], vcc
; %bb.101:
	s_mov_b64 s[4:5], exec
	v_add_u32_e32 v7, v9, v15
; %bb.102:
	s_or_b64 exec, exec, s[12:13]
	s_and_b64 s[4:5], s[4:5], exec
	s_or_saveexec_b64 s[10:11], s[10:11]
	v_mov_b64_e32 v[2:3], 0
	s_xor_b64 exec, exec, s[10:11]
	s_cbranch_execz .LBB24_40
.LBB24_103:
	s_movk_i32 s12, 0x210
	v_mad_u32_u24 v0, v16, s12, v9
	ds_read_b128 v[0:3], v0
	v_lshl_add_u32 v10, v13, 4, v6
	v_add_u32_e32 v7, 16, v10
	s_or_b64 s[4:5], s[4:5], exec
	s_waitcnt lgkmcnt(0)
	v_xor_b32_e32 v3, 0x80000000, v3
	ds_write_b64 v10, v[0:1] offset:16
	s_or_b64 exec, exec, s[10:11]
	s_and_saveexec_b64 s[10:11], s[4:5]
	s_cbranch_execnz .LBB24_41
	s_branch .LBB24_42
.LBB24_104:
	v_cmp_eq_u32_e32 vcc, v17, v8
                                        ; implicit-def: $vgpr7
	s_and_saveexec_b64 s[14:15], vcc
; %bb.105:
	s_mov_b64 s[4:5], exec
	v_add_u32_e32 v7, v9, v15
; %bb.106:
	s_or_b64 exec, exec, s[14:15]
	s_and_b64 s[4:5], s[4:5], exec
	s_or_saveexec_b64 s[12:13], s[12:13]
	v_mov_b64_e32 v[2:3], 0
	s_xor_b64 exec, exec, s[12:13]
	s_cbranch_execz .LBB24_44
.LBB24_107:
	s_movk_i32 s14, 0x210
	v_mad_u32_u24 v0, v17, s14, v9
	ds_read_b128 v[0:3], v0
	v_lshl_add_u32 v10, v13, 4, v6
	v_add_u32_e32 v7, 32, v10
	s_or_b64 s[4:5], s[4:5], exec
	s_waitcnt lgkmcnt(0)
	v_xor_b32_e32 v3, 0x80000000, v3
	ds_write_b64 v10, v[0:1] offset:32
	s_or_b64 exec, exec, s[12:13]
	s_and_saveexec_b64 s[12:13], s[4:5]
	s_cbranch_execnz .LBB24_45
	s_branch .LBB24_46
.LBB24_108:
	v_cmp_eq_u32_e32 vcc, v18, v8
                                        ; implicit-def: $vgpr7
	s_and_saveexec_b64 s[26:27], vcc
; %bb.109:
	s_mov_b64 s[4:5], exec
	v_add_u32_e32 v7, v9, v15
; %bb.110:
	s_or_b64 exec, exec, s[26:27]
	s_and_b64 s[4:5], s[4:5], exec
                                        ; implicit-def: $vgpr6
	s_or_saveexec_b64 s[14:15], s[14:15]
	v_mov_b64_e32 v[2:3], 0
	s_xor_b64 exec, exec, s[14:15]
	s_cbranch_execz .LBB24_48
.LBB24_111:
	s_movk_i32 s26, 0x210
	v_mad_u32_u24 v0, v18, s26, v9
	ds_read_b128 v[0:3], v0
	v_lshl_add_u32 v6, v13, 4, v6
	v_add_u32_e32 v7, 48, v6
	s_or_b64 s[4:5], s[4:5], exec
	s_waitcnt lgkmcnt(0)
	v_xor_b32_e32 v3, 0x80000000, v3
	ds_write_b64 v6, v[0:1] offset:48
	s_or_b64 exec, exec, s[14:15]
	s_and_saveexec_b64 s[14:15], s[4:5]
	s_cbranch_execnz .LBB24_49
	s_branch .LBB24_50
.LBB24_112:
	v_cmp_eq_u32_e32 vcc, v17, v8
                                        ; implicit-def: $vgpr20
	s_and_saveexec_b64 s[10:11], vcc
; %bb.113:
	s_mov_b64 s[6:7], exec
	v_add_u32_e32 v20, v9, v15
; %bb.114:
	s_or_b64 exec, exec, s[10:11]
	s_and_b64 s[6:7], s[6:7], exec
	s_or_saveexec_b64 s[8:9], s[8:9]
	v_mov_b64_e32 v[6:7], 0
	s_xor_b64 exec, exec, s[8:9]
	s_cbranch_execz .LBB24_90
.LBB24_115:
	ds_read_b128 v[4:7], v16 offset:528
	v_lshl_add_u32 v17, v13, 4, v43
	v_add_u32_e32 v20, 32, v17
	s_or_b64 s[6:7], s[6:7], exec
	s_waitcnt lgkmcnt(0)
	v_xor_b32_e32 v7, 0x80000000, v7
	ds_write_b64 v17, v[4:5] offset:32
	s_or_b64 exec, exec, s[8:9]
	s_and_saveexec_b64 s[8:9], s[6:7]
	s_cbranch_execnz .LBB24_91
	s_branch .LBB24_92
.LBB24_116:
	v_cmp_eq_u32_e32 vcc, v18, v8
                                        ; implicit-def: $vgpr17
	s_and_saveexec_b64 s[10:11], vcc
; %bb.117:
	s_mov_b64 s[6:7], exec
	v_add_u32_e32 v17, v9, v15
; %bb.118:
	s_or_b64 exec, exec, s[10:11]
	s_and_b64 s[6:7], s[6:7], exec
	s_or_saveexec_b64 s[8:9], s[8:9]
	v_mov_b64_e32 v[6:7], 0
	s_xor_b64 exec, exec, s[8:9]
	s_cbranch_execz .LBB24_94
.LBB24_119:
	ds_read_b128 v[4:7], v16 offset:1056
	v_lshl_add_u32 v15, v13, 4, v43
	v_add_u32_e32 v17, 48, v15
	s_or_b64 s[6:7], s[6:7], exec
	s_waitcnt lgkmcnt(0)
	v_xor_b32_e32 v7, 0x80000000, v7
	ds_write_b64 v15, v[4:5] offset:48
	s_or_b64 exec, exec, s[8:9]
	s_and_saveexec_b64 s[8:9], s[6:7]
	s_cbranch_execnz .LBB24_95
	s_branch .LBB24_96
.LBB24_120:
                                        ; implicit-def: $vgpr10
                                        ; implicit-def: $vgpr5
                                        ; implicit-def: $vgpr11
                                        ; implicit-def: $vgpr4
                                        ; implicit-def: $vgpr15
                                        ; implicit-def: $vgpr16
.LBB24_121:
	v_lshlrev_b32_e32 v4, 4, v8
	v_sub_co_u32_e32 v6, vcc, v40, v4
	s_ashr_i32 s29, s28, 31
	s_nop 0
	v_subbrev_co_u32_e32 v7, vcc, 0, v41, vcc
	s_movk_i32 s8, 0xfdf0
	v_or_b32_e32 v5, 32, v8
	v_lshl_add_u64 v[6:7], s[28:29], 4, v[6:7]
	s_mov_b32 s9, -1
	v_lshl_add_u64 v[6:7], v[6:7], 0, s[8:9]
	v_cmp_gt_i32_e32 vcc, s28, v5
	v_cmp_le_i32_e64 s[8:9], s28, v12
	s_nop 0
	v_cndmask_b32_e32 v7, v7, v41, vcc
	v_cndmask_b32_e32 v6, v6, v40, vcc
	s_and_saveexec_b64 s[10:11], s[8:9]
	s_xor_b64 s[8:9], exec, s[10:11]
; %bb.122:
	v_mov_b32_e32 v16, 0
	v_mov_b32_e32 v17, v16
	;; [unrolled: 1-line block ×4, first 2 shown]
	ds_write_b128 v14, v[16:19]
; %bb.123:
	s_andn2_saveexec_b64 s[8:9], s[8:9]
	s_cbranch_execz .LBB24_125
; %bb.124:
	global_load_dwordx4 v[16:19], v[6:7], off
	s_waitcnt vmcnt(0)
	ds_write2_b64 v14, v[16:17], v[18:19] offset1:1
.LBB24_125:
	s_or_b64 exec, exec, s[8:9]
	v_add_u32_e32 v10, 8, v12
	v_cmp_le_i32_e64 s[8:9], s28, v10
	s_and_saveexec_b64 s[10:11], s[8:9]
	s_xor_b64 s[8:9], exec, s[10:11]
	s_cbranch_execz .LBB24_127
; %bb.126:
	s_movk_i32 s10, 0x210
	v_mov_b32_e32 v16, 0
	v_mad_u32_u24 v5, v10, s10, v9
	v_mov_b32_e32 v17, v16
	v_mov_b32_e32 v18, v16
	;; [unrolled: 1-line block ×3, first 2 shown]
	ds_write_b128 v5, v[16:19]
.LBB24_127:
	s_andn2_saveexec_b64 s[8:9], s[8:9]
	s_cbranch_execz .LBB24_129
; %bb.128:
	s_lshl_b64 s[10:11], s[24:25], 7
	v_lshl_add_u64 v[16:17], v[6:7], 0, s[10:11]
	global_load_dwordx4 v[16:19], v[16:17], off
	s_movk_i32 s10, 0x210
	v_mad_u32_u24 v5, v10, s10, v9
	s_waitcnt vmcnt(0)
	ds_write2_b64 v5, v[16:17], v[18:19] offset1:1
.LBB24_129:
	s_or_b64 exec, exec, s[8:9]
	v_add_u32_e32 v11, 16, v12
	v_cmp_le_i32_e64 s[8:9], s28, v11
	s_and_saveexec_b64 s[10:11], s[8:9]
	s_xor_b64 s[8:9], exec, s[10:11]
	s_cbranch_execz .LBB24_131
; %bb.130:
	s_movk_i32 s10, 0x210
	v_mov_b32_e32 v16, 0
	v_mad_u32_u24 v5, v11, s10, v9
	v_mov_b32_e32 v17, v16
	v_mov_b32_e32 v18, v16
	;; [unrolled: 1-line block ×3, first 2 shown]
	ds_write_b128 v5, v[16:19]
.LBB24_131:
	s_andn2_saveexec_b64 s[8:9], s[8:9]
	s_cbranch_execz .LBB24_133
; %bb.132:
	s_lshl_b64 s[10:11], s[24:25], 8
	v_lshl_add_u64 v[16:17], v[6:7], 0, s[10:11]
	global_load_dwordx4 v[16:19], v[16:17], off
	s_movk_i32 s10, 0x210
	v_mad_u32_u24 v5, v11, s10, v9
	s_waitcnt vmcnt(0)
	ds_write2_b64 v5, v[16:17], v[18:19] offset1:1
.LBB24_133:
	s_or_b64 exec, exec, s[8:9]
	v_add_u32_e32 v15, 24, v12
	v_cmp_le_i32_e64 s[8:9], s28, v15
                                        ; implicit-def: $vgpr16
	s_and_saveexec_b64 s[10:11], s[8:9]
	s_xor_b64 s[8:9], exec, s[10:11]
	s_cbranch_execz .LBB24_135
; %bb.134:
	s_movk_i32 s10, 0x210
	v_mov_b32_e32 v18, 0
	v_mul_u32_u24_e32 v16, 0x210, v15
	v_mad_u32_u24 v5, v15, s10, v9
	v_mov_b32_e32 v19, v18
	v_mov_b32_e32 v20, v18
	v_mov_b32_e32 v21, v18
	ds_write_b128 v5, v[18:21]
.LBB24_135:
	s_andn2_saveexec_b64 s[8:9], s[8:9]
	s_cbranch_execz .LBB24_137
; %bb.136:
	v_mov_b32_e32 v5, 0x180
	v_mad_u64_u32 v[16:17], s[10:11], s24, v5, v[6:7]
	s_mul_i32 s10, s25, 0x180
	s_nop 0
	v_add_u32_e32 v17, s10, v17
	global_load_dwordx4 v[18:21], v[16:17], off
	s_movk_i32 s10, 0x210
	v_mul_u32_u24_e32 v16, 0x210, v15
	v_mad_u32_u24 v5, v15, s10, v9
	s_waitcnt vmcnt(0)
	ds_write2_b64 v5, v[18:19], v[20:21] offset1:1
.LBB24_137:
	s_or_b64 exec, exec, s[8:9]
	v_mov_b32_e32 v5, 0
	v_lshl_add_u64 v[4:5], v[6:7], 0, v[4:5]
	s_lshl_b64 s[8:9], s[28:29], 4
	v_mov_b32_e32 v6, s9
	v_subrev_co_u32_e64 v4, s[8:9], s8, v4
	s_nop 1
	v_subb_co_u32_e64 v5, s[8:9], v5, v6, s[8:9]
	s_mov_b64 s[8:9], 0x210
	s_nop 0
	v_lshl_add_u64 v[4:5], v[4:5], 0, s[8:9]
	v_cndmask_b32_e32 v40, v4, v40, vcc
	s_movk_i32 s8, 0x210
	v_mov_b32_e32 v4, 0x1080
	v_cndmask_b32_e32 v41, v5, v41, vcc
	v_mul_u32_u24_e32 v5, 0x210, v10
	v_mad_u32_u24 v4, v10, s8, v4
.LBB24_138:
	v_lshlrev_b32_e32 v6, 4, v12
	s_waitcnt lgkmcnt(0)
	s_barrier
	ds_read_b128 v[20:23], v6 offset:18176
	ds_read_b128 v[24:27], v14
	v_lshlrev_b32_e32 v6, 4, v10
	v_add_u32_e32 v5, v9, v5
	ds_read_b128 v[46:49], v6 offset:18176
	ds_read_b128 v[50:53], v5
	v_lshlrev_b32_e32 v5, 4, v11
	v_add_u32_e32 v4, v9, v4
	ds_read_b128 v[54:57], v5 offset:18176
	ds_read_b128 v[58:61], v4
	v_lshlrev_b32_e32 v5, 4, v15
	s_waitcnt lgkmcnt(4)
	v_mul_f64 v[6:7], v[22:23], v[26:27]
	v_add_u32_e32 v4, v9, v16
	ds_read_b128 v[62:65], v5 offset:18176
	ds_read2_b64 v[66:69], v4 offset1:1
	v_fma_f64 v[6:7], v[20:21], v[24:25], -v[6:7]
	s_waitcnt lgkmcnt(4)
	v_mul_f64 v[18:19], v[48:49], v[52:53]
	v_add_f64 v[6:7], v[6:7], 0
	v_fma_f64 v[18:19], v[46:47], v[50:51], -v[18:19]
	v_add_f64 v[4:5], v[6:7], v[18:19]
	s_waitcnt lgkmcnt(2)
	v_mul_f64 v[6:7], v[56:57], v[60:61]
	v_fma_f64 v[6:7], v[54:55], v[58:59], -v[6:7]
	v_add_f64 v[4:5], v[4:5], v[6:7]
	s_waitcnt lgkmcnt(0)
	v_mul_f64 v[6:7], v[64:65], v[68:69]
	v_fma_f64 v[6:7], v[62:63], v[66:67], -v[6:7]
	v_add_f64 v[70:71], v[4:5], v[6:7]
	v_lshl_add_u32 v4, v13, 4, v43
	v_mul_f64 v[72:73], v[20:21], v[26:27]
	ds_read_b128 v[28:31], v4
	ds_read_b128 v[16:19], v4 offset:16
	ds_read_b128 v[8:11], v4 offset:32
	;; [unrolled: 1-line block ×3, first 2 shown]
	v_fmac_f64_e32 v[72:73], v[22:23], v[24:25]
	v_mul_f64 v[46:47], v[46:47], v[52:53]
	v_fmac_f64_e32 v[46:47], v[48:49], v[50:51]
	v_add_f64 v[48:49], v[72:73], 0
	ds_read_b128 v[32:35], v45 offset:512
	ds_read_b128 v[24:27], v45 offset:528
	ds_read_b128 v[20:23], v45 offset:544
	ds_read_b128 v[12:15], v45 offset:560
	v_add_f64 v[46:47], v[48:49], v[46:47]
	v_mul_f64 v[48:49], v[54:55], v[60:61]
	v_fmac_f64_e32 v[48:49], v[56:57], v[58:59]
	v_add_f64 v[46:47], v[46:47], v[48:49]
	v_mul_f64 v[48:49], v[62:63], v[68:69]
	v_fmac_f64_e32 v[48:49], v[64:65], v[66:67]
	v_add_f64 v[72:73], v[46:47], v[48:49]
	s_waitcnt lgkmcnt(0)
	s_barrier
	ds_write_b128 v44, v[70:73]
	s_waitcnt lgkmcnt(0)
	s_barrier
	s_and_saveexec_b64 s[8:9], s[6:7]
	s_cbranch_execz .LBB24_140
; %bb.139:
	ds_read_b128 v[46:49], v43
	ds_read_b128 v[50:53], v43 offset:16
	ds_read_b128 v[54:57], v43 offset:32
	;; [unrolled: 1-line block ×3, first 2 shown]
	s_waitcnt lgkmcnt(3)
	v_add_f64 v[0:1], v[0:1], v[46:47]
	v_add_f64 v[2:3], v[2:3], v[48:49]
	s_waitcnt lgkmcnt(2)
	v_add_f64 v[0:1], v[0:1], v[50:51]
	v_add_f64 v[46:47], v[2:3], v[52:53]
	s_waitcnt lgkmcnt(1)
	v_add_f64 v[48:49], v[0:1], v[54:55]
	ds_read_b128 v[0:3], v43 offset:64
	v_add_f64 v[46:47], v[46:47], v[56:57]
	s_waitcnt lgkmcnt(1)
	v_add_f64 v[50:51], v[48:49], v[58:59]
	v_add_f64 v[54:55], v[46:47], v[60:61]
	ds_read_b128 v[46:49], v43 offset:80
	s_waitcnt lgkmcnt(1)
	v_add_f64 v[56:57], v[50:51], v[0:1]
	ds_read_b128 v[50:53], v43 offset:96
	v_add_f64 v[54:55], v[54:55], v[2:3]
	ds_read_b128 v[0:3], v43 offset:112
	s_waitcnt lgkmcnt(2)
	v_add_f64 v[46:47], v[56:57], v[46:47]
	v_add_f64 v[48:49], v[54:55], v[48:49]
	s_waitcnt lgkmcnt(1)
	v_add_f64 v[46:47], v[46:47], v[50:51]
	v_add_f64 v[48:49], v[48:49], v[52:53]
	;; [unrolled: 3-line block ×3, first 2 shown]
.LBB24_140:
	s_or_b64 exec, exec, s[8:9]
	v_mul_f64 v[46:47], v[30:31], v[34:35]
	v_mul_f64 v[30:31], v[30:31], v[32:33]
	v_fmac_f64_e32 v[46:47], v[28:29], v[32:33]
	v_fma_f64 v[28:29], v[28:29], v[34:35], -v[30:31]
	v_mul_f64 v[32:33], v[18:19], v[26:27]
	v_mul_f64 v[18:19], v[18:19], v[24:25]
	v_add_f64 v[28:29], v[28:29], 0
	v_fmac_f64_e32 v[32:33], v[16:17], v[24:25]
	v_fma_f64 v[16:17], v[16:17], v[26:27], -v[18:19]
	v_mul_f64 v[24:25], v[10:11], v[22:23]
	v_mul_f64 v[10:11], v[10:11], v[20:21]
	v_add_f64 v[30:31], v[46:47], 0
	v_add_f64 v[16:17], v[28:29], v[16:17]
	v_fmac_f64_e32 v[24:25], v[8:9], v[20:21]
	v_fma_f64 v[8:9], v[8:9], v[22:23], -v[10:11]
	v_add_f64 v[18:19], v[30:31], v[32:33]
	v_add_f64 v[8:9], v[16:17], v[8:9]
	v_mul_f64 v[16:17], v[6:7], v[14:15]
	v_mul_f64 v[6:7], v[6:7], v[12:13]
	v_add_f64 v[10:11], v[18:19], v[24:25]
	v_fmac_f64_e32 v[16:17], v[4:5], v[12:13]
	v_fma_f64 v[6:7], v[4:5], v[14:15], -v[6:7]
	v_add_f64 v[4:5], v[10:11], v[16:17]
	v_add_f64 v[6:7], v[8:9], v[6:7]
	s_barrier
	ds_write_b128 v44, v[4:7]
	s_waitcnt lgkmcnt(0)
	s_barrier
	s_and_saveexec_b64 s[6:7], s[4:5]
	s_cbranch_execz .LBB24_142
; %bb.141:
	ds_read_b128 v[4:7], v43
	ds_read_b128 v[8:11], v43 offset:16
	ds_read_b128 v[12:15], v43 offset:32
	;; [unrolled: 1-line block ×3, first 2 shown]
	s_waitcnt lgkmcnt(3)
	v_add_f64 v[0:1], v[0:1], v[4:5]
	v_add_f64 v[2:3], v[2:3], v[6:7]
	s_waitcnt lgkmcnt(2)
	v_add_f64 v[0:1], v[0:1], v[8:9]
	v_add_f64 v[4:5], v[2:3], v[10:11]
	s_waitcnt lgkmcnt(1)
	v_add_f64 v[6:7], v[0:1], v[12:13]
	ds_read_b128 v[0:3], v43 offset:64
	v_add_f64 v[4:5], v[4:5], v[14:15]
	s_waitcnt lgkmcnt(1)
	v_add_f64 v[8:9], v[6:7], v[16:17]
	v_add_f64 v[12:13], v[4:5], v[18:19]
	ds_read_b128 v[4:7], v43 offset:80
	s_waitcnt lgkmcnt(1)
	v_add_f64 v[14:15], v[8:9], v[0:1]
	ds_read_b128 v[8:11], v43 offset:96
	v_add_f64 v[12:13], v[12:13], v[2:3]
	ds_read_b128 v[0:3], v43 offset:112
	s_waitcnt lgkmcnt(2)
	v_add_f64 v[4:5], v[14:15], v[4:5]
	v_add_f64 v[6:7], v[12:13], v[6:7]
	s_waitcnt lgkmcnt(1)
	v_add_f64 v[4:5], v[4:5], v[8:9]
	v_add_f64 v[6:7], v[6:7], v[10:11]
	;; [unrolled: 3-line block ×3, first 2 shown]
.LBB24_142:
	s_or_b64 exec, exec, s[6:7]
	s_mul_hi_u32 s4, s33, s3
	s_mul_i32 s41, s41, s3
	s_add_i32 s4, s4, s41
	s_mul_i32 s3, s33, s3
	s_mul_i32 s4, s4, s40
	s_mul_hi_u32 s5, s3, s40
	s_add_i32 s5, s5, s4
	s_mul_i32 s4, s3, s40
	s_lshl_b64 s[4:5], s[4:5], 4
	s_add_u32 s3, s34, s4
	s_mul_i32 s4, s33, s2
	s_addc_u32 s7, s35, s5
	s_ashr_i32 s5, s4, 31
	s_lshl_b64 s[4:5], s[4:5], 4
	s_add_u32 s6, s3, s4
	v_cmp_le_i32_e32 vcc, s28, v159
	s_addc_u32 s7, s7, s5
	s_and_b64 vcc, s[22:23], vcc
	s_cmp_lt_i32 s2, 1
	v_lshlrev_b32_e32 v150, 4, v159
	s_barrier
	s_cbranch_scc1 .LBB24_149
; %bb.143:
	s_mul_i32 s3, s36, s31
	s_mul_hi_u32 s4, s36, s30
	s_add_i32 s3, s4, s3
	s_mul_i32 s4, s37, s30
	s_add_i32 s5, s3, s4
	s_mul_i32 s4, s36, s30
	s_lshl_b64 s[4:5], s[4:5], 4
	v_mov_b32_e32 v4, s5
	v_subrev_co_u32_e64 v152, s[4:5], s4, v36
	v_lshlrev_b32_e32 v9, 2, v158
	s_nop 0
	v_subb_co_u32_e64 v153, s[4:5], v37, v4, s[4:5]
	s_lshl_b64 s[4:5], s[20:21], 4
	s_nop 0
	v_mov_b32_e32 v4, s5
	v_subrev_co_u32_e64 v6, s[4:5], s4, v40
	s_ashr_i32 s29, s28, 31
	s_nop 0
	v_subb_co_u32_e64 v7, s[4:5], v41, v4, s[4:5]
	v_lshlrev_b64 v[4:5], 4, v[38:39]
	v_sub_co_u32_e64 v4, s[4:5], v6, v4
	v_mov_b32_e32 v155, 0
	s_nop 0
	v_subb_co_u32_e64 v5, s[4:5], v7, v5, s[4:5]
	v_mad_u64_u32 v[6:7], s[4:5], s24, v9, 0
	v_mov_b32_e32 v8, v7
	v_mad_u64_u32 v[8:9], s[4:5], s25, v9, v[8:9]
	v_mov_b32_e32 v7, v8
	v_lshl_add_u64 v[4:5], v[6:7], 4, v[4:5]
	s_movk_i32 s4, 0xfdf0
	v_lshl_add_u64 v[6:7], s[28:29], 4, v[4:5]
	s_mov_b32 s5, -1
	v_lshl_add_u64 v[6:7], v[6:7], 0, s[4:5]
	v_mov_b32_e32 v151, v155
	s_movk_i32 s4, 0xfe00
	v_lshl_add_u64 v[4:5], v[4:5], 0, v[150:151]
	s_mov_b32 s5, -1
	v_lshl_add_u64 v[4:5], v[4:5], 0, s[4:5]
	v_cndmask_b32_e32 v9, v5, v7, vcc
	s_movk_i32 s3, 0x10c0
	v_and_b32_e32 v5, 48, v159
	v_lshrrev_b32_e32 v10, 4, v42
	v_and_b32_e32 v11, 15, v159
	v_cndmask_b32_e32 v8, v4, v6, vcc
	v_mov_b32_e32 v4, 0x4300
	v_mad_u32_u24 v162, v158, s3, v150
	s_movk_i32 s3, 0x430
	v_lshlrev_b32_e32 v5, 4, v5
	v_lshl_add_u32 v160, v158, 6, v4
	v_lshlrev_b32_e32 v4, 6, v10
	v_mad_u32_u24 v164, v11, s3, v5
	v_or_b32_e32 v5, 0xf0, v150
	v_mad_u32_u24 v163, v11, s3, v4
	v_mul_i32_i24_e32 v4, 0xffffffd0, v10
	v_mad_u32_u24 v165, v11, s3, v5
	s_mul_i32 s3, s25, 0xd0
	s_mul_hi_u32 s10, s24, 0xd0
	v_add_u32_e32 v151, 0x4300, v150
	v_add_u32_e32 v161, 0x4700, v150
	v_cmp_gt_u32_e64 s[4:5], 64, v42
	s_lshl_b64 s[8:9], s[24:25], 4
	s_add_i32 s11, s10, s3
	s_mul_i32 s10, s24, 0xd0
	s_mov_b32 s3, 0
	v_add_u32_e32 v166, v163, v4
	s_branch .LBB24_145
.LBB24_144:                             ;   in Loop: Header=BB24_145 Depth=1
	s_or_b64 exec, exec, s[12:13]
	v_mul_f64 v[132:133], v[6:7], v[34:35]
	v_fma_f64 v[132:133], v[4:5], v[32:33], -v[132:133]
	v_mul_f64 v[4:5], v[4:5], v[34:35]
	v_mul_f64 v[34:35], v[10:11], v[30:31]
	v_add_f64 v[0:1], v[0:1], v[132:133]
	v_fma_f64 v[34:35], v[8:9], v[28:29], -v[34:35]
	v_mul_f64 v[8:9], v[8:9], v[30:31]
	v_mul_f64 v[30:31], v[14:15], v[26:27]
	v_add_f64 v[0:1], v[0:1], v[34:35]
	v_fma_f64 v[30:31], v[12:13], v[24:25], -v[30:31]
	v_mul_f64 v[12:13], v[12:13], v[26:27]
	v_mul_f64 v[26:27], v[18:19], v[22:23]
	v_fmac_f64_e32 v[4:5], v[6:7], v[32:33]
	v_add_f64 v[0:1], v[0:1], v[30:31]
	v_fma_f64 v[26:27], v[16:17], v[20:21], -v[26:27]
	v_add_f64 v[2:3], v[2:3], v[4:5]
	v_mul_f64 v[4:5], v[38:39], v[70:71]
	v_add_f64 v[0:1], v[0:1], v[26:27]
	v_fma_f64 v[4:5], v[36:37], v[68:69], -v[4:5]
	v_add_f64 v[0:1], v[0:1], v[4:5]
	v_mul_f64 v[4:5], v[42:43], v[66:67]
	v_fma_f64 v[4:5], v[40:41], v[64:65], -v[4:5]
	v_add_f64 v[0:1], v[0:1], v[4:5]
	v_mul_f64 v[4:5], v[46:47], v[58:59]
	;; [unrolled: 3-line block ×4, first 2 shown]
	v_fmac_f64_e32 v[8:9], v[10:11], v[28:29]
	v_fma_f64 v[4:5], v[60:61], v[108:109], -v[4:5]
	v_mul_f64 v[16:17], v[16:17], v[22:23]
	v_add_f64 v[2:3], v[2:3], v[8:9]
	v_fmac_f64_e32 v[12:13], v[14:15], v[24:25]
	v_add_f64 v[0:1], v[0:1], v[4:5]
	v_mul_f64 v[4:5], v[74:75], v[106:107]
	v_add_f64 v[2:3], v[2:3], v[12:13]
	v_fmac_f64_e32 v[16:17], v[18:19], v[20:21]
	v_mul_f64 v[6:7], v[36:37], v[70:71]
	v_fma_f64 v[4:5], v[72:73], v[104:105], -v[4:5]
	v_add_f64 v[2:3], v[2:3], v[16:17]
	v_mul_f64 v[8:9], v[40:41], v[66:67]
	v_fmac_f64_e32 v[6:7], v[38:39], v[68:69]
	v_add_f64 v[0:1], v[0:1], v[4:5]
	v_mul_f64 v[4:5], v[78:79], v[98:99]
	v_mul_f64 v[10:11], v[44:45], v[58:59]
	v_add_f64 v[2:3], v[2:3], v[6:7]
	v_fmac_f64_e32 v[8:9], v[42:43], v[64:65]
	v_fma_f64 v[4:5], v[76:77], v[96:97], -v[4:5]
	v_mul_f64 v[12:13], v[48:49], v[54:55]
	v_add_f64 v[2:3], v[2:3], v[8:9]
	v_fmac_f64_e32 v[10:11], v[46:47], v[56:57]
	v_add_f64 v[0:1], v[0:1], v[4:5]
	v_mul_f64 v[4:5], v[82:83], v[86:87]
	v_add_f64 v[2:3], v[2:3], v[10:11]
	v_fmac_f64_e32 v[12:13], v[50:51], v[52:53]
	v_mul_f64 v[6:7], v[60:61], v[110:111]
	v_fma_f64 v[4:5], v[80:81], v[84:85], -v[4:5]
	v_add_f64 v[2:3], v[2:3], v[12:13]
	v_mul_f64 v[8:9], v[72:73], v[106:107]
	v_add_f64 v[0:1], v[0:1], v[4:5]
	v_fmac_f64_e32 v[6:7], v[62:63], v[108:109]
	v_mul_f64 v[4:5], v[90:91], v[118:119]
	v_mul_f64 v[10:11], v[76:77], v[98:99]
	v_add_f64 v[2:3], v[2:3], v[6:7]
	v_fmac_f64_e32 v[8:9], v[74:75], v[104:105]
	v_fma_f64 v[4:5], v[88:89], v[116:117], -v[4:5]
	v_mul_f64 v[12:13], v[80:81], v[86:87]
	v_add_f64 v[2:3], v[2:3], v[8:9]
	v_fmac_f64_e32 v[10:11], v[78:79], v[96:97]
	v_add_f64 v[0:1], v[0:1], v[4:5]
	v_mul_f64 v[4:5], v[94:95], v[122:123]
	v_add_f64 v[2:3], v[2:3], v[10:11]
	v_fmac_f64_e32 v[12:13], v[82:83], v[84:85]
	v_mul_f64 v[6:7], v[88:89], v[118:119]
	v_fma_f64 v[4:5], v[92:93], v[120:121], -v[4:5]
	v_add_f64 v[2:3], v[2:3], v[12:13]
	v_mul_f64 v[8:9], v[92:93], v[122:123]
	v_add_f64 v[0:1], v[0:1], v[4:5]
	v_mul_f64 v[4:5], v[102:103], v[126:127]
	v_fmac_f64_e32 v[6:7], v[90:91], v[116:117]
	v_fma_f64 v[4:5], v[100:101], v[124:125], -v[4:5]
	v_mul_f64 v[10:11], v[100:101], v[126:127]
	v_fmac_f64_e32 v[8:9], v[94:95], v[120:121]
	v_add_f64 v[2:3], v[2:3], v[6:7]
	v_add_f64 v[0:1], v[0:1], v[4:5]
	v_mul_f64 v[4:5], v[114:115], v[130:131]
	v_mul_f64 v[12:13], v[112:113], v[130:131]
	v_fmac_f64_e32 v[10:11], v[102:103], v[124:125]
	v_add_f64 v[2:3], v[2:3], v[8:9]
	v_fma_f64 v[4:5], v[112:113], v[128:129], -v[4:5]
	v_fmac_f64_e32 v[12:13], v[114:115], v[128:129]
	v_add_f64 v[2:3], v[2:3], v[10:11]
	s_add_i32 s3, s3, 64
	s_add_i32 s2, s2, -1
	v_add_f64 v[0:1], v[0:1], v[4:5]
	v_add_f64 v[2:3], v[2:3], v[12:13]
	s_cmp_eq_u32 s2, 0
	v_lshl_add_u64 v[8:9], v[156:157], 0, s[10:11]
	s_barrier
	s_cbranch_scc1 .LBB24_149
.LBB24_145:                             ; =>This Inner Loop Header: Depth=1
	s_and_saveexec_b64 s[12:13], s[16:17]
	s_cbranch_execz .LBB24_147
; %bb.146:                              ;   in Loop: Header=BB24_145 Depth=1
	s_mul_i32 s14, s37, s3
	s_mul_hi_u32 s15, s36, s3
	s_add_i32 s15, s15, s14
	s_mul_i32 s14, s36, s3
	v_lshl_add_u64 v[4:5], s[14:15], 4, v[152:153]
	global_load_dwordx4 v[4:7], v[4:5], off
	s_waitcnt vmcnt(0)
	ds_write2_b64 v151, v[4:5], v[6:7] offset1:1
.LBB24_147:                             ;   in Loop: Header=BB24_145 Depth=1
	s_or_b64 exec, exec, s[12:13]
	v_lshl_add_u64 v[12:13], v[8:9], 0, s[8:9]
	s_waitcnt lgkmcnt(0)
	s_barrier
	global_load_dwordx4 v[4:7], v[8:9], off
	v_lshl_add_u64 v[16:17], v[12:13], 0, s[8:9]
	global_load_dwordx4 v[8:11], v[12:13], off
	v_lshl_add_u64 v[40:41], v[16:17], 0, s[8:9]
	;; [unrolled: 2-line block ×3, first 2 shown]
	global_load_dwordx4 v[16:19], v[40:41], off
	ds_read_b128 v[36:39], v161
	ds_read_b128 v[32:35], v160
	ds_read_b128 v[28:31], v160 offset:16
	ds_read_b128 v[24:27], v160 offset:32
	;; [unrolled: 1-line block ×3, first 2 shown]
	s_waitcnt vmcnt(3) lgkmcnt(4)
	v_mul_f64 v[40:41], v[6:7], v[38:39]
	v_mul_f64 v[42:43], v[6:7], v[36:37]
	s_waitcnt vmcnt(2)
	v_mul_f64 v[44:45], v[10:11], v[38:39]
	v_mul_f64 v[46:47], v[10:11], v[36:37]
	v_fmac_f64_e32 v[44:45], v[8:9], v[36:37]
	v_fma_f64 v[46:47], v[8:9], v[38:39], -v[46:47]
	v_fmac_f64_e32 v[40:41], v[4:5], v[36:37]
	v_fma_f64 v[42:43], v[4:5], v[38:39], -v[42:43]
	ds_write_b128 v162, v[44:47] offset:1072
	s_waitcnt vmcnt(0)
	v_mul_f64 v[44:45], v[18:19], v[38:39]
	v_mul_f64 v[46:47], v[18:19], v[36:37]
	ds_write_b128 v162, v[40:43]
	v_mul_f64 v[40:41], v[14:15], v[38:39]
	v_mul_f64 v[42:43], v[14:15], v[36:37]
	v_fmac_f64_e32 v[44:45], v[16:17], v[36:37]
	v_fma_f64 v[46:47], v[16:17], v[38:39], -v[46:47]
	v_fmac_f64_e32 v[40:41], v[12:13], v[36:37]
	v_fma_f64 v[42:43], v[12:13], v[38:39], -v[42:43]
	ds_write_b128 v162, v[44:47] offset:3216
	v_lshl_add_u64 v[44:45], v[48:49], 0, s[8:9]
	ds_write_b128 v162, v[40:43] offset:2144
	s_waitcnt lgkmcnt(0)
	s_barrier
	ds_read_b128 v[128:131], v163
	ds_read_b128 v[124:127], v163 offset:16
	ds_read_b128 v[120:123], v163 offset:32
	;; [unrolled: 1-line block ×3, first 2 shown]
	s_waitcnt lgkmcnt(0)
	s_barrier
	global_load_dwordx4 v[36:39], v[48:49], off
	global_load_dwordx4 v[40:43], v[44:45], off
	v_lshl_add_u64 v[48:49], v[44:45], 0, s[8:9]
	v_lshl_add_u64 v[52:53], v[48:49], 0, s[8:9]
	global_load_dwordx4 v[44:47], v[48:49], off
	v_lshl_add_u64 v[88:89], v[52:53], 0, s[10:11]
	global_load_dwordx4 v[48:51], v[52:53], off
	ds_read_b128 v[60:63], v161
	ds_read_b128 v[68:71], v160 offset:256
	ds_read_b128 v[64:67], v160 offset:272
	;; [unrolled: 1-line block ×4, first 2 shown]
	v_add_f64 v[128:129], v[128:129], 0
	v_add_f64 v[130:131], v[130:131], 0
	;; [unrolled: 1-line block ×8, first 2 shown]
	s_waitcnt vmcnt(3) lgkmcnt(4)
	v_mul_f64 v[72:73], v[38:39], v[62:63]
	v_mul_f64 v[74:75], v[38:39], v[60:61]
	s_waitcnt vmcnt(2)
	v_mul_f64 v[76:77], v[42:43], v[62:63]
	v_mul_f64 v[78:79], v[42:43], v[60:61]
	s_waitcnt vmcnt(1)
	;; [unrolled: 3-line block ×3, first 2 shown]
	v_mul_f64 v[86:87], v[50:51], v[60:61]
	v_mul_f64 v[84:85], v[50:51], v[62:63]
	v_fma_f64 v[74:75], v[36:37], v[62:63], -v[74:75]
	v_fmac_f64_e32 v[72:73], v[36:37], v[60:61]
	v_fmac_f64_e32 v[76:77], v[40:41], v[60:61]
	v_fma_f64 v[78:79], v[40:41], v[62:63], -v[78:79]
	v_fma_f64 v[82:83], v[44:45], v[62:63], -v[82:83]
	;; [unrolled: 1-line block ×3, first 2 shown]
	v_fmac_f64_e32 v[80:81], v[44:45], v[60:61]
	v_fmac_f64_e32 v[84:85], v[48:49], v[60:61]
	ds_write_b128 v162, v[72:75]
	ds_write_b128 v162, v[76:79] offset:1072
	ds_write_b128 v162, v[80:83] offset:2144
	;; [unrolled: 1-line block ×3, first 2 shown]
	v_lshl_add_u64 v[76:77], v[88:89], 0, s[8:9]
	v_lshl_add_u64 v[80:81], v[76:77], 0, s[8:9]
	s_waitcnt lgkmcnt(0)
	s_barrier
	ds_read_b128 v[144:147], v163
	ds_read_b128 v[140:143], v163 offset:16
	ds_read_b128 v[136:139], v163 offset:32
	;; [unrolled: 1-line block ×3, first 2 shown]
	s_waitcnt lgkmcnt(0)
	s_barrier
	global_load_dwordx4 v[60:63], v[88:89], off
	global_load_dwordx4 v[72:75], v[76:77], off
	v_lshl_add_u64 v[84:85], v[80:81], 0, s[8:9]
	global_load_dwordx4 v[76:79], v[80:81], off
	v_lshl_add_u64 v[156:157], v[84:85], 0, s[10:11]
	global_load_dwordx4 v[80:83], v[84:85], off
	ds_read_b128 v[88:91], v161
	ds_read_b128 v[108:111], v160 offset:512
	ds_read_b128 v[104:107], v160 offset:528
	ds_read_b128 v[96:99], v160 offset:544
	ds_read_b128 v[84:87], v160 offset:560
	v_add_f64 v[116:117], v[144:145], 0
	v_add_f64 v[118:119], v[146:147], 0
	;; [unrolled: 1-line block ×8, first 2 shown]
	s_waitcnt vmcnt(3) lgkmcnt(4)
	v_mul_f64 v[94:95], v[62:63], v[88:89]
	v_mul_f64 v[92:93], v[62:63], v[90:91]
	s_waitcnt vmcnt(2)
	v_mul_f64 v[100:101], v[74:75], v[90:91]
	v_mul_f64 v[102:103], v[74:75], v[88:89]
	s_waitcnt vmcnt(1)
	;; [unrolled: 3-line block ×3, first 2 shown]
	v_mul_f64 v[170:171], v[82:83], v[88:89]
	v_mul_f64 v[168:169], v[82:83], v[90:91]
	v_fma_f64 v[94:95], v[60:61], v[90:91], -v[94:95]
	v_fmac_f64_e32 v[92:93], v[60:61], v[88:89]
	v_fmac_f64_e32 v[100:101], v[72:73], v[88:89]
	v_fma_f64 v[102:103], v[72:73], v[90:91], -v[102:103]
	v_fma_f64 v[114:115], v[76:77], v[90:91], -v[114:115]
	;; [unrolled: 1-line block ×3, first 2 shown]
	v_fmac_f64_e32 v[112:113], v[76:77], v[88:89]
	v_fmac_f64_e32 v[168:169], v[80:81], v[88:89]
	ds_write_b128 v162, v[92:95]
	ds_write_b128 v162, v[100:103] offset:1072
	ds_write_b128 v162, v[112:115] offset:2144
	;; [unrolled: 1-line block ×3, first 2 shown]
	v_lshl_add_u64 v[100:101], v[156:157], 0, s[8:9]
	v_lshl_add_u64 v[112:113], v[100:101], 0, s[8:9]
	s_waitcnt lgkmcnt(0)
	s_barrier
	ds_read_b128 v[168:171], v163
	ds_read_b128 v[172:175], v163 offset:16
	ds_read_b128 v[176:179], v163 offset:32
	;; [unrolled: 1-line block ×3, first 2 shown]
	s_waitcnt lgkmcnt(0)
	s_barrier
	global_load_dwordx4 v[88:91], v[156:157], off
	global_load_dwordx4 v[92:95], v[100:101], off
	v_lshl_add_u64 v[156:157], v[112:113], 0, s[8:9]
	global_load_dwordx4 v[100:103], v[112:113], off
	v_add_f64 v[140:141], v[168:169], 0
	global_load_dwordx4 v[112:115], v[156:157], off
	ds_read_b128 v[136:139], v161
	ds_read_b128 v[116:119], v160 offset:768
	ds_read_b128 v[120:123], v160 offset:784
	;; [unrolled: 1-line block ×4, first 2 shown]
	v_add_f64 v[142:143], v[170:171], 0
	v_add_f64 v[140:141], v[140:141], v[172:173]
	;; [unrolled: 1-line block ×7, first 2 shown]
	s_waitcnt vmcnt(3) lgkmcnt(4)
	v_mul_f64 v[146:147], v[90:91], v[136:137]
	v_mul_f64 v[144:145], v[90:91], v[138:139]
	s_waitcnt vmcnt(2)
	v_mul_f64 v[170:171], v[94:95], v[136:137]
	v_mul_f64 v[168:169], v[94:95], v[138:139]
	s_waitcnt vmcnt(1)
	v_mul_f64 v[174:175], v[102:103], v[136:137]
	v_mul_f64 v[172:173], v[102:103], v[138:139]
	s_waitcnt vmcnt(0)
	v_mul_f64 v[178:179], v[114:115], v[136:137]
	v_mul_f64 v[176:177], v[114:115], v[138:139]
	v_fma_f64 v[146:147], v[88:89], v[138:139], -v[146:147]
	v_fma_f64 v[170:171], v[92:93], v[138:139], -v[170:171]
	;; [unrolled: 1-line block ×3, first 2 shown]
	v_fmac_f64_e32 v[144:145], v[88:89], v[136:137]
	v_fmac_f64_e32 v[168:169], v[92:93], v[136:137]
	;; [unrolled: 1-line block ×3, first 2 shown]
	v_fma_f64 v[178:179], v[112:113], v[138:139], -v[178:179]
	v_fmac_f64_e32 v[176:177], v[112:113], v[136:137]
	ds_write_b128 v162, v[144:147]
	ds_write_b128 v162, v[168:171] offset:1072
	ds_write_b128 v162, v[172:175] offset:2144
	;; [unrolled: 1-line block ×3, first 2 shown]
	s_waitcnt lgkmcnt(0)
	s_barrier
	ds_read_b128 v[136:139], v163
	ds_read_b128 v[144:147], v163 offset:16
	ds_read_b128 v[168:171], v163 offset:32
	;; [unrolled: 1-line block ×3, first 2 shown]
	s_waitcnt lgkmcnt(0)
	s_barrier
	ds_write_b128 v166, v[184:187]
	ds_write_b128 v166, v[132:135] offset:256
	ds_write_b128 v166, v[140:143] offset:512
	v_add_f64 v[132:133], v[136:137], 0
	v_add_f64 v[134:135], v[138:139], 0
	;; [unrolled: 1-line block ×8, first 2 shown]
	ds_write_b128 v166, v[132:135] offset:768
	s_waitcnt lgkmcnt(0)
	s_barrier
	s_and_saveexec_b64 s[12:13], s[4:5]
	s_cbranch_execz .LBB24_144
; %bb.148:                              ;   in Loop: Header=BB24_145 Depth=1
	ds_read_b128 v[132:135], v164
	ds_read_b128 v[136:139], v164 offset:16
	ds_read_b128 v[140:143], v164 offset:32
	;; [unrolled: 1-line block ×3, first 2 shown]
	v_add_u32_e32 v154, s3, v159
	s_waitcnt lgkmcnt(2)
	v_add_f64 v[132:133], v[136:137], v[132:133]
	v_add_f64 v[136:137], v[138:139], v[134:135]
	s_waitcnt lgkmcnt(1)
	v_add_f64 v[138:139], v[132:133], v[140:141]
	ds_read_b128 v[132:135], v164 offset:64
	v_add_f64 v[140:141], v[136:137], v[142:143]
	s_waitcnt lgkmcnt(1)
	v_add_f64 v[142:143], v[138:139], v[144:145]
	ds_read_b128 v[136:139], v164 offset:80
	;; [unrolled: 4-line block ×9, first 2 shown]
	v_add_f64 v[134:135], v[144:145], v[134:135]
	s_waitcnt lgkmcnt(1)
	v_add_f64 v[136:137], v[132:133], v[136:137]
	v_add_f64 v[144:145], v[134:135], v[138:139]
	ds_read_b128 v[132:135], v164 offset:208
	s_waitcnt lgkmcnt(1)
	v_add_f64 v[146:147], v[136:137], v[140:141]
	ds_read_b128 v[136:139], v164 offset:224
	v_add_f64 v[144:145], v[144:145], v[142:143]
	ds_read_b128 v[140:143], v165
	s_waitcnt lgkmcnt(2)
	v_add_f64 v[132:133], v[146:147], v[132:133]
	v_add_f64 v[134:135], v[144:145], v[134:135]
	s_waitcnt lgkmcnt(1)
	v_add_f64 v[132:133], v[132:133], v[136:137]
	v_add_f64 v[134:135], v[134:135], v[138:139]
	;; [unrolled: 3-line block ×3, first 2 shown]
	v_lshl_add_u64 v[136:137], v[154:155], 4, s[6:7]
	global_store_dwordx4 v[136:137], v[132:135], off
	s_branch .LBB24_144
.LBB24_149:
	s_movk_i32 s2, 0x430
	v_mad_u32_u24 v4, v158, s2, v150
	s_nor_b64 s[0:1], s[0:1], vcc
	ds_write_b128 v4, v[0:3]
	s_waitcnt lgkmcnt(0)
	s_barrier
	s_and_saveexec_b64 s[2:3], s[0:1]
	s_cbranch_execz .LBB24_151
; %bb.150:
	ds_read_b128 v[0:3], v150 offset:1072
	ds_read_b128 v[4:7], v150
	ds_read_b128 v[8:11], v150 offset:2144
	ds_read_b128 v[12:15], v150 offset:3216
	s_waitcnt lgkmcnt(2)
	v_add_f64 v[0:1], v[0:1], v[4:5]
	v_add_f64 v[2:3], v[2:3], v[6:7]
	s_waitcnt lgkmcnt(1)
	v_add_f64 v[0:1], v[0:1], v[8:9]
	v_add_f64 v[2:3], v[2:3], v[10:11]
	;; [unrolled: 3-line block ×3, first 2 shown]
	v_lshl_add_u64 v[4:5], v[148:149], 4, s[6:7]
	global_store_dwordx4 v[4:5], v[0:3], off
.LBB24_151:
	s_endpgm
	.section	.rodata,"a",@progbits
	.p2align	6, 0x0
	.amdhsa_kernel _ZL26rocblas_hemvn_kernel_lowerILb1ELi64ELi4ELi33ELi32ELi16ElPK19rocblas_complex_numIdES3_PS1_EviT6_lT7_lT5_lS6_lS7_lS5_lT8_i
		.amdhsa_group_segment_fixed_size 19200
		.amdhsa_private_segment_fixed_size 0
		.amdhsa_kernarg_size 376
		.amdhsa_user_sgpr_count 2
		.amdhsa_user_sgpr_dispatch_ptr 0
		.amdhsa_user_sgpr_queue_ptr 0
		.amdhsa_user_sgpr_kernarg_segment_ptr 1
		.amdhsa_user_sgpr_dispatch_id 0
		.amdhsa_user_sgpr_kernarg_preload_length 0
		.amdhsa_user_sgpr_kernarg_preload_offset 0
		.amdhsa_user_sgpr_private_segment_size 0
		.amdhsa_uses_dynamic_stack 0
		.amdhsa_enable_private_segment 0
		.amdhsa_system_sgpr_workgroup_id_x 1
		.amdhsa_system_sgpr_workgroup_id_y 0
		.amdhsa_system_sgpr_workgroup_id_z 1
		.amdhsa_system_sgpr_workgroup_info 0
		.amdhsa_system_vgpr_workitem_id 1
		.amdhsa_next_free_vgpr 188
		.amdhsa_next_free_sgpr 44
		.amdhsa_accum_offset 188
		.amdhsa_reserve_vcc 1
		.amdhsa_float_round_mode_32 0
		.amdhsa_float_round_mode_16_64 0
		.amdhsa_float_denorm_mode_32 3
		.amdhsa_float_denorm_mode_16_64 3
		.amdhsa_dx10_clamp 1
		.amdhsa_ieee_mode 1
		.amdhsa_fp16_overflow 0
		.amdhsa_tg_split 0
		.amdhsa_exception_fp_ieee_invalid_op 0
		.amdhsa_exception_fp_denorm_src 0
		.amdhsa_exception_fp_ieee_div_zero 0
		.amdhsa_exception_fp_ieee_overflow 0
		.amdhsa_exception_fp_ieee_underflow 0
		.amdhsa_exception_fp_ieee_inexact 0
		.amdhsa_exception_int_div_zero 0
	.end_amdhsa_kernel
	.section	.text._ZL26rocblas_hemvn_kernel_lowerILb1ELi64ELi4ELi33ELi32ELi16ElPK19rocblas_complex_numIdES3_PS1_EviT6_lT7_lT5_lS6_lS7_lS5_lT8_i,"axG",@progbits,_ZL26rocblas_hemvn_kernel_lowerILb1ELi64ELi4ELi33ELi32ELi16ElPK19rocblas_complex_numIdES3_PS1_EviT6_lT7_lT5_lS6_lS7_lS5_lT8_i,comdat
.Lfunc_end24:
	.size	_ZL26rocblas_hemvn_kernel_lowerILb1ELi64ELi4ELi33ELi32ELi16ElPK19rocblas_complex_numIdES3_PS1_EviT6_lT7_lT5_lS6_lS7_lS5_lT8_i, .Lfunc_end24-_ZL26rocblas_hemvn_kernel_lowerILb1ELi64ELi4ELi33ELi32ELi16ElPK19rocblas_complex_numIdES3_PS1_EviT6_lT7_lT5_lS6_lS7_lS5_lT8_i
                                        ; -- End function
	.set _ZL26rocblas_hemvn_kernel_lowerILb1ELi64ELi4ELi33ELi32ELi16ElPK19rocblas_complex_numIdES3_PS1_EviT6_lT7_lT5_lS6_lS7_lS5_lT8_i.num_vgpr, 188
	.set _ZL26rocblas_hemvn_kernel_lowerILb1ELi64ELi4ELi33ELi32ELi16ElPK19rocblas_complex_numIdES3_PS1_EviT6_lT7_lT5_lS6_lS7_lS5_lT8_i.num_agpr, 0
	.set _ZL26rocblas_hemvn_kernel_lowerILb1ELi64ELi4ELi33ELi32ELi16ElPK19rocblas_complex_numIdES3_PS1_EviT6_lT7_lT5_lS6_lS7_lS5_lT8_i.numbered_sgpr, 44
	.set _ZL26rocblas_hemvn_kernel_lowerILb1ELi64ELi4ELi33ELi32ELi16ElPK19rocblas_complex_numIdES3_PS1_EviT6_lT7_lT5_lS6_lS7_lS5_lT8_i.num_named_barrier, 0
	.set _ZL26rocblas_hemvn_kernel_lowerILb1ELi64ELi4ELi33ELi32ELi16ElPK19rocblas_complex_numIdES3_PS1_EviT6_lT7_lT5_lS6_lS7_lS5_lT8_i.private_seg_size, 0
	.set _ZL26rocblas_hemvn_kernel_lowerILb1ELi64ELi4ELi33ELi32ELi16ElPK19rocblas_complex_numIdES3_PS1_EviT6_lT7_lT5_lS6_lS7_lS5_lT8_i.uses_vcc, 1
	.set _ZL26rocblas_hemvn_kernel_lowerILb1ELi64ELi4ELi33ELi32ELi16ElPK19rocblas_complex_numIdES3_PS1_EviT6_lT7_lT5_lS6_lS7_lS5_lT8_i.uses_flat_scratch, 0
	.set _ZL26rocblas_hemvn_kernel_lowerILb1ELi64ELi4ELi33ELi32ELi16ElPK19rocblas_complex_numIdES3_PS1_EviT6_lT7_lT5_lS6_lS7_lS5_lT8_i.has_dyn_sized_stack, 0
	.set _ZL26rocblas_hemvn_kernel_lowerILb1ELi64ELi4ELi33ELi32ELi16ElPK19rocblas_complex_numIdES3_PS1_EviT6_lT7_lT5_lS6_lS7_lS5_lT8_i.has_recursion, 0
	.set _ZL26rocblas_hemvn_kernel_lowerILb1ELi64ELi4ELi33ELi32ELi16ElPK19rocblas_complex_numIdES3_PS1_EviT6_lT7_lT5_lS6_lS7_lS5_lT8_i.has_indirect_call, 0
	.section	.AMDGPU.csdata,"",@progbits
; Kernel info:
; codeLenInByte = 9804
; TotalNumSgprs: 50
; NumVgprs: 188
; NumAgprs: 0
; TotalNumVgprs: 188
; ScratchSize: 0
; MemoryBound: 0
; FloatMode: 240
; IeeeMode: 1
; LDSByteSize: 19200 bytes/workgroup (compile time only)
; SGPRBlocks: 6
; VGPRBlocks: 23
; NumSGPRsForWavesPerEU: 50
; NumVGPRsForWavesPerEU: 188
; AccumOffset: 188
; Occupancy: 2
; WaveLimiterHint : 0
; COMPUTE_PGM_RSRC2:SCRATCH_EN: 0
; COMPUTE_PGM_RSRC2:USER_SGPR: 2
; COMPUTE_PGM_RSRC2:TRAP_HANDLER: 0
; COMPUTE_PGM_RSRC2:TGID_X_EN: 1
; COMPUTE_PGM_RSRC2:TGID_Y_EN: 0
; COMPUTE_PGM_RSRC2:TGID_Z_EN: 1
; COMPUTE_PGM_RSRC2:TIDIG_COMP_CNT: 1
; COMPUTE_PGM_RSRC3_GFX90A:ACCUM_OFFSET: 46
; COMPUTE_PGM_RSRC3_GFX90A:TG_SPLIT: 0
	.section	.text._ZL36rocblas_hemvn_kernel_lower_block_sumILi64ElPK19rocblas_complex_numIdEPS1_S1_EviT1_lS5_lT2_lT0_lPT3_i,"axG",@progbits,_ZL36rocblas_hemvn_kernel_lower_block_sumILi64ElPK19rocblas_complex_numIdEPS1_S1_EviT1_lS5_lT2_lT0_lPT3_i,comdat
	.globl	_ZL36rocblas_hemvn_kernel_lower_block_sumILi64ElPK19rocblas_complex_numIdEPS1_S1_EviT1_lS5_lT2_lT0_lPT3_i ; -- Begin function _ZL36rocblas_hemvn_kernel_lower_block_sumILi64ElPK19rocblas_complex_numIdEPS1_S1_EviT1_lS5_lT2_lT0_lPT3_i
	.p2align	8
	.type	_ZL36rocblas_hemvn_kernel_lower_block_sumILi64ElPK19rocblas_complex_numIdEPS1_S1_EviT1_lS5_lT2_lT0_lPT3_i,@function
_ZL36rocblas_hemvn_kernel_lower_block_sumILi64ElPK19rocblas_complex_numIdEPS1_S1_EviT1_lS5_lT2_lT0_lPT3_i: ; @_ZL36rocblas_hemvn_kernel_lower_block_sumILi64ElPK19rocblas_complex_numIdEPS1_S1_EviT1_lS5_lT2_lT0_lPT3_i
; %bb.0:
	s_load_dwordx8 s[4:11], s[0:1], 0x8
	s_waitcnt lgkmcnt(0)
	s_mul_i32 s7, s7, s3
	s_mul_hi_u32 s12, s6, s3
	s_add_i32 s7, s12, s7
	s_mul_i32 s6, s6, s3
	s_lshl_b64 s[6:7], s[6:7], 4
	s_add_u32 s4, s4, s6
	s_addc_u32 s5, s5, s7
	s_load_dwordx4 s[12:15], s[4:5], 0x0
	s_mul_i32 s4, s11, s3
	s_mul_hi_u32 s5, s10, s3
	s_add_i32 s5, s5, s4
	s_mul_i32 s4, s10, s3
	s_lshl_b64 s[4:5], s[4:5], 4
	s_add_u32 s4, s8, s4
	s_addc_u32 s5, s9, s5
	s_load_dwordx4 s[8:11], s[4:5], 0x0
	s_waitcnt lgkmcnt(0)
	v_cmp_neq_f64_e64 s[4:5], s[12:13], 0
	v_cmp_neq_f64_e64 s[6:7], s[14:15], 0
	s_or_b64 s[16:17], s[4:5], s[6:7]
	s_mov_b64 s[4:5], -1
	s_and_b64 vcc, exec, s[16:17]
	s_cbranch_vccnz .LBB25_2
; %bb.1:
	v_cmp_neq_f64_e64 s[4:5], s[8:9], 1.0
	v_cmp_neq_f64_e64 s[6:7], s[10:11], 0
	s_or_b64 s[4:5], s[4:5], s[6:7]
.LBB25_2:
	s_andn2_b64 vcc, exec, s[4:5]
	s_cbranch_vccnz .LBB25_22
; %bb.3:
	s_load_dwordx2 s[18:19], s[0:1], 0x40
	s_load_dwordx4 s[4:7], s[0:1], 0x30
	s_xor_b64 s[22:23], s[16:17], -1
	s_load_dwordx2 s[16:17], s[0:1], 0x28
	s_load_dword s20, s[0:1], 0x0
	v_lshl_or_b32 v6, s2, 6, v0
	s_waitcnt lgkmcnt(0)
	s_mul_i32 s19, s19, s3
	s_mul_hi_u32 s21, s18, s3
	s_add_i32 s19, s21, s19
	s_mul_i32 s18, s18, s3
	s_lshl_b64 s[18:19], s[18:19], 4
	s_add_u32 s16, s16, s18
	s_addc_u32 s17, s17, s19
	s_lshl_b64 s[4:5], s[4:5], 4
	s_add_u32 s16, s16, s4
	s_addc_u32 s17, s17, s5
	s_andn2_b64 vcc, exec, s[22:23]
	v_cmp_gt_i32_e64 s[4:5], s20, v6
	s_cbranch_vccnz .LBB25_8
; %bb.4:
	s_mov_b64 s[22:23], 0
	s_mov_b64 s[18:19], 0
                                        ; implicit-def: $vgpr2_vgpr3
                                        ; implicit-def: $vgpr4_vgpr5
	s_and_saveexec_b64 s[24:25], s[4:5]
	s_cbranch_execz .LBB25_9
; %bb.5:
	v_cmp_neq_f64_e64 s[4:5], s[8:9], 0
	v_cmp_neq_f64_e64 s[18:19], s[10:11], 0
	v_ashrrev_i32_e32 v0, 31, v6
	v_mul_lo_u32 v1, s7, v6
	v_mul_lo_u32 v0, s6, v0
	v_mad_u64_u32 v[4:5], s[26:27], s6, v6, 0
	s_or_b64 s[4:5], s[4:5], s[18:19]
	v_mov_b64_e32 v[2:3], 0
	v_add3_u32 v5, v5, v0, v1
	s_andn2_b64 vcc, exec, s[4:5]
	v_mov_b64_e32 v[0:1], 0
	s_cbranch_vccnz .LBB25_7
; %bb.6:
	v_lshl_add_u64 v[0:1], v[4:5], 4, s[16:17]
	global_load_dwordx4 v[8:11], v[0:1], off
	s_waitcnt vmcnt(0)
	v_mul_f64 v[0:1], s[10:11], v[10:11]
	v_mul_f64 v[2:3], s[8:9], v[10:11]
	v_fma_f64 v[0:1], s[8:9], v[8:9], -v[0:1]
	v_fmac_f64_e32 v[2:3], s[10:11], v[8:9]
.LBB25_7:
	s_mov_b64 s[18:19], exec
	s_or_b64 exec, exec, s[24:25]
	s_and_b64 vcc, exec, s[22:23]
	s_cbranch_vccnz .LBB25_10
	s_branch .LBB25_20
.LBB25_8:
	s_mov_b64 s[18:19], 0
                                        ; implicit-def: $vgpr2_vgpr3
                                        ; implicit-def: $vgpr4_vgpr5
	s_cbranch_execnz .LBB25_10
	s_branch .LBB25_20
.LBB25_9:
	s_or_b64 exec, exec, s[24:25]
	s_and_b64 vcc, exec, s[22:23]
	s_cbranch_vccz .LBB25_20
.LBB25_10:
	v_cmp_gt_i32_e32 vcc, s20, v6
                                        ; implicit-def: $vgpr2_vgpr3
                                        ; implicit-def: $vgpr4_vgpr5
	s_and_saveexec_b64 s[4:5], vcc
	s_cbranch_execz .LBB25_19
; %bb.11:
	s_load_dword s22, s[0:1], 0x58
	v_mov_b64_e32 v[0:1], 0
	v_mov_b64_e32 v[4:5], 0
	s_waitcnt lgkmcnt(0)
	s_cmp_ge_i32 s2, s22
	s_cbranch_scc1 .LBB25_14
; %bb.12:
	s_ashr_i32 s21, s20, 31
	s_mul_i32 s23, s20, s2
	s_load_dwordx2 s[0:1], s[0:1], 0x48
	v_add_u32_e32 v0, s23, v6
	s_mul_hi_u32 s23, s20, s3
	s_mul_i32 s24, s21, s3
	s_add_i32 s23, s23, s24
	s_mul_i32 s3, s20, s3
	s_mul_i32 s23, s23, s22
	s_mul_hi_u32 s24, s3, s22
	s_add_i32 s25, s24, s23
	s_mul_i32 s24, s3, s22
	s_lshl_b64 s[24:25], s[24:25], 4
	s_waitcnt lgkmcnt(0)
	s_add_u32 s0, s0, s24
	v_ashrrev_i32_e32 v1, 31, v0
	s_addc_u32 s1, s1, s25
	v_lshl_add_u64 v[0:1], v[0:1], 4, s[0:1]
	v_lshl_add_u64 v[2:3], v[0:1], 0, 8
	s_lshl_b64 s[0:1], s[20:21], 4
	v_mov_b64_e32 v[0:1], 0
	v_mov_b64_e32 v[4:5], 0
.LBB25_13:                              ; =>This Inner Loop Header: Depth=1
	global_load_dwordx4 v[8:11], v[2:3], off offset:-8
	s_add_i32 s2, s2, 1
	v_lshl_add_u64 v[2:3], v[2:3], 0, s[0:1]
	s_cmp_ge_i32 s2, s22
	s_waitcnt vmcnt(0)
	v_add_f64 v[4:5], v[4:5], v[8:9]
	v_add_f64 v[0:1], v[0:1], v[10:11]
	s_cbranch_scc0 .LBB25_13
.LBB25_14:
	v_cmp_neq_f64_e64 s[2:3], s[8:9], 0
	v_cmp_neq_f64_e64 s[20:21], s[10:11], 0
	s_or_b64 s[2:3], s[2:3], s[20:21]
	v_mul_f64 v[8:9], s[14:15], v[0:1]
	v_mul_f64 v[2:3], s[12:13], v[0:1]
	v_ashrrev_i32_e32 v10, 31, v6
	s_mov_b64 s[0:1], 0
	s_andn2_b64 vcc, exec, s[2:3]
	v_fma_f64 v[0:1], s[12:13], v[4:5], -v[8:9]
	v_fmac_f64_e32 v[2:3], s[14:15], v[4:5]
	v_mul_lo_u32 v7, s7, v6
	v_mul_lo_u32 v8, s6, v10
	s_cbranch_vccz .LBB25_16
; %bb.15:
	v_mad_u64_u32 v[4:5], s[2:3], s6, v6, 0
	v_add3_u32 v5, v5, v8, v7
	s_andn2_b64 vcc, exec, s[0:1]
	s_cbranch_vccz .LBB25_17
	s_branch .LBB25_18
.LBB25_16:
                                        ; implicit-def: $vgpr4_vgpr5
.LBB25_17:
	v_mad_u64_u32 v[4:5], s[0:1], s6, v6, 0
	v_add3_u32 v5, v5, v8, v7
	v_lshl_add_u64 v[6:7], v[4:5], 4, s[16:17]
	global_load_dwordx4 v[6:9], v[6:7], off
	s_waitcnt vmcnt(0)
	v_mul_f64 v[10:11], s[10:11], v[8:9]
	v_mul_f64 v[8:9], s[8:9], v[8:9]
	v_fma_f64 v[10:11], s[8:9], v[6:7], -v[10:11]
	v_fmac_f64_e32 v[8:9], s[10:11], v[6:7]
	v_add_f64 v[0:1], v[0:1], v[10:11]
	v_add_f64 v[2:3], v[2:3], v[8:9]
.LBB25_18:
	s_or_b64 s[18:19], s[18:19], exec
.LBB25_19:
	s_or_b64 exec, exec, s[4:5]
.LBB25_20:
	s_and_saveexec_b64 s[0:1], s[18:19]
	s_cbranch_execz .LBB25_22
; %bb.21:
	v_lshl_add_u64 v[4:5], v[4:5], 4, s[16:17]
	global_store_dwordx4 v[4:5], v[0:3], off
.LBB25_22:
	s_endpgm
	.section	.rodata,"a",@progbits
	.p2align	6, 0x0
	.amdhsa_kernel _ZL36rocblas_hemvn_kernel_lower_block_sumILi64ElPK19rocblas_complex_numIdEPS1_S1_EviT1_lS5_lT2_lT0_lPT3_i
		.amdhsa_group_segment_fixed_size 0
		.amdhsa_private_segment_fixed_size 0
		.amdhsa_kernarg_size 344
		.amdhsa_user_sgpr_count 2
		.amdhsa_user_sgpr_dispatch_ptr 0
		.amdhsa_user_sgpr_queue_ptr 0
		.amdhsa_user_sgpr_kernarg_segment_ptr 1
		.amdhsa_user_sgpr_dispatch_id 0
		.amdhsa_user_sgpr_kernarg_preload_length 0
		.amdhsa_user_sgpr_kernarg_preload_offset 0
		.amdhsa_user_sgpr_private_segment_size 0
		.amdhsa_uses_dynamic_stack 0
		.amdhsa_enable_private_segment 0
		.amdhsa_system_sgpr_workgroup_id_x 1
		.amdhsa_system_sgpr_workgroup_id_y 0
		.amdhsa_system_sgpr_workgroup_id_z 1
		.amdhsa_system_sgpr_workgroup_info 0
		.amdhsa_system_vgpr_workitem_id 0
		.amdhsa_next_free_vgpr 12
		.amdhsa_next_free_sgpr 28
		.amdhsa_accum_offset 12
		.amdhsa_reserve_vcc 1
		.amdhsa_float_round_mode_32 0
		.amdhsa_float_round_mode_16_64 0
		.amdhsa_float_denorm_mode_32 3
		.amdhsa_float_denorm_mode_16_64 3
		.amdhsa_dx10_clamp 1
		.amdhsa_ieee_mode 1
		.amdhsa_fp16_overflow 0
		.amdhsa_tg_split 0
		.amdhsa_exception_fp_ieee_invalid_op 0
		.amdhsa_exception_fp_denorm_src 0
		.amdhsa_exception_fp_ieee_div_zero 0
		.amdhsa_exception_fp_ieee_overflow 0
		.amdhsa_exception_fp_ieee_underflow 0
		.amdhsa_exception_fp_ieee_inexact 0
		.amdhsa_exception_int_div_zero 0
	.end_amdhsa_kernel
	.section	.text._ZL36rocblas_hemvn_kernel_lower_block_sumILi64ElPK19rocblas_complex_numIdEPS1_S1_EviT1_lS5_lT2_lT0_lPT3_i,"axG",@progbits,_ZL36rocblas_hemvn_kernel_lower_block_sumILi64ElPK19rocblas_complex_numIdEPS1_S1_EviT1_lS5_lT2_lT0_lPT3_i,comdat
.Lfunc_end25:
	.size	_ZL36rocblas_hemvn_kernel_lower_block_sumILi64ElPK19rocblas_complex_numIdEPS1_S1_EviT1_lS5_lT2_lT0_lPT3_i, .Lfunc_end25-_ZL36rocblas_hemvn_kernel_lower_block_sumILi64ElPK19rocblas_complex_numIdEPS1_S1_EviT1_lS5_lT2_lT0_lPT3_i
                                        ; -- End function
	.set _ZL36rocblas_hemvn_kernel_lower_block_sumILi64ElPK19rocblas_complex_numIdEPS1_S1_EviT1_lS5_lT2_lT0_lPT3_i.num_vgpr, 12
	.set _ZL36rocblas_hemvn_kernel_lower_block_sumILi64ElPK19rocblas_complex_numIdEPS1_S1_EviT1_lS5_lT2_lT0_lPT3_i.num_agpr, 0
	.set _ZL36rocblas_hemvn_kernel_lower_block_sumILi64ElPK19rocblas_complex_numIdEPS1_S1_EviT1_lS5_lT2_lT0_lPT3_i.numbered_sgpr, 28
	.set _ZL36rocblas_hemvn_kernel_lower_block_sumILi64ElPK19rocblas_complex_numIdEPS1_S1_EviT1_lS5_lT2_lT0_lPT3_i.num_named_barrier, 0
	.set _ZL36rocblas_hemvn_kernel_lower_block_sumILi64ElPK19rocblas_complex_numIdEPS1_S1_EviT1_lS5_lT2_lT0_lPT3_i.private_seg_size, 0
	.set _ZL36rocblas_hemvn_kernel_lower_block_sumILi64ElPK19rocblas_complex_numIdEPS1_S1_EviT1_lS5_lT2_lT0_lPT3_i.uses_vcc, 1
	.set _ZL36rocblas_hemvn_kernel_lower_block_sumILi64ElPK19rocblas_complex_numIdEPS1_S1_EviT1_lS5_lT2_lT0_lPT3_i.uses_flat_scratch, 0
	.set _ZL36rocblas_hemvn_kernel_lower_block_sumILi64ElPK19rocblas_complex_numIdEPS1_S1_EviT1_lS5_lT2_lT0_lPT3_i.has_dyn_sized_stack, 0
	.set _ZL36rocblas_hemvn_kernel_lower_block_sumILi64ElPK19rocblas_complex_numIdEPS1_S1_EviT1_lS5_lT2_lT0_lPT3_i.has_recursion, 0
	.set _ZL36rocblas_hemvn_kernel_lower_block_sumILi64ElPK19rocblas_complex_numIdEPS1_S1_EviT1_lS5_lT2_lT0_lPT3_i.has_indirect_call, 0
	.section	.AMDGPU.csdata,"",@progbits
; Kernel info:
; codeLenInByte = 844
; TotalNumSgprs: 34
; NumVgprs: 12
; NumAgprs: 0
; TotalNumVgprs: 12
; ScratchSize: 0
; MemoryBound: 0
; FloatMode: 240
; IeeeMode: 1
; LDSByteSize: 0 bytes/workgroup (compile time only)
; SGPRBlocks: 4
; VGPRBlocks: 1
; NumSGPRsForWavesPerEU: 34
; NumVGPRsForWavesPerEU: 12
; AccumOffset: 12
; Occupancy: 8
; WaveLimiterHint : 0
; COMPUTE_PGM_RSRC2:SCRATCH_EN: 0
; COMPUTE_PGM_RSRC2:USER_SGPR: 2
; COMPUTE_PGM_RSRC2:TRAP_HANDLER: 0
; COMPUTE_PGM_RSRC2:TGID_X_EN: 1
; COMPUTE_PGM_RSRC2:TGID_Y_EN: 0
; COMPUTE_PGM_RSRC2:TGID_Z_EN: 1
; COMPUTE_PGM_RSRC2:TIDIG_COMP_CNT: 0
; COMPUTE_PGM_RSRC3_GFX90A:ACCUM_OFFSET: 2
; COMPUTE_PGM_RSRC3_GFX90A:TG_SPLIT: 0
	.section	.text._ZL26rocblas_hemvn_kernel_lowerILb1ELi64ELi4ELi33ELi32ELi16EiPK19rocblas_complex_numIdES3_PS1_EviT6_lT7_lT5_lS6_lS7_lS5_lT8_i,"axG",@progbits,_ZL26rocblas_hemvn_kernel_lowerILb1ELi64ELi4ELi33ELi32ELi16EiPK19rocblas_complex_numIdES3_PS1_EviT6_lT7_lT5_lS6_lS7_lS5_lT8_i,comdat
	.globl	_ZL26rocblas_hemvn_kernel_lowerILb1ELi64ELi4ELi33ELi32ELi16EiPK19rocblas_complex_numIdES3_PS1_EviT6_lT7_lT5_lS6_lS7_lS5_lT8_i ; -- Begin function _ZL26rocblas_hemvn_kernel_lowerILb1ELi64ELi4ELi33ELi32ELi16EiPK19rocblas_complex_numIdES3_PS1_EviT6_lT7_lT5_lS6_lS7_lS5_lT8_i
	.p2align	8
	.type	_ZL26rocblas_hemvn_kernel_lowerILb1ELi64ELi4ELi33ELi32ELi16EiPK19rocblas_complex_numIdES3_PS1_EviT6_lT7_lT5_lS6_lS7_lS5_lT8_i,@function
_ZL26rocblas_hemvn_kernel_lowerILb1ELi64ELi4ELi33ELi32ELi16EiPK19rocblas_complex_numIdES3_PS1_EviT6_lT7_lT5_lS6_lS7_lS5_lT8_i: ; @_ZL26rocblas_hemvn_kernel_lowerILb1ELi64ELi4ELi33ELi32ELi16EiPK19rocblas_complex_numIdES3_PS1_EviT6_lT7_lT5_lS6_lS7_lS5_lT8_i
; %bb.0:
	s_load_dwordx2 s[4:5], s[0:1], 0x84
	s_add_u32 s12, s0, 0x78
	s_addc_u32 s13, s1, 0
	s_waitcnt lgkmcnt(0)
	s_lshr_b32 s6, s4, 16
	s_and_b32 s4, s4, 0xffff
	s_and_b32 s5, s5, 0xffff
	s_mul_i32 s4, s6, s4
	s_mul_i32 s4, s4, s5
	s_cmpk_lg_i32 s4, 0x100
	s_cbranch_scc1 .LBB26_151
; %bb.1:
	s_load_dwordx8 s[4:11], s[0:1], 0x8
	s_waitcnt lgkmcnt(0)
	s_mul_i32 s7, s7, s3
	s_mul_hi_u32 s14, s6, s3
	s_mul_i32 s6, s6, s3
	s_add_i32 s7, s14, s7
	s_lshl_b64 s[6:7], s[6:7], 4
	s_add_u32 s14, s4, s6
	s_addc_u32 s15, s5, s7
	s_load_dwordx4 s[4:7], s[14:15], 0x0
	s_load_dwordx8 s[16:23], s[0:1], 0x50
	s_waitcnt lgkmcnt(0)
	v_cmp_neq_f64_e64 s[4:5], s[4:5], 0
	v_cmp_neq_f64_e64 s[6:7], s[6:7], 0
	s_or_b64 s[4:5], s[4:5], s[6:7]
	s_mov_b64 s[6:7], -1
	s_and_b64 vcc, exec, s[4:5]
	s_cbranch_vccnz .LBB26_3
; %bb.2:
	s_mul_i32 s6, s21, s3
	s_mul_hi_u32 s7, s20, s3
	s_add_i32 s7, s7, s6
	s_mul_i32 s6, s20, s3
	s_lshl_b64 s[6:7], s[6:7], 4
	s_add_u32 s6, s18, s6
	s_addc_u32 s7, s19, s7
	s_load_dwordx4 s[24:27], s[6:7], 0x0
	s_waitcnt lgkmcnt(0)
	v_cmp_neq_f64_e64 s[6:7], s[24:25], 1.0
	v_cmp_neq_f64_e64 s[14:15], s[26:27], 0
	s_or_b64 s[6:7], s[6:7], s[14:15]
.LBB26_3:
	s_andn2_b64 vcc, exec, s[6:7]
	s_cbranch_vccnz .LBB26_151
; %bb.4:
	s_andn2_b64 vcc, exec, s[4:5]
	s_cbranch_vccnz .LBB26_151
; %bb.5:
	s_load_dword s39, s[12:13], 0x0
	s_load_dword s38, s[0:1], 0x0
	s_load_dwordx4 s[4:7], s[0:1], 0x30
	s_load_dwordx2 s[14:15], s[0:1], 0x40
	s_load_dword s33, s[0:1], 0x48
	s_mul_i32 s12, s17, s3
	s_mul_hi_u32 s13, s16, s3
	s_add_i32 s13, s13, s12
	s_mul_i32 s12, s16, s3
	s_lshl_b64 s[12:13], s[12:13], 4
	s_waitcnt lgkmcnt(0)
	s_add_u32 s12, s6, s12
	s_addc_u32 s13, s7, s13
	s_lshl_b64 s[6:7], s[14:15], 4
	s_add_u32 s6, s12, s6
	s_addc_u32 s7, s13, s7
	s_ashr_i32 s40, s38, 31
	s_lshr_b32 s13, s40, 26
	v_and_b32_e32 v150, 0x3ff, v0
	s_lshl_b32 s24, s2, 6
	s_add_i32 s13, s38, s13
	s_andn2_b32 s13, s13, 63
	v_add_u32_e32 v148, s24, v150
	v_bfe_u32 v149, v0, 10, 10
	s_add_i32 s12, s39, -1
	s_sub_i32 s13, s38, s13
	v_mul_lo_u32 v0, s33, v148
	s_cmp_eq_u32 s2, s12
	v_ashrrev_i32_e32 v1, 31, v0
	s_cselect_b32 s20, s13, 0
	v_lshl_add_u64 v[36:37], v[0:1], 4, s[6:7]
	v_cmp_ne_u32_e64 s[16:17], 0, v149
	v_cmp_eq_u32_e64 s[18:19], 0, v149
	s_and_saveexec_b64 s[6:7], s[18:19]
	s_cbranch_execz .LBB26_10
; %bb.6:
	s_cmp_lg_u32 s20, 0
	s_cselect_b64 s[12:13], -1, 0
	v_cmp_le_i32_e32 vcc, s20, v150
	v_mov_b32_e32 v0, 0x4700
	s_and_b64 s[12:13], s[12:13], vcc
	v_lshl_add_u32 v0, v150, 4, v0
	s_and_saveexec_b64 s[14:15], s[12:13]
	s_xor_b64 s[12:13], exec, s[14:15]
; %bb.7:
	v_mov_b32_e32 v2, 0
	v_mov_b32_e32 v3, v2
	;; [unrolled: 1-line block ×4, first 2 shown]
	ds_write_b128 v0, v[2:5]
                                        ; implicit-def: $vgpr0
; %bb.8:
	s_andn2_saveexec_b64 s[12:13], s[12:13]
	s_cbranch_execz .LBB26_10
; %bb.9:
	global_load_dwordx4 v[2:5], v[36:37], off
	s_waitcnt vmcnt(0)
	ds_write2_b64 v0, v[2:3], v[4:5] offset1:1
.LBB26_10:
	s_or_b64 exec, exec, s[6:7]
	s_mul_i32 s5, s5, s3
	s_mul_hi_u32 s6, s4, s3
	s_add_i32 s5, s6, s5
	s_mul_i32 s4, s4, s3
	s_lshl_b64 s[4:5], s[4:5], 4
	s_add_u32 s6, s8, s4
	s_load_dword s26, s[0:1], 0x28
	s_addc_u32 s7, s9, s5
	s_lshl_b64 s[4:5], s[10:11], 4
	s_add_u32 s4, s6, s4
	s_addc_u32 s5, s7, s5
	s_ashr_i32 s25, s24, 31
	v_lshl_add_u32 v42, v149, 6, v150
	s_lshl_b64 s[0:1], s[24:25], 4
	v_and_b32_e32 v10, 31, v150
	v_lshrrev_b32_e32 v11, 5, v42
	s_add_u32 s0, s4, s0
	s_waitcnt lgkmcnt(0)
	s_mul_i32 s28, s26, s24
	s_addc_u32 s1, s5, s1
	v_mad_u64_u32 v[38:39], s[4:5], s26, v11, v[10:11]
	s_ashr_i32 s29, s28, 31
	v_ashrrev_i32_e32 v39, 31, v38
	s_cmp_lg_u32 s20, 0
	v_lshl_add_u64 v[0:1], v[38:39], 4, s[0:1]
	s_cselect_b64 s[30:31], -1, 0
	s_cmp_eq_u32 s20, 0
	v_lshl_add_u64 v[4:5], s[28:29], 4, v[0:1]
	s_cselect_b64 s[34:35], -1, 0
	s_mov_b64 s[0:1], -1
	s_and_b64 vcc, exec, s[30:31]
	s_cbranch_vccnz .LBB26_12
; %bb.11:
	s_lshl_b32 s0, s26, 3
	s_ashr_i32 s1, s0, 31
	s_ashr_i32 s27, s26, 31
	v_lshl_add_u64 v[16:17], s[0:1], 4, v[4:5]
	s_lshl_b64 s[0:1], s[26:27], 7
	global_load_dwordx4 v[0:3], v[4:5], off
	v_lshl_add_u64 v[18:19], v[16:17], 0, s[0:1]
	global_load_dwordx4 v[6:9], v[16:17], off
	global_load_dwordx4 v[12:15], v[18:19], off
	v_lshl_add_u64 v[16:17], v[18:19], 0, s[0:1]
	global_load_dwordx4 v[16:19], v[16:17], off
	v_mul_u32_u24_e32 v20, 0x210, v11
	v_lshl_add_u32 v20, v10, 4, v20
	s_mov_b64 s[0:1], 0
	v_add_u32_e32 v21, 0x1080, v20
	v_add_u32_e32 v22, 0x2100, v20
	;; [unrolled: 1-line block ×3, first 2 shown]
	s_waitcnt vmcnt(3)
	ds_write2_b64 v20, v[0:1], v[2:3] offset1:1
	s_waitcnt vmcnt(2)
	ds_write2_b64 v21, v[6:7], v[8:9] offset1:1
	;; [unrolled: 2-line block ×4, first 2 shown]
.LBB26_12:
	s_andn2_b64 vcc, exec, s[0:1]
	v_lshlrev_b32_e32 v8, 4, v10
	s_cbranch_vccnz .LBB26_30
; %bb.13:
	v_sub_co_u32_e32 v0, vcc, v4, v8
	s_ashr_i32 s21, s20, 31
	s_nop 0
	v_subbrev_co_u32_e32 v1, vcc, 0, v5, vcc
	v_lshl_add_u64 v[0:1], s[20:21], 4, v[0:1]
	v_lshl_add_u64 v[0:1], v[0:1], 0, -16
	v_cmp_gt_i32_e32 vcc, s20, v10
	s_movk_i32 s4, 0x210
	v_cmp_le_i32_e64 s[0:1], s20, v11
	v_cndmask_b32_e32 v1, v1, v5, vcc
	v_cndmask_b32_e32 v0, v0, v4, vcc
	v_mad_u32_u24 v2, v11, s4, v8
	s_and_saveexec_b64 s[4:5], s[0:1]
	s_xor_b64 s[0:1], exec, s[4:5]
; %bb.14:
	v_mov_b32_e32 v12, 0
	v_mov_b32_e32 v13, v12
	;; [unrolled: 1-line block ×4, first 2 shown]
	ds_write_b128 v2, v[12:15]
                                        ; implicit-def: $vgpr2
; %bb.15:
	s_andn2_saveexec_b64 s[0:1], s[0:1]
	s_cbranch_execz .LBB26_17
; %bb.16:
	global_load_dwordx4 v[12:15], v[0:1], off
	s_waitcnt vmcnt(0)
	ds_write2_b64 v2, v[12:13], v[14:15] offset1:1
.LBB26_17:
	s_or_b64 exec, exec, s[0:1]
	v_add_u32_e32 v3, 8, v11
	v_mul_u32_u24_e32 v2, 0x210, v11
	v_cmp_le_i32_e64 s[0:1], s20, v3
	s_and_saveexec_b64 s[4:5], s[0:1]
	s_xor_b64 s[0:1], exec, s[4:5]
	s_cbranch_execz .LBB26_19
; %bb.18:
	v_mov_b32_e32 v12, 0
	v_add_u32_e32 v3, v2, v8
	v_mov_b32_e32 v13, v12
	v_mov_b32_e32 v14, v12
	;; [unrolled: 1-line block ×3, first 2 shown]
	ds_write_b128 v3, v[12:15] offset:4224
.LBB26_19:
	s_andn2_saveexec_b64 s[0:1], s[0:1]
	s_cbranch_execz .LBB26_21
; %bb.20:
	s_lshl_b32 s4, s26, 3
	s_ashr_i32 s5, s4, 31
	v_lshl_add_u64 v[6:7], s[4:5], 4, v[0:1]
	global_load_dwordx4 v[12:15], v[6:7], off
	s_movk_i32 s4, 0x1080
	v_add3_u32 v3, v2, v8, s4
	s_waitcnt vmcnt(0)
	ds_write2_b64 v3, v[12:13], v[14:15] offset1:1
.LBB26_21:
	s_or_b64 exec, exec, s[0:1]
	v_add_u32_e32 v3, 16, v11
	v_cmp_le_i32_e64 s[0:1], s20, v3
	s_and_saveexec_b64 s[4:5], s[0:1]
	s_xor_b64 s[0:1], exec, s[4:5]
	s_cbranch_execz .LBB26_23
; %bb.22:
	v_mov_b32_e32 v12, 0
	v_add_u32_e32 v3, v2, v8
	v_mov_b32_e32 v13, v12
	v_mov_b32_e32 v14, v12
	;; [unrolled: 1-line block ×3, first 2 shown]
	ds_write_b128 v3, v[12:15] offset:8448
.LBB26_23:
	s_andn2_saveexec_b64 s[0:1], s[0:1]
	s_cbranch_execz .LBB26_25
; %bb.24:
	s_lshl_b32 s4, s26, 4
	s_ashr_i32 s5, s4, 31
	v_lshl_add_u64 v[6:7], s[4:5], 4, v[0:1]
	global_load_dwordx4 v[12:15], v[6:7], off
	s_movk_i32 s4, 0x2100
	v_add3_u32 v3, v2, v8, s4
	s_waitcnt vmcnt(0)
	ds_write2_b64 v3, v[12:13], v[14:15] offset1:1
.LBB26_25:
	s_or_b64 exec, exec, s[0:1]
	v_add_u32_e32 v3, 24, v11
	v_cmp_le_i32_e64 s[0:1], s20, v3
	s_and_saveexec_b64 s[4:5], s[0:1]
	s_xor_b64 s[0:1], exec, s[4:5]
	s_cbranch_execz .LBB26_27
; %bb.26:
	v_mov_b32_e32 v12, 0
	v_add_u32_e32 v2, v2, v8
	v_mov_b32_e32 v13, v12
	v_mov_b32_e32 v14, v12
	;; [unrolled: 1-line block ×3, first 2 shown]
	ds_write_b128 v2, v[12:15] offset:12672
                                        ; implicit-def: $vgpr2
.LBB26_27:
	s_andn2_saveexec_b64 s[0:1], s[0:1]
	s_cbranch_execz .LBB26_29
; %bb.28:
	s_mul_i32 s4, s26, 24
	s_ashr_i32 s5, s4, 31
	v_lshl_add_u64 v[6:7], s[4:5], 4, v[0:1]
	global_load_dwordx4 v[12:15], v[6:7], off
	s_movk_i32 s4, 0x3180
	v_add3_u32 v2, v2, v8, s4
	s_waitcnt vmcnt(0)
	ds_write2_b64 v2, v[12:13], v[14:15] offset1:1
.LBB26_29:
	s_or_b64 exec, exec, s[0:1]
	v_mov_b32_e32 v9, 0
	v_lshl_add_u64 v[0:1], v[0:1], 0, v[8:9]
	s_lshl_b64 s[0:1], s[20:21], 4
	v_mov_b32_e32 v2, s1
	v_subrev_co_u32_e64 v0, s[0:1], s0, v0
	s_nop 1
	v_subb_co_u32_e64 v1, s[0:1], v1, v2, s[0:1]
	v_lshl_add_u64 v[0:1], v[0:1], 0, 16
	v_cndmask_b32_e32 v5, v1, v5, vcc
	v_cndmask_b32_e32 v4, v0, v4, vcc
.LBB26_30:
	v_lshlrev_b32_e32 v14, 2, v11
	v_mul_u32_u24_e32 v15, 0x210, v10
	v_cmp_ge_u32_e64 s[6:7], v14, v10
	s_mov_b64 s[0:1], 0
	s_waitcnt lgkmcnt(0)
	s_barrier
                                        ; implicit-def: $vgpr7
	s_and_saveexec_b64 s[4:5], s[6:7]
	s_xor_b64 s[4:5], exec, s[4:5]
	s_cbranch_execz .LBB26_34
; %bb.31:
	v_cmp_eq_u32_e32 vcc, v14, v10
                                        ; implicit-def: $vgpr7
	s_and_saveexec_b64 s[8:9], vcc
	s_xor_b64 s[8:9], exec, s[8:9]
; %bb.32:
	s_mov_b64 s[0:1], exec
	v_add_u32_e32 v7, v8, v15
; %bb.33:
	s_or_b64 exec, exec, s[8:9]
	s_and_b64 s[0:1], s[0:1], exec
.LBB26_34:
	s_or_saveexec_b64 s[4:5], s[4:5]
	v_lshl_or_b32 v6, v10, 9, v8
	v_mov_b64_e32 v[2:3], 0
	s_xor_b64 exec, exec, s[4:5]
	s_cbranch_execz .LBB26_36
; %bb.35:
	s_movk_i32 s8, 0x840
	v_mad_u32_u24 v0, v11, s8, v8
	ds_read_b128 v[0:3], v0
	v_lshl_add_u32 v7, v14, 4, v6
	s_or_b64 s[0:1], s[0:1], exec
	s_waitcnt lgkmcnt(0)
	v_xor_b32_e32 v3, 0x80000000, v3
	ds_write_b64 v7, v[0:1]
.LBB26_36:
	s_or_b64 exec, exec, s[4:5]
	s_and_saveexec_b64 s[4:5], s[0:1]
; %bb.37:
	ds_write_b64 v7, v[2:3] offset:8
; %bb.38:
	s_or_b64 exec, exec, s[4:5]
	v_or_b32_e32 v16, 1, v14
	v_cmp_ge_u32_e64 s[8:9], v16, v10
	s_mov_b64 s[0:1], 0
                                        ; implicit-def: $vgpr7
	s_and_saveexec_b64 s[4:5], s[8:9]
	s_xor_b64 s[4:5], exec, s[4:5]
	s_cbranch_execnz .LBB26_100
; %bb.39:
	s_or_saveexec_b64 s[4:5], s[4:5]
	v_mov_b64_e32 v[2:3], 0
	s_xor_b64 exec, exec, s[4:5]
	s_cbranch_execnz .LBB26_103
.LBB26_40:
	s_or_b64 exec, exec, s[4:5]
	s_and_saveexec_b64 s[4:5], s[0:1]
.LBB26_41:
	ds_write_b64 v7, v[2:3] offset:8
.LBB26_42:
	s_or_b64 exec, exec, s[4:5]
	v_or_b32_e32 v17, 2, v14
	v_cmp_ge_u32_e64 s[10:11], v17, v10
	s_mov_b64 s[0:1], 0
                                        ; implicit-def: $vgpr7
	s_and_saveexec_b64 s[4:5], s[10:11]
	s_xor_b64 s[4:5], exec, s[4:5]
	s_cbranch_execnz .LBB26_104
; %bb.43:
	s_or_saveexec_b64 s[4:5], s[4:5]
	v_mov_b64_e32 v[2:3], 0
	s_xor_b64 exec, exec, s[4:5]
	s_cbranch_execnz .LBB26_107
.LBB26_44:
	s_or_b64 exec, exec, s[4:5]
	s_and_saveexec_b64 s[4:5], s[0:1]
.LBB26_45:
	ds_write_b64 v7, v[2:3] offset:8
.LBB26_46:
	s_or_b64 exec, exec, s[4:5]
	v_or_b32_e32 v18, 3, v14
	v_cmp_ge_u32_e64 s[12:13], v18, v10
	s_mov_b64 s[0:1], 0
                                        ; implicit-def: $vgpr7
	s_and_saveexec_b64 s[4:5], s[12:13]
	s_xor_b64 s[4:5], exec, s[4:5]
	s_cbranch_execnz .LBB26_108
; %bb.47:
	s_or_saveexec_b64 s[4:5], s[4:5]
	v_mov_b64_e32 v[2:3], 0
	s_xor_b64 exec, exec, s[4:5]
	s_cbranch_execnz .LBB26_111
.LBB26_48:
	s_or_b64 exec, exec, s[4:5]
	s_and_saveexec_b64 s[4:5], s[0:1]
.LBB26_49:
	ds_write_b64 v7, v[2:3] offset:8
.LBB26_50:
	s_or_b64 exec, exec, s[4:5]
	s_movk_i32 s0, 0x840
	v_lshlrev_b32_e32 v6, 4, v14
	s_waitcnt lgkmcnt(0)
	s_barrier
	v_mad_u32_u24 v7, v11, s0, v8
	ds_read_b128 v[0:3], v6 offset:18176
	ds_read_b128 v[20:23], v7
	ds_read_b128 v[24:27], v6 offset:18192
	ds_read_b128 v[28:31], v6 offset:18208
	s_movk_i32 s0, 0x210
	v_mad_u32_u24 v7, v16, s0, v8
	s_waitcnt lgkmcnt(2)
	v_mul_f64 v[12:13], v[2:3], v[22:23]
	v_mul_f64 v[40:41], v[0:1], v[22:23]
	v_fma_f64 v[12:13], v[0:1], v[20:21], -v[12:13]
	v_fmac_f64_e32 v[40:41], v[2:3], v[20:21]
	ds_read_b128 v[20:23], v6 offset:18224
	ds_read_b128 v[32:35], v7
	v_add_f64 v[2:3], v[12:13], 0
	v_add_f64 v[12:13], v[40:41], 0
	ds_read_b128 v[44:47], v7 offset:528
	v_mov_b64_e32 v[0:1], 0
	s_waitcnt lgkmcnt(1)
	v_mul_f64 v[40:41], v[26:27], v[34:35]
	v_fma_f64 v[40:41], v[24:25], v[32:33], -v[40:41]
	v_mul_f64 v[24:25], v[24:25], v[34:35]
	v_fmac_f64_e32 v[24:25], v[26:27], v[32:33]
	v_add_f64 v[12:13], v[12:13], v[24:25]
	ds_read_b128 v[24:27], v7 offset:1056
	s_waitcnt lgkmcnt(1)
	v_mul_f64 v[32:33], v[30:31], v[46:47]
	v_fma_f64 v[32:33], v[28:29], v[44:45], -v[32:33]
	v_mul_f64 v[28:29], v[28:29], v[46:47]
	v_fmac_f64_e32 v[28:29], v[30:31], v[44:45]
	v_add_f64 v[2:3], v[2:3], v[40:41]
	v_add_f64 v[12:13], v[12:13], v[28:29]
	s_waitcnt lgkmcnt(0)
	v_mul_f64 v[28:29], v[22:23], v[26:27]
	v_add_f64 v[2:3], v[2:3], v[32:33]
	v_fma_f64 v[28:29], v[20:21], v[24:25], -v[28:29]
	v_mul_f64 v[26:27], v[20:21], v[26:27]
	v_add_f64 v[20:21], v[2:3], v[28:29]
	v_mul_u32_u24_e32 v2, 33, v10
	v_fmac_f64_e32 v[26:27], v[22:23], v[24:25]
	v_lshlrev_b32_e32 v43, 4, v2
	v_add_f64 v[22:23], v[12:13], v[26:27]
	v_lshl_add_u32 v44, v11, 4, v43
	v_cmp_gt_u32_e64 s[4:5], 32, v42
	v_mov_b64_e32 v[2:3], 0
	s_barrier
	ds_write_b128 v44, v[20:23]
	s_waitcnt lgkmcnt(0)
	s_barrier
	s_and_saveexec_b64 s[0:1], s[4:5]
	s_cbranch_execz .LBB26_52
; %bb.51:
	ds_read_b128 v[0:3], v43
	ds_read_b128 v[20:23], v43 offset:16
	ds_read_b128 v[24:27], v43 offset:32
	;; [unrolled: 1-line block ×3, first 2 shown]
	s_waitcnt lgkmcnt(2)
	v_add_f64 v[0:1], v[20:21], v[0:1]
	v_add_f64 v[12:13], v[22:23], v[2:3]
	s_waitcnt lgkmcnt(1)
	v_add_f64 v[20:21], v[0:1], v[24:25]
	ds_read_b128 v[0:3], v43 offset:64
	v_add_f64 v[12:13], v[12:13], v[26:27]
	s_waitcnt lgkmcnt(1)
	v_add_f64 v[24:25], v[20:21], v[28:29]
	ds_read_b128 v[20:23], v43 offset:80
	;; [unrolled: 4-line block ×3, first 2 shown]
	v_add_f64 v[12:13], v[12:13], v[2:3]
	ds_read_b128 v[0:3], v43 offset:112
	s_waitcnt lgkmcnt(2)
	v_add_f64 v[20:21], v[28:29], v[20:21]
	v_add_f64 v[12:13], v[12:13], v[22:23]
	s_waitcnt lgkmcnt(1)
	v_add_f64 v[20:21], v[20:21], v[24:25]
	v_add_f64 v[12:13], v[12:13], v[26:27]
	;; [unrolled: 3-line block ×3, first 2 shown]
.LBB26_52:
	s_or_b64 exec, exec, s[0:1]
	s_lshl_b32 s36, s26, 5
	s_ashr_i32 s37, s36, 31
	v_lshl_add_u64 v[4:5], s[36:37], 4, v[4:5]
	s_mov_b64 s[0:1], 0x200
	v_cndmask_b32_e64 v7, 0, 1, s[34:35]
	v_lshl_add_u64 v[12:13], v[4:5], 0, s[0:1]
	v_cmp_ne_u32_e64 s[14:15], 1, v7
	s_andn2_b64 vcc, exec, s[34:35]
	s_mov_b64 s[0:1], -1
	s_barrier
	s_cbranch_vccnz .LBB26_54
; %bb.53:
	s_lshl_b32 s0, s26, 3
	s_ashr_i32 s1, s0, 31
	s_ashr_i32 s27, s26, 31
	v_lshl_add_u64 v[32:33], s[0:1], 4, v[4:5]
	s_lshl_b64 s[0:1], s[26:27], 7
	global_load_dwordx4 v[20:23], v[12:13], off
	v_lshl_add_u64 v[34:35], v[32:33], 0, s[0:1]
	global_load_dwordx4 v[24:27], v[32:33], off offset:512
	global_load_dwordx4 v[28:31], v[34:35], off offset:512
	v_lshl_add_u64 v[32:33], v[34:35], 0, s[0:1]
	global_load_dwordx4 v[32:35], v[32:33], off offset:512
	s_movk_i32 s0, 0x210
	v_mad_u32_u24 v7, v11, s0, v8
	s_mov_b64 s[0:1], 0
	v_add_u32_e32 v9, 0x1080, v7
	v_add_u32_e32 v19, 0x2100, v7
	;; [unrolled: 1-line block ×3, first 2 shown]
	s_waitcnt vmcnt(3)
	ds_write2_b64 v7, v[20:21], v[22:23] offset1:1
	s_waitcnt vmcnt(2)
	ds_write2_b64 v9, v[24:25], v[26:27] offset1:1
	s_waitcnt vmcnt(1)
	ds_write2_b64 v19, v[28:29], v[30:31] offset1:1
	s_waitcnt vmcnt(0)
	ds_write2_b64 v40, v[32:33], v[34:35] offset1:1
.LBB26_54:
	s_andn2_b64 vcc, exec, s[0:1]
	s_cbranch_vccnz .LBB26_72
; %bb.55:
	v_sub_co_u32_e32 v4, vcc, v4, v8
	s_ashr_i32 s21, s20, 31
	s_nop 0
	v_subbrev_co_u32_e32 v5, vcc, 0, v5, vcc
	v_or_b32_e32 v7, 32, v10
	v_lshl_add_u64 v[4:5], s[20:21], 4, v[4:5]
	v_lshl_add_u64 v[4:5], v[4:5], 0, -16
	v_cmp_gt_i32_e32 vcc, s20, v7
	s_sub_i32 s25, s20, 32
	s_movk_i32 s27, 0x210
	v_cndmask_b32_e32 v5, v5, v13, vcc
	v_cndmask_b32_e32 v4, v4, v12, vcc
	v_cmp_le_i32_e64 s[0:1], s25, v11
	v_mad_u32_u24 v7, v11, s27, v8
	s_and_saveexec_b64 s[34:35], s[0:1]
	s_xor_b64 s[0:1], exec, s[34:35]
; %bb.56:
	v_mov_b32_e32 v20, 0
	v_mov_b32_e32 v21, v20
	;; [unrolled: 1-line block ×4, first 2 shown]
	ds_write_b128 v7, v[20:23]
                                        ; implicit-def: $vgpr7
; %bb.57:
	s_andn2_saveexec_b64 s[0:1], s[0:1]
	s_cbranch_execz .LBB26_59
; %bb.58:
	global_load_dwordx4 v[20:23], v[4:5], off
	s_waitcnt vmcnt(0)
	ds_write2_b64 v7, v[20:21], v[22:23] offset1:1
.LBB26_59:
	s_or_b64 exec, exec, s[0:1]
	v_add_u32_e32 v9, 8, v11
	v_mul_u32_u24_e32 v7, 0x210, v11
	v_cmp_le_i32_e64 s[0:1], s25, v9
	s_and_saveexec_b64 s[34:35], s[0:1]
	s_xor_b64 s[0:1], exec, s[34:35]
	s_cbranch_execz .LBB26_61
; %bb.60:
	v_mov_b32_e32 v20, 0
	v_add_u32_e32 v9, v7, v8
	v_mov_b32_e32 v21, v20
	v_mov_b32_e32 v22, v20
	;; [unrolled: 1-line block ×3, first 2 shown]
	ds_write_b128 v9, v[20:23] offset:4224
.LBB26_61:
	s_andn2_saveexec_b64 s[0:1], s[0:1]
	s_cbranch_execz .LBB26_63
; %bb.62:
	s_lshl_b32 s34, s26, 3
	s_ashr_i32 s35, s34, 31
	v_lshl_add_u64 v[20:21], s[34:35], 4, v[4:5]
	global_load_dwordx4 v[20:23], v[20:21], off
	s_movk_i32 s27, 0x1080
	v_add3_u32 v9, v7, v8, s27
	s_waitcnt vmcnt(0)
	ds_write2_b64 v9, v[20:21], v[22:23] offset1:1
.LBB26_63:
	s_or_b64 exec, exec, s[0:1]
	v_add_u32_e32 v9, 16, v11
	v_cmp_le_i32_e64 s[0:1], s25, v9
	s_and_saveexec_b64 s[34:35], s[0:1]
	s_xor_b64 s[0:1], exec, s[34:35]
	s_cbranch_execz .LBB26_65
; %bb.64:
	v_mov_b32_e32 v20, 0
	v_add_u32_e32 v9, v7, v8
	v_mov_b32_e32 v21, v20
	v_mov_b32_e32 v22, v20
	;; [unrolled: 1-line block ×3, first 2 shown]
	ds_write_b128 v9, v[20:23] offset:8448
.LBB26_65:
	s_andn2_saveexec_b64 s[0:1], s[0:1]
	s_cbranch_execz .LBB26_67
; %bb.66:
	s_lshl_b32 s34, s26, 4
	s_ashr_i32 s35, s34, 31
	v_lshl_add_u64 v[20:21], s[34:35], 4, v[4:5]
	global_load_dwordx4 v[20:23], v[20:21], off
	s_movk_i32 s27, 0x2100
	v_add3_u32 v9, v7, v8, s27
	s_waitcnt vmcnt(0)
	ds_write2_b64 v9, v[20:21], v[22:23] offset1:1
.LBB26_67:
	s_or_b64 exec, exec, s[0:1]
	v_add_u32_e32 v9, 24, v11
	v_cmp_le_i32_e64 s[0:1], s25, v9
	s_and_saveexec_b64 s[34:35], s[0:1]
	s_xor_b64 s[0:1], exec, s[34:35]
	s_cbranch_execz .LBB26_69
; %bb.68:
	v_mov_b32_e32 v20, 0
	v_add_u32_e32 v7, v7, v8
	v_mov_b32_e32 v21, v20
	v_mov_b32_e32 v22, v20
	;; [unrolled: 1-line block ×3, first 2 shown]
	ds_write_b128 v7, v[20:23] offset:12672
                                        ; implicit-def: $vgpr7
.LBB26_69:
	s_andn2_saveexec_b64 s[0:1], s[0:1]
	s_cbranch_execz .LBB26_71
; %bb.70:
	s_mul_i32 s34, s26, 24
	s_ashr_i32 s35, s34, 31
	v_lshl_add_u64 v[20:21], s[34:35], 4, v[4:5]
	global_load_dwordx4 v[20:23], v[20:21], off
	s_movk_i32 s25, 0x3180
	v_add3_u32 v7, v7, v8, s25
	s_waitcnt vmcnt(0)
	ds_write2_b64 v7, v[20:21], v[22:23] offset1:1
.LBB26_71:
	s_or_b64 exec, exec, s[0:1]
	v_mov_b32_e32 v9, 0
	v_lshl_add_u64 v[4:5], v[4:5], 0, v[8:9]
	s_lshl_b64 s[0:1], s[20:21], 4
	v_mov_b32_e32 v7, s1
	v_subrev_co_u32_e64 v4, s[0:1], s0, v4
	s_nop 1
	v_subb_co_u32_e64 v5, s[0:1], v5, v7, s[0:1]
	s_mov_b64 s[0:1], 0x210
	s_nop 0
	v_lshl_add_u64 v[4:5], v[4:5], 0, s[0:1]
	v_cndmask_b32_e32 v13, v5, v13, vcc
	v_cndmask_b32_e32 v12, v4, v12, vcc
.LBB26_72:
	v_mul_u32_u24_e32 v4, 0x840, v11
	v_add_u32_e32 v45, 0x4700, v6
	v_mul_u32_u24_e32 v19, 0x210, v16
	s_mov_b64 s[0:1], 0
	s_waitcnt lgkmcnt(0)
	s_barrier
                                        ; implicit-def: $vgpr20
	s_and_saveexec_b64 s[34:35], s[6:7]
	s_xor_b64 s[6:7], exec, s[34:35]
	s_cbranch_execz .LBB26_76
; %bb.73:
	v_cmp_eq_u32_e32 vcc, v14, v10
                                        ; implicit-def: $vgpr20
	s_and_saveexec_b64 s[34:35], vcc
	s_xor_b64 s[34:35], exec, s[34:35]
; %bb.74:
	s_mov_b64 s[0:1], exec
	v_add_u32_e32 v20, v8, v15
; %bb.75:
	s_or_b64 exec, exec, s[34:35]
	s_and_b64 s[0:1], s[0:1], exec
.LBB26_76:
	s_or_saveexec_b64 s[6:7], s[6:7]
	v_mov_b64_e32 v[6:7], 0
	v_add_u32_e32 v9, v8, v4
	s_xor_b64 exec, exec, s[6:7]
	s_cbranch_execz .LBB26_78
; %bb.77:
	ds_read_b128 v[4:7], v9
	v_lshl_add_u32 v20, v14, 4, v43
	s_or_b64 s[0:1], s[0:1], exec
	s_waitcnt lgkmcnt(0)
	v_xor_b32_e32 v7, 0x80000000, v7
	ds_write_b64 v20, v[4:5]
.LBB26_78:
	s_or_b64 exec, exec, s[6:7]
	s_and_saveexec_b64 s[6:7], s[0:1]
; %bb.79:
	ds_write_b64 v20, v[6:7] offset:8
; %bb.80:
	s_or_b64 exec, exec, s[6:7]
	s_mov_b64 s[0:1], 0
                                        ; implicit-def: $vgpr20
	s_and_saveexec_b64 s[6:7], s[8:9]
	s_xor_b64 s[6:7], exec, s[6:7]
	s_cbranch_execz .LBB26_84
; %bb.81:
	v_cmp_eq_u32_e32 vcc, v16, v10
                                        ; implicit-def: $vgpr20
	s_and_saveexec_b64 s[8:9], vcc
; %bb.82:
	s_mov_b64 s[0:1], exec
	v_add_u32_e32 v20, v8, v15
; %bb.83:
	s_or_b64 exec, exec, s[8:9]
	s_and_b64 s[0:1], s[0:1], exec
.LBB26_84:
	s_or_saveexec_b64 s[6:7], s[6:7]
	v_mov_b64_e32 v[6:7], 0
	v_add_u32_e32 v16, v8, v19
	s_xor_b64 exec, exec, s[6:7]
	s_cbranch_execz .LBB26_86
; %bb.85:
	ds_read_b128 v[4:7], v16
	v_lshl_add_u32 v19, v14, 4, v43
	v_add_u32_e32 v20, 16, v19
	s_or_b64 s[0:1], s[0:1], exec
	s_waitcnt lgkmcnt(0)
	v_xor_b32_e32 v7, 0x80000000, v7
	ds_write_b64 v19, v[4:5] offset:16
.LBB26_86:
	s_or_b64 exec, exec, s[6:7]
	s_and_saveexec_b64 s[6:7], s[0:1]
; %bb.87:
	ds_write_b64 v20, v[6:7] offset:8
; %bb.88:
	s_or_b64 exec, exec, s[6:7]
	s_mov_b64 s[0:1], 0
                                        ; implicit-def: $vgpr19
	s_and_saveexec_b64 s[6:7], s[10:11]
	s_xor_b64 s[6:7], exec, s[6:7]
	s_cbranch_execnz .LBB26_112
; %bb.89:
	s_or_saveexec_b64 s[6:7], s[6:7]
	v_mov_b64_e32 v[6:7], 0
	s_xor_b64 exec, exec, s[6:7]
	s_cbranch_execnz .LBB26_115
.LBB26_90:
	s_or_b64 exec, exec, s[6:7]
	s_and_saveexec_b64 s[6:7], s[0:1]
.LBB26_91:
	ds_write_b64 v19, v[6:7] offset:8
.LBB26_92:
	s_or_b64 exec, exec, s[6:7]
	s_mov_b64 s[0:1], 0
                                        ; implicit-def: $vgpr17
	s_and_saveexec_b64 s[6:7], s[12:13]
	s_xor_b64 s[6:7], exec, s[6:7]
	s_cbranch_execnz .LBB26_116
; %bb.93:
	s_or_saveexec_b64 s[6:7], s[6:7]
	v_mov_b64_e32 v[6:7], 0
	s_xor_b64 exec, exec, s[6:7]
	s_cbranch_execnz .LBB26_119
.LBB26_94:
	s_or_b64 exec, exec, s[6:7]
	s_and_saveexec_b64 s[6:7], s[0:1]
.LBB26_95:
	ds_write_b64 v17, v[6:7] offset:8
.LBB26_96:
	s_or_b64 exec, exec, s[6:7]
	s_waitcnt lgkmcnt(0)
	s_barrier
	ds_read_b128 v[4:7], v9
	ds_read_b128 v[18:21], v45 offset:512
	ds_read_b128 v[22:25], v45 offset:528
	;; [unrolled: 1-line block ×5, first 2 shown]
	ds_read_b128 v[50:53], v16
	s_waitcnt lgkmcnt(5)
	v_mul_f64 v[34:35], v[20:21], v[6:7]
	v_mul_f64 v[6:7], v[18:19], v[6:7]
	v_fmac_f64_e32 v[6:7], v[20:21], v[4:5]
	v_fma_f64 v[34:35], v[18:19], v[4:5], -v[34:35]
	v_add_f64 v[20:21], v[6:7], 0
	ds_read_b128 v[4:7], v16 offset:528
	s_waitcnt lgkmcnt(1)
	v_mul_f64 v[16:17], v[24:25], v[52:53]
	v_fma_f64 v[16:17], v[22:23], v[50:51], -v[16:17]
	v_mul_f64 v[22:23], v[22:23], v[52:53]
	v_add_f64 v[18:19], v[34:35], 0
	v_fmac_f64_e32 v[22:23], v[24:25], v[50:51]
	v_add_f64 v[16:17], v[18:19], v[16:17]
	v_add_f64 v[18:19], v[20:21], v[22:23]
	s_waitcnt lgkmcnt(0)
	v_mul_f64 v[20:21], v[28:29], v[6:7]
	v_mul_f64 v[6:7], v[26:27], v[6:7]
	v_fma_f64 v[20:21], v[26:27], v[4:5], -v[20:21]
	v_fmac_f64_e32 v[6:7], v[28:29], v[4:5]
	v_add_f64 v[4:5], v[16:17], v[20:21]
	v_add_f64 v[6:7], v[18:19], v[6:7]
	v_mul_f64 v[16:17], v[32:33], v[48:49]
	v_mul_f64 v[18:19], v[30:31], v[48:49]
	v_fma_f64 v[16:17], v[30:31], v[46:47], -v[16:17]
	v_fmac_f64_e32 v[18:19], v[32:33], v[46:47]
	v_add_f64 v[4:5], v[4:5], v[16:17]
	v_add_f64 v[6:7], v[6:7], v[18:19]
	v_cmp_eq_u32_e64 s[6:7], 1, v11
	s_barrier
	ds_write_b128 v44, v[4:7]
	s_waitcnt lgkmcnt(0)
	s_barrier
	s_and_saveexec_b64 s[0:1], s[6:7]
	s_cbranch_execz .LBB26_98
; %bb.97:
	ds_read_b128 v[0:3], v43
	ds_read_b128 v[4:7], v43 offset:16
	ds_read_b128 v[16:19], v43 offset:32
	;; [unrolled: 1-line block ×3, first 2 shown]
	s_waitcnt lgkmcnt(2)
	v_add_f64 v[0:1], v[4:5], v[0:1]
	v_add_f64 v[4:5], v[6:7], v[2:3]
	s_waitcnt lgkmcnt(1)
	v_add_f64 v[6:7], v[0:1], v[16:17]
	ds_read_b128 v[0:3], v43 offset:64
	v_add_f64 v[4:5], v[4:5], v[18:19]
	s_waitcnt lgkmcnt(1)
	v_add_f64 v[16:17], v[6:7], v[20:21]
	v_add_f64 v[20:21], v[4:5], v[22:23]
	ds_read_b128 v[4:7], v43 offset:80
	s_waitcnt lgkmcnt(1)
	v_add_f64 v[22:23], v[16:17], v[0:1]
	ds_read_b128 v[16:19], v43 offset:96
	v_add_f64 v[20:21], v[20:21], v[2:3]
	ds_read_b128 v[0:3], v43 offset:112
	s_waitcnt lgkmcnt(2)
	v_add_f64 v[4:5], v[22:23], v[4:5]
	v_add_f64 v[6:7], v[20:21], v[6:7]
	s_waitcnt lgkmcnt(1)
	v_add_f64 v[4:5], v[4:5], v[16:17]
	v_add_f64 v[6:7], v[6:7], v[18:19]
	;; [unrolled: 3-line block ×3, first 2 shown]
.LBB26_98:
	s_or_b64 exec, exec, s[0:1]
	s_lshl_b64 s[0:1], s[36:37], 4
	v_mov_b32_e32 v4, s1
	v_subrev_co_u32_e64 v40, s[0:1], s0, v12
	s_and_b64 vcc, exec, s[14:15]
	s_nop 0
	v_subb_co_u32_e64 v41, s[0:1], v13, v4, s[0:1]
	s_barrier
	s_cbranch_vccnz .LBB26_120
; %bb.99:
	s_lshl_b32 s0, s26, 3
	s_ashr_i32 s1, s0, 31
	s_ashr_i32 s27, s26, 31
	v_lshl_add_u64 v[4:5], s[0:1], 4, v[40:41]
	s_lshl_b64 s[0:1], s[26:27], 7
	global_load_dwordx4 v[16:19], v[40:41], off
	v_lshl_add_u64 v[6:7], v[4:5], 0, s[0:1]
	global_load_dwordx4 v[20:23], v[4:5], off
	global_load_dwordx4 v[24:27], v[6:7], off
	v_lshl_add_u64 v[4:5], v[6:7], 0, s[0:1]
	global_load_dwordx4 v[28:31], v[4:5], off
	s_movk_i32 s0, 0x210
	v_mov_b32_e32 v4, 0x1080
	v_mov_b32_e32 v9, 0x2100
	;; [unrolled: 1-line block ×3, first 2 shown]
	v_mul_u32_u24_e32 v7, 0x210, v11
	v_add_u32_e32 v6, 8, v11
	v_add_u32_e32 v12, 16, v11
	;; [unrolled: 1-line block ×3, first 2 shown]
	v_mad_u32_u24 v32, v11, s0, v8
	v_mad_u32_u24 v5, v11, s0, v4
	;; [unrolled: 1-line block ×4, first 2 shown]
	v_add_u32_e32 v9, v8, v5
	v_add_u32_e32 v33, v8, v4
	;; [unrolled: 1-line block ×3, first 2 shown]
	s_waitcnt vmcnt(3)
	ds_write2_b64 v32, v[16:17], v[18:19] offset1:1
	s_waitcnt vmcnt(2)
	ds_write2_b64 v9, v[20:21], v[22:23] offset1:1
	s_waitcnt vmcnt(1)
	ds_write2_b64 v33, v[24:25], v[26:27] offset1:1
	s_waitcnt vmcnt(0)
	ds_write2_b64 v34, v[28:29], v[30:31] offset1:1
	s_cbranch_execz .LBB26_121
	s_branch .LBB26_138
.LBB26_100:
	v_cmp_eq_u32_e32 vcc, v16, v10
                                        ; implicit-def: $vgpr7
	s_and_saveexec_b64 s[10:11], vcc
; %bb.101:
	s_mov_b64 s[0:1], exec
	v_add_u32_e32 v7, v8, v15
; %bb.102:
	s_or_b64 exec, exec, s[10:11]
	s_and_b64 s[0:1], s[0:1], exec
	s_or_saveexec_b64 s[4:5], s[4:5]
	v_mov_b64_e32 v[2:3], 0
	s_xor_b64 exec, exec, s[4:5]
	s_cbranch_execz .LBB26_40
.LBB26_103:
	s_movk_i32 s10, 0x210
	v_mad_u32_u24 v0, v16, s10, v8
	ds_read_b128 v[0:3], v0
	v_lshl_add_u32 v9, v14, 4, v6
	v_add_u32_e32 v7, 16, v9
	s_or_b64 s[0:1], s[0:1], exec
	s_waitcnt lgkmcnt(0)
	v_xor_b32_e32 v3, 0x80000000, v3
	ds_write_b64 v9, v[0:1] offset:16
	s_or_b64 exec, exec, s[4:5]
	s_and_saveexec_b64 s[4:5], s[0:1]
	s_cbranch_execnz .LBB26_41
	s_branch .LBB26_42
.LBB26_104:
	v_cmp_eq_u32_e32 vcc, v17, v10
                                        ; implicit-def: $vgpr7
	s_and_saveexec_b64 s[12:13], vcc
; %bb.105:
	s_mov_b64 s[0:1], exec
	v_add_u32_e32 v7, v8, v15
; %bb.106:
	s_or_b64 exec, exec, s[12:13]
	s_and_b64 s[0:1], s[0:1], exec
	s_or_saveexec_b64 s[4:5], s[4:5]
	v_mov_b64_e32 v[2:3], 0
	s_xor_b64 exec, exec, s[4:5]
	s_cbranch_execz .LBB26_44
.LBB26_107:
	s_movk_i32 s12, 0x210
	v_mad_u32_u24 v0, v17, s12, v8
	ds_read_b128 v[0:3], v0
	v_lshl_add_u32 v9, v14, 4, v6
	v_add_u32_e32 v7, 32, v9
	s_or_b64 s[0:1], s[0:1], exec
	s_waitcnt lgkmcnt(0)
	v_xor_b32_e32 v3, 0x80000000, v3
	ds_write_b64 v9, v[0:1] offset:32
	s_or_b64 exec, exec, s[4:5]
	s_and_saveexec_b64 s[4:5], s[0:1]
	s_cbranch_execnz .LBB26_45
	s_branch .LBB26_46
.LBB26_108:
	v_cmp_eq_u32_e32 vcc, v18, v10
                                        ; implicit-def: $vgpr7
	s_and_saveexec_b64 s[14:15], vcc
; %bb.109:
	s_mov_b64 s[0:1], exec
	v_add_u32_e32 v7, v8, v15
; %bb.110:
	s_or_b64 exec, exec, s[14:15]
	s_and_b64 s[0:1], s[0:1], exec
                                        ; implicit-def: $vgpr6
	s_or_saveexec_b64 s[4:5], s[4:5]
	v_mov_b64_e32 v[2:3], 0
	s_xor_b64 exec, exec, s[4:5]
	s_cbranch_execz .LBB26_48
.LBB26_111:
	s_movk_i32 s14, 0x210
	v_mad_u32_u24 v0, v18, s14, v8
	ds_read_b128 v[0:3], v0
	v_lshl_add_u32 v6, v14, 4, v6
	v_add_u32_e32 v7, 48, v6
	s_or_b64 s[0:1], s[0:1], exec
	s_waitcnt lgkmcnt(0)
	v_xor_b32_e32 v3, 0x80000000, v3
	ds_write_b64 v6, v[0:1] offset:48
	s_or_b64 exec, exec, s[4:5]
	s_and_saveexec_b64 s[4:5], s[0:1]
	s_cbranch_execnz .LBB26_49
	s_branch .LBB26_50
.LBB26_112:
	v_cmp_eq_u32_e32 vcc, v17, v10
                                        ; implicit-def: $vgpr19
	s_and_saveexec_b64 s[8:9], vcc
; %bb.113:
	s_mov_b64 s[0:1], exec
	v_add_u32_e32 v19, v8, v15
; %bb.114:
	s_or_b64 exec, exec, s[8:9]
	s_and_b64 s[0:1], s[0:1], exec
	s_or_saveexec_b64 s[6:7], s[6:7]
	v_mov_b64_e32 v[6:7], 0
	s_xor_b64 exec, exec, s[6:7]
	s_cbranch_execz .LBB26_90
.LBB26_115:
	ds_read_b128 v[4:7], v16 offset:528
	v_lshl_add_u32 v17, v14, 4, v43
	v_add_u32_e32 v19, 32, v17
	s_or_b64 s[0:1], s[0:1], exec
	s_waitcnt lgkmcnt(0)
	v_xor_b32_e32 v7, 0x80000000, v7
	ds_write_b64 v17, v[4:5] offset:32
	s_or_b64 exec, exec, s[6:7]
	s_and_saveexec_b64 s[6:7], s[0:1]
	s_cbranch_execnz .LBB26_91
	s_branch .LBB26_92
.LBB26_116:
	v_cmp_eq_u32_e32 vcc, v18, v10
                                        ; implicit-def: $vgpr17
	s_and_saveexec_b64 s[8:9], vcc
; %bb.117:
	s_mov_b64 s[0:1], exec
	v_add_u32_e32 v17, v8, v15
; %bb.118:
	s_or_b64 exec, exec, s[8:9]
	s_and_b64 s[0:1], s[0:1], exec
	s_or_saveexec_b64 s[6:7], s[6:7]
	v_mov_b64_e32 v[6:7], 0
	s_xor_b64 exec, exec, s[6:7]
	s_cbranch_execz .LBB26_94
.LBB26_119:
	ds_read_b128 v[4:7], v16 offset:1056
	v_lshl_add_u32 v15, v14, 4, v43
	v_add_u32_e32 v17, 48, v15
	s_or_b64 s[0:1], s[0:1], exec
	s_waitcnt lgkmcnt(0)
	v_xor_b32_e32 v7, 0x80000000, v7
	ds_write_b64 v15, v[4:5] offset:48
	s_or_b64 exec, exec, s[6:7]
	s_and_saveexec_b64 s[6:7], s[0:1]
	s_cbranch_execnz .LBB26_95
	s_branch .LBB26_96
.LBB26_120:
                                        ; implicit-def: $vgpr7
                                        ; implicit-def: $vgpr6
                                        ; implicit-def: $vgpr5
                                        ; implicit-def: $vgpr12
                                        ; implicit-def: $vgpr4
                                        ; implicit-def: $vgpr13
                                        ; implicit-def: $vgpr15
.LBB26_121:
	v_sub_co_u32_e32 v4, vcc, v40, v8
	s_ashr_i32 s21, s20, 31
	s_nop 0
	v_subbrev_co_u32_e32 v5, vcc, 0, v41, vcc
	s_movk_i32 s0, 0xfdf0
	v_or_b32_e32 v6, 32, v10
	v_lshl_add_u64 v[4:5], s[20:21], 4, v[4:5]
	s_mov_b32 s1, -1
	v_lshl_add_u64 v[4:5], v[4:5], 0, s[0:1]
	v_cmp_gt_i32_e32 vcc, s20, v6
	s_movk_i32 s8, 0x210
	v_cmp_le_i32_e64 s[0:1], s20, v11
	v_cndmask_b32_e32 v5, v5, v41, vcc
	v_cndmask_b32_e32 v4, v4, v40, vcc
	v_mad_u32_u24 v6, v11, s8, v8
	s_and_saveexec_b64 s[8:9], s[0:1]
	s_xor_b64 s[0:1], exec, s[8:9]
; %bb.122:
	v_mov_b32_e32 v16, 0
	v_mov_b32_e32 v17, v16
	;; [unrolled: 1-line block ×4, first 2 shown]
	ds_write_b128 v6, v[16:19]
                                        ; implicit-def: $vgpr6
; %bb.123:
	s_andn2_saveexec_b64 s[0:1], s[0:1]
	s_cbranch_execz .LBB26_125
; %bb.124:
	global_load_dwordx4 v[16:19], v[4:5], off
	s_waitcnt vmcnt(0)
	ds_write2_b64 v6, v[16:17], v[18:19] offset1:1
.LBB26_125:
	s_or_b64 exec, exec, s[0:1]
	v_add_u32_e32 v6, 8, v11
	v_mul_u32_u24_e32 v7, 0x210, v11
	v_cmp_le_i32_e64 s[0:1], s20, v6
	s_and_saveexec_b64 s[8:9], s[0:1]
	s_xor_b64 s[0:1], exec, s[8:9]
	s_cbranch_execz .LBB26_127
; %bb.126:
	v_mov_b32_e32 v16, 0
	v_add_u32_e32 v9, v7, v8
	v_mov_b32_e32 v17, v16
	v_mov_b32_e32 v18, v16
	;; [unrolled: 1-line block ×3, first 2 shown]
	ds_write_b128 v9, v[16:19] offset:4224
.LBB26_127:
	s_andn2_saveexec_b64 s[0:1], s[0:1]
	s_cbranch_execz .LBB26_129
; %bb.128:
	s_lshl_b32 s8, s26, 3
	s_ashr_i32 s9, s8, 31
	v_lshl_add_u64 v[12:13], s[8:9], 4, v[4:5]
	global_load_dwordx4 v[16:19], v[12:13], off
	s_movk_i32 s8, 0x1080
	v_add3_u32 v9, v7, v8, s8
	s_waitcnt vmcnt(0)
	ds_write2_b64 v9, v[16:17], v[18:19] offset1:1
.LBB26_129:
	s_or_b64 exec, exec, s[0:1]
	v_add_u32_e32 v12, 16, v11
	v_cmp_le_i32_e64 s[0:1], s20, v12
	s_and_saveexec_b64 s[8:9], s[0:1]
	s_xor_b64 s[0:1], exec, s[8:9]
	s_cbranch_execz .LBB26_131
; %bb.130:
	v_mov_b32_e32 v16, 0
	v_add_u32_e32 v9, v7, v8
	v_mov_b32_e32 v17, v16
	v_mov_b32_e32 v18, v16
	;; [unrolled: 1-line block ×3, first 2 shown]
	ds_write_b128 v9, v[16:19] offset:8448
.LBB26_131:
	s_andn2_saveexec_b64 s[0:1], s[0:1]
	s_cbranch_execz .LBB26_133
; %bb.132:
	s_lshl_b32 s8, s26, 4
	s_ashr_i32 s9, s8, 31
	v_lshl_add_u64 v[16:17], s[8:9], 4, v[4:5]
	global_load_dwordx4 v[16:19], v[16:17], off
	s_movk_i32 s8, 0x2100
	v_add3_u32 v9, v7, v8, s8
	s_waitcnt vmcnt(0)
	ds_write2_b64 v9, v[16:17], v[18:19] offset1:1
.LBB26_133:
	s_or_b64 exec, exec, s[0:1]
	v_add_u32_e32 v13, 24, v11
	v_cmp_le_i32_e64 s[0:1], s20, v13
                                        ; implicit-def: $vgpr15
	s_and_saveexec_b64 s[8:9], s[0:1]
	s_xor_b64 s[0:1], exec, s[8:9]
	s_cbranch_execz .LBB26_135
; %bb.134:
	v_add_u32_e32 v15, 0x3180, v7
	v_mov_b32_e32 v16, 0
	v_add_u32_e32 v9, v8, v15
	v_mov_b32_e32 v17, v16
	v_mov_b32_e32 v18, v16
	;; [unrolled: 1-line block ×3, first 2 shown]
	ds_write_b128 v9, v[16:19]
.LBB26_135:
	s_andn2_saveexec_b64 s[0:1], s[0:1]
	s_cbranch_execz .LBB26_137
; %bb.136:
	s_mul_i32 s8, s26, 24
	s_ashr_i32 s9, s8, 31
	v_lshl_add_u64 v[16:17], s[8:9], 4, v[4:5]
	global_load_dwordx4 v[16:19], v[16:17], off
	v_add_u32_e32 v15, 0x3180, v7
	v_add_u32_e32 v9, v8, v15
	s_waitcnt vmcnt(0)
	ds_write2_b64 v9, v[16:17], v[18:19] offset1:1
.LBB26_137:
	s_or_b64 exec, exec, s[0:1]
	v_mov_b32_e32 v9, 0
	v_lshl_add_u64 v[4:5], v[4:5], 0, v[8:9]
	s_lshl_b64 s[0:1], s[20:21], 4
	v_mov_b32_e32 v9, s1
	v_subrev_co_u32_e64 v4, s[0:1], s0, v4
	s_nop 1
	v_subb_co_u32_e64 v5, s[0:1], v5, v9, s[0:1]
	s_mov_b64 s[0:1], 0x210
	s_nop 0
	v_lshl_add_u64 v[4:5], v[4:5], 0, s[0:1]
	v_cndmask_b32_e32 v41, v5, v41, vcc
	v_cndmask_b32_e32 v40, v4, v40, vcc
	v_add_u32_e32 v5, 0x1080, v7
	v_add_u32_e32 v4, 0x2100, v7
.LBB26_138:
	v_lshlrev_b32_e32 v9, 4, v11
	s_waitcnt lgkmcnt(0)
	s_barrier
	v_add_u32_e32 v7, v8, v7
	ds_read_b128 v[20:23], v9 offset:18176
	ds_read_b128 v[24:27], v7
	v_lshlrev_b32_e32 v6, 4, v6
	v_add_u32_e32 v5, v8, v5
	ds_read_b128 v[46:49], v6 offset:18176
	ds_read_b128 v[50:53], v5
	v_lshlrev_b32_e32 v5, 4, v12
	;; [unrolled: 4-line block ×3, first 2 shown]
	s_waitcnt lgkmcnt(4)
	v_mul_f64 v[6:7], v[22:23], v[26:27]
	v_add_u32_e32 v4, v8, v15
	ds_read_b128 v[62:65], v5 offset:18176
	ds_read2_b64 v[66:69], v4 offset1:1
	v_fma_f64 v[6:7], v[20:21], v[24:25], -v[6:7]
	s_waitcnt lgkmcnt(4)
	v_mul_f64 v[10:11], v[48:49], v[52:53]
	v_add_f64 v[6:7], v[6:7], 0
	v_fma_f64 v[10:11], v[46:47], v[50:51], -v[10:11]
	v_add_f64 v[4:5], v[6:7], v[10:11]
	s_waitcnt lgkmcnt(2)
	v_mul_f64 v[6:7], v[56:57], v[60:61]
	v_fma_f64 v[6:7], v[54:55], v[58:59], -v[6:7]
	v_add_f64 v[4:5], v[4:5], v[6:7]
	s_waitcnt lgkmcnt(0)
	v_mul_f64 v[6:7], v[64:65], v[68:69]
	v_fma_f64 v[6:7], v[62:63], v[66:67], -v[6:7]
	v_add_f64 v[70:71], v[4:5], v[6:7]
	v_lshl_add_u32 v4, v14, 4, v43
	v_mul_f64 v[72:73], v[20:21], v[26:27]
	ds_read_b128 v[28:31], v4
	ds_read_b128 v[16:19], v4 offset:16
	ds_read_b128 v[8:11], v4 offset:32
	;; [unrolled: 1-line block ×3, first 2 shown]
	v_fmac_f64_e32 v[72:73], v[22:23], v[24:25]
	v_mul_f64 v[46:47], v[46:47], v[52:53]
	v_fmac_f64_e32 v[46:47], v[48:49], v[50:51]
	v_add_f64 v[48:49], v[72:73], 0
	ds_read_b128 v[32:35], v45 offset:512
	ds_read_b128 v[24:27], v45 offset:528
	;; [unrolled: 1-line block ×4, first 2 shown]
	v_add_f64 v[46:47], v[48:49], v[46:47]
	v_mul_f64 v[48:49], v[54:55], v[60:61]
	v_fmac_f64_e32 v[48:49], v[56:57], v[58:59]
	v_add_f64 v[46:47], v[46:47], v[48:49]
	v_mul_f64 v[48:49], v[62:63], v[68:69]
	v_fmac_f64_e32 v[48:49], v[64:65], v[66:67]
	v_add_f64 v[72:73], v[46:47], v[48:49]
	s_waitcnt lgkmcnt(0)
	s_barrier
	ds_write_b128 v44, v[70:73]
	s_waitcnt lgkmcnt(0)
	s_barrier
	s_and_saveexec_b64 s[0:1], s[6:7]
	s_cbranch_execz .LBB26_140
; %bb.139:
	ds_read_b128 v[46:49], v43
	ds_read_b128 v[50:53], v43 offset:16
	ds_read_b128 v[54:57], v43 offset:32
	;; [unrolled: 1-line block ×3, first 2 shown]
	s_waitcnt lgkmcnt(3)
	v_add_f64 v[0:1], v[0:1], v[46:47]
	v_add_f64 v[2:3], v[2:3], v[48:49]
	s_waitcnt lgkmcnt(2)
	v_add_f64 v[0:1], v[0:1], v[50:51]
	v_add_f64 v[46:47], v[2:3], v[52:53]
	s_waitcnt lgkmcnt(1)
	v_add_f64 v[48:49], v[0:1], v[54:55]
	ds_read_b128 v[0:3], v43 offset:64
	v_add_f64 v[46:47], v[46:47], v[56:57]
	s_waitcnt lgkmcnt(1)
	v_add_f64 v[50:51], v[48:49], v[58:59]
	v_add_f64 v[54:55], v[46:47], v[60:61]
	ds_read_b128 v[46:49], v43 offset:80
	s_waitcnt lgkmcnt(1)
	v_add_f64 v[56:57], v[50:51], v[0:1]
	ds_read_b128 v[50:53], v43 offset:96
	v_add_f64 v[54:55], v[54:55], v[2:3]
	ds_read_b128 v[0:3], v43 offset:112
	s_waitcnt lgkmcnt(2)
	v_add_f64 v[46:47], v[56:57], v[46:47]
	v_add_f64 v[48:49], v[54:55], v[48:49]
	s_waitcnt lgkmcnt(1)
	v_add_f64 v[46:47], v[46:47], v[50:51]
	v_add_f64 v[48:49], v[48:49], v[52:53]
	;; [unrolled: 3-line block ×3, first 2 shown]
.LBB26_140:
	s_or_b64 exec, exec, s[0:1]
	v_mul_f64 v[46:47], v[30:31], v[34:35]
	v_mul_f64 v[30:31], v[30:31], v[32:33]
	v_fmac_f64_e32 v[46:47], v[28:29], v[32:33]
	v_fma_f64 v[28:29], v[28:29], v[34:35], -v[30:31]
	v_mul_f64 v[32:33], v[18:19], v[26:27]
	v_mul_f64 v[18:19], v[18:19], v[24:25]
	v_add_f64 v[28:29], v[28:29], 0
	v_fmac_f64_e32 v[32:33], v[16:17], v[24:25]
	v_fma_f64 v[16:17], v[16:17], v[26:27], -v[18:19]
	v_mul_f64 v[24:25], v[10:11], v[22:23]
	v_mul_f64 v[10:11], v[10:11], v[20:21]
	v_add_f64 v[30:31], v[46:47], 0
	v_add_f64 v[16:17], v[28:29], v[16:17]
	v_fmac_f64_e32 v[24:25], v[8:9], v[20:21]
	v_fma_f64 v[8:9], v[8:9], v[22:23], -v[10:11]
	v_add_f64 v[18:19], v[30:31], v[32:33]
	v_add_f64 v[8:9], v[16:17], v[8:9]
	v_mul_f64 v[16:17], v[6:7], v[14:15]
	v_mul_f64 v[6:7], v[6:7], v[12:13]
	v_add_f64 v[10:11], v[18:19], v[24:25]
	v_fmac_f64_e32 v[16:17], v[4:5], v[12:13]
	v_fma_f64 v[6:7], v[4:5], v[14:15], -v[6:7]
	v_add_f64 v[4:5], v[10:11], v[16:17]
	v_add_f64 v[6:7], v[8:9], v[6:7]
	s_barrier
	ds_write_b128 v44, v[4:7]
	s_waitcnt lgkmcnt(0)
	s_barrier
	s_and_saveexec_b64 s[0:1], s[4:5]
	s_cbranch_execz .LBB26_142
; %bb.141:
	ds_read_b128 v[4:7], v43
	ds_read_b128 v[8:11], v43 offset:16
	ds_read_b128 v[12:15], v43 offset:32
	;; [unrolled: 1-line block ×3, first 2 shown]
	s_waitcnt lgkmcnt(3)
	v_add_f64 v[0:1], v[0:1], v[4:5]
	v_add_f64 v[2:3], v[2:3], v[6:7]
	s_waitcnt lgkmcnt(2)
	v_add_f64 v[0:1], v[0:1], v[8:9]
	v_add_f64 v[4:5], v[2:3], v[10:11]
	s_waitcnt lgkmcnt(1)
	v_add_f64 v[6:7], v[0:1], v[12:13]
	ds_read_b128 v[0:3], v43 offset:64
	v_add_f64 v[4:5], v[4:5], v[14:15]
	s_waitcnt lgkmcnt(1)
	v_add_f64 v[8:9], v[6:7], v[16:17]
	v_add_f64 v[12:13], v[4:5], v[18:19]
	ds_read_b128 v[4:7], v43 offset:80
	s_waitcnt lgkmcnt(1)
	v_add_f64 v[14:15], v[8:9], v[0:1]
	ds_read_b128 v[8:11], v43 offset:96
	v_add_f64 v[12:13], v[12:13], v[2:3]
	ds_read_b128 v[0:3], v43 offset:112
	s_waitcnt lgkmcnt(2)
	v_add_f64 v[4:5], v[14:15], v[4:5]
	v_add_f64 v[6:7], v[12:13], v[6:7]
	s_waitcnt lgkmcnt(1)
	v_add_f64 v[4:5], v[4:5], v[8:9]
	v_add_f64 v[6:7], v[6:7], v[10:11]
	;; [unrolled: 3-line block ×3, first 2 shown]
.LBB26_142:
	s_or_b64 exec, exec, s[0:1]
	s_mul_hi_u32 s0, s38, s3
	s_mul_i32 s40, s40, s3
	s_add_i32 s0, s0, s40
	s_mul_i32 s3, s38, s3
	s_mul_i32 s0, s0, s39
	s_mul_hi_u32 s1, s3, s39
	s_add_i32 s1, s1, s0
	s_mul_i32 s0, s3, s39
	s_lshl_b64 s[0:1], s[0:1], 4
	s_add_u32 s3, s22, s0
	s_mul_i32 s0, s38, s2
	s_addc_u32 s4, s23, s1
	s_ashr_i32 s1, s0, 31
	s_lshl_b64 s[0:1], s[0:1], 4
	s_add_u32 s6, s3, s0
	v_cmp_le_i32_e32 vcc, s20, v150
	s_addc_u32 s7, s4, s1
	s_and_b64 vcc, s[30:31], vcc
	s_cmp_lt_i32 s2, 1
	v_lshlrev_b32_e32 v156, 4, v150
	s_barrier
	s_cbranch_scc1 .LBB26_149
; %bb.143:
	s_mul_i32 s0, s33, s24
	s_ashr_i32 s1, s0, 31
	s_lshl_b64 s[0:1], s[0:1], 4
	v_mov_b32_e32 v4, s1
	v_subrev_co_u32_e64 v152, s[0:1], s0, v36
	s_ashr_i32 s21, s20, 31
	s_nop 0
	v_subb_co_u32_e64 v153, s[0:1], v37, v4, s[0:1]
	s_lshl_b64 s[0:1], s[28:29], 4
	s_nop 0
	v_mov_b32_e32 v4, s1
	v_subrev_co_u32_e64 v6, s[0:1], s0, v40
	v_lshrrev_b32_e32 v10, 4, v42
	s_nop 0
	v_subb_co_u32_e64 v7, s[0:1], v41, v4, s[0:1]
	v_lshlrev_b64 v[4:5], 4, v[38:39]
	v_sub_co_u32_e64 v4, s[0:1], v6, v4
	v_mul_lo_u32 v6, v149, s26
	s_nop 0
	v_subb_co_u32_e64 v5, s[0:1], v7, v5, s[0:1]
	v_lshl_add_u32 v6, v6, 2, v150
	v_ashrrev_i32_e32 v7, 31, v6
	s_movk_i32 s0, 0xfe00
	v_lshl_add_u64 v[4:5], v[6:7], 4, v[4:5]
	s_mov_b32 s1, -1
	v_lshl_add_u64 v[6:7], v[4:5], 0, s[0:1]
	v_sub_co_u32_e64 v4, s[0:1], v4, v156
	v_and_b32_e32 v11, 15, v150
	s_nop 0
	v_subbrev_co_u32_e64 v5, s[0:1], 0, v5, s[0:1]
	s_movk_i32 s0, 0xfdf0
	v_lshl_add_u64 v[4:5], s[20:21], 4, v[4:5]
	s_mov_b32 s1, -1
	v_lshl_add_u64 v[4:5], v[4:5], 0, s[0:1]
	v_cndmask_b32_e32 v9, v7, v5, vcc
	v_cndmask_b32_e32 v8, v6, v4, vcc
	v_mov_b32_e32 v4, 0x4300
	s_movk_i32 s0, 0x10c0
	v_and_b32_e32 v5, 48, v150
	v_lshl_add_u32 v158, v149, 6, v4
	v_mad_u32_u24 v160, v149, s0, v156
	v_lshlrev_b32_e32 v4, 6, v10
	s_movk_i32 s0, 0x430
	v_lshlrev_b32_e32 v5, 4, v5
	v_mad_u32_u24 v161, v11, s0, v4
	v_mul_i32_i24_e32 v4, 0xffffffd0, v10
	v_mad_u32_u24 v162, v11, s0, v5
	v_or_b32_e32 v5, 0xf0, v156
	s_ashr_i32 s27, s26, 31
	v_mov_b32_e32 v151, 0
	s_lshl_b32 s3, s33, 6
	v_add_u32_e32 v157, 0x4300, v156
	v_add_u32_e32 v159, 0x4700, v156
	v_cmp_gt_u32_e64 s[4:5], 64, v42
	v_mad_u32_u24 v163, v11, s0, v5
	s_lshl_b64 s[0:1], s[26:27], 4
	s_mul_hi_i32 s9, s26, 0xd0
	s_mul_i32 s8, s26, 0xd0
	s_mov_b32 s10, 0
	v_add_u32_e32 v164, v161, v4
	s_branch .LBB26_145
.LBB26_144:                             ;   in Loop: Header=BB26_145 Depth=1
	s_or_b64 exec, exec, s[12:13]
	v_mul_f64 v[132:133], v[6:7], v[34:35]
	v_fma_f64 v[132:133], v[4:5], v[32:33], -v[132:133]
	v_mul_f64 v[4:5], v[4:5], v[34:35]
	v_mul_f64 v[34:35], v[10:11], v[30:31]
	v_add_f64 v[0:1], v[0:1], v[132:133]
	v_fma_f64 v[34:35], v[8:9], v[28:29], -v[34:35]
	v_mul_f64 v[8:9], v[8:9], v[30:31]
	v_mul_f64 v[30:31], v[14:15], v[26:27]
	v_add_f64 v[0:1], v[0:1], v[34:35]
	v_fma_f64 v[30:31], v[12:13], v[24:25], -v[30:31]
	v_mul_f64 v[12:13], v[12:13], v[26:27]
	v_mul_f64 v[26:27], v[18:19], v[22:23]
	v_fmac_f64_e32 v[4:5], v[6:7], v[32:33]
	v_add_f64 v[0:1], v[0:1], v[30:31]
	v_fma_f64 v[26:27], v[16:17], v[20:21], -v[26:27]
	v_add_f64 v[2:3], v[2:3], v[4:5]
	v_mul_f64 v[4:5], v[38:39], v[70:71]
	v_add_f64 v[0:1], v[0:1], v[26:27]
	v_fma_f64 v[4:5], v[36:37], v[68:69], -v[4:5]
	v_add_f64 v[0:1], v[0:1], v[4:5]
	v_mul_f64 v[4:5], v[42:43], v[66:67]
	v_fma_f64 v[4:5], v[40:41], v[64:65], -v[4:5]
	v_add_f64 v[0:1], v[0:1], v[4:5]
	v_mul_f64 v[4:5], v[46:47], v[58:59]
	v_fma_f64 v[4:5], v[44:45], v[56:57], -v[4:5]
	v_add_f64 v[0:1], v[0:1], v[4:5]
	v_mul_f64 v[4:5], v[50:51], v[54:55]
	v_fma_f64 v[4:5], v[48:49], v[52:53], -v[4:5]
	v_add_f64 v[0:1], v[0:1], v[4:5]
	v_mul_f64 v[4:5], v[62:63], v[110:111]
	v_fmac_f64_e32 v[8:9], v[10:11], v[28:29]
	v_fma_f64 v[4:5], v[60:61], v[108:109], -v[4:5]
	v_mul_f64 v[16:17], v[16:17], v[22:23]
	v_add_f64 v[2:3], v[2:3], v[8:9]
	v_fmac_f64_e32 v[12:13], v[14:15], v[24:25]
	v_add_f64 v[0:1], v[0:1], v[4:5]
	v_mul_f64 v[4:5], v[74:75], v[106:107]
	v_add_f64 v[2:3], v[2:3], v[12:13]
	v_fmac_f64_e32 v[16:17], v[18:19], v[20:21]
	v_mul_f64 v[6:7], v[36:37], v[70:71]
	v_fma_f64 v[4:5], v[72:73], v[104:105], -v[4:5]
	v_add_f64 v[2:3], v[2:3], v[16:17]
	v_mul_f64 v[8:9], v[40:41], v[66:67]
	v_fmac_f64_e32 v[6:7], v[38:39], v[68:69]
	v_add_f64 v[0:1], v[0:1], v[4:5]
	v_mul_f64 v[4:5], v[78:79], v[98:99]
	v_mul_f64 v[10:11], v[44:45], v[58:59]
	v_add_f64 v[2:3], v[2:3], v[6:7]
	v_fmac_f64_e32 v[8:9], v[42:43], v[64:65]
	v_fma_f64 v[4:5], v[76:77], v[96:97], -v[4:5]
	v_mul_f64 v[12:13], v[48:49], v[54:55]
	v_add_f64 v[2:3], v[2:3], v[8:9]
	v_fmac_f64_e32 v[10:11], v[46:47], v[56:57]
	v_add_f64 v[0:1], v[0:1], v[4:5]
	v_mul_f64 v[4:5], v[82:83], v[86:87]
	v_add_f64 v[2:3], v[2:3], v[10:11]
	v_fmac_f64_e32 v[12:13], v[50:51], v[52:53]
	v_mul_f64 v[6:7], v[60:61], v[110:111]
	v_fma_f64 v[4:5], v[80:81], v[84:85], -v[4:5]
	v_add_f64 v[2:3], v[2:3], v[12:13]
	v_mul_f64 v[8:9], v[72:73], v[106:107]
	v_add_f64 v[0:1], v[0:1], v[4:5]
	v_fmac_f64_e32 v[6:7], v[62:63], v[108:109]
	v_mul_f64 v[4:5], v[90:91], v[118:119]
	v_mul_f64 v[10:11], v[76:77], v[98:99]
	v_add_f64 v[2:3], v[2:3], v[6:7]
	v_fmac_f64_e32 v[8:9], v[74:75], v[104:105]
	v_fma_f64 v[4:5], v[88:89], v[116:117], -v[4:5]
	v_mul_f64 v[12:13], v[80:81], v[86:87]
	v_add_f64 v[2:3], v[2:3], v[8:9]
	v_fmac_f64_e32 v[10:11], v[78:79], v[96:97]
	v_add_f64 v[0:1], v[0:1], v[4:5]
	v_mul_f64 v[4:5], v[94:95], v[122:123]
	v_add_f64 v[2:3], v[2:3], v[10:11]
	v_fmac_f64_e32 v[12:13], v[82:83], v[84:85]
	v_mul_f64 v[6:7], v[88:89], v[118:119]
	v_fma_f64 v[4:5], v[92:93], v[120:121], -v[4:5]
	v_add_f64 v[2:3], v[2:3], v[12:13]
	v_mul_f64 v[8:9], v[92:93], v[122:123]
	v_add_f64 v[0:1], v[0:1], v[4:5]
	v_mul_f64 v[4:5], v[102:103], v[126:127]
	v_fmac_f64_e32 v[6:7], v[90:91], v[116:117]
	v_fma_f64 v[4:5], v[100:101], v[124:125], -v[4:5]
	v_mul_f64 v[10:11], v[100:101], v[126:127]
	v_fmac_f64_e32 v[8:9], v[94:95], v[120:121]
	v_add_f64 v[2:3], v[2:3], v[6:7]
	v_add_f64 v[0:1], v[0:1], v[4:5]
	v_mul_f64 v[4:5], v[114:115], v[130:131]
	v_mul_f64 v[12:13], v[112:113], v[130:131]
	v_fmac_f64_e32 v[10:11], v[102:103], v[124:125]
	v_add_f64 v[2:3], v[2:3], v[8:9]
	v_fma_f64 v[4:5], v[112:113], v[128:129], -v[4:5]
	v_fmac_f64_e32 v[12:13], v[114:115], v[128:129]
	v_add_f64 v[2:3], v[2:3], v[10:11]
	s_add_i32 s2, s2, -1
	s_add_i32 s10, s10, s3
	v_add_f64 v[0:1], v[0:1], v[4:5]
	v_add_f64 v[2:3], v[2:3], v[12:13]
	v_add_u32_e32 v150, 64, v150
	s_cmp_eq_u32 s2, 0
	v_lshl_add_u64 v[8:9], v[154:155], 0, s[8:9]
	s_barrier
	s_cbranch_scc1 .LBB26_149
.LBB26_145:                             ; =>This Inner Loop Header: Depth=1
	s_and_saveexec_b64 s[12:13], s[18:19]
	s_cbranch_execz .LBB26_147
; %bb.146:                              ;   in Loop: Header=BB26_145 Depth=1
	s_ashr_i32 s11, s10, 31
	v_lshl_add_u64 v[4:5], s[10:11], 4, v[152:153]
	global_load_dwordx4 v[4:7], v[4:5], off
	s_waitcnt vmcnt(0)
	ds_write2_b64 v157, v[4:5], v[6:7] offset1:1
.LBB26_147:                             ;   in Loop: Header=BB26_145 Depth=1
	s_or_b64 exec, exec, s[12:13]
	v_lshl_add_u64 v[12:13], v[8:9], 0, s[0:1]
	s_waitcnt lgkmcnt(0)
	s_barrier
	global_load_dwordx4 v[4:7], v[8:9], off
	v_lshl_add_u64 v[16:17], v[12:13], 0, s[0:1]
	global_load_dwordx4 v[8:11], v[12:13], off
	v_lshl_add_u64 v[40:41], v[16:17], 0, s[0:1]
	;; [unrolled: 2-line block ×3, first 2 shown]
	global_load_dwordx4 v[16:19], v[40:41], off
	ds_read_b128 v[36:39], v159
	ds_read_b128 v[32:35], v158
	ds_read_b128 v[28:31], v158 offset:16
	ds_read_b128 v[24:27], v158 offset:32
	;; [unrolled: 1-line block ×3, first 2 shown]
	s_waitcnt vmcnt(3) lgkmcnt(4)
	v_mul_f64 v[40:41], v[6:7], v[38:39]
	v_mul_f64 v[42:43], v[6:7], v[36:37]
	s_waitcnt vmcnt(2)
	v_mul_f64 v[44:45], v[10:11], v[38:39]
	v_mul_f64 v[46:47], v[10:11], v[36:37]
	v_fmac_f64_e32 v[44:45], v[8:9], v[36:37]
	v_fma_f64 v[46:47], v[8:9], v[38:39], -v[46:47]
	v_fmac_f64_e32 v[40:41], v[4:5], v[36:37]
	v_fma_f64 v[42:43], v[4:5], v[38:39], -v[42:43]
	ds_write_b128 v160, v[44:47] offset:1072
	s_waitcnt vmcnt(0)
	v_mul_f64 v[44:45], v[18:19], v[38:39]
	v_mul_f64 v[46:47], v[18:19], v[36:37]
	ds_write_b128 v160, v[40:43]
	v_mul_f64 v[40:41], v[14:15], v[38:39]
	v_mul_f64 v[42:43], v[14:15], v[36:37]
	v_fmac_f64_e32 v[44:45], v[16:17], v[36:37]
	v_fma_f64 v[46:47], v[16:17], v[38:39], -v[46:47]
	v_fmac_f64_e32 v[40:41], v[12:13], v[36:37]
	v_fma_f64 v[42:43], v[12:13], v[38:39], -v[42:43]
	ds_write_b128 v160, v[44:47] offset:3216
	v_lshl_add_u64 v[44:45], v[48:49], 0, s[0:1]
	ds_write_b128 v160, v[40:43] offset:2144
	s_waitcnt lgkmcnt(0)
	s_barrier
	ds_read_b128 v[128:131], v161
	ds_read_b128 v[124:127], v161 offset:16
	ds_read_b128 v[120:123], v161 offset:32
	ds_read_b128 v[116:119], v161 offset:48
	s_waitcnt lgkmcnt(0)
	s_barrier
	global_load_dwordx4 v[36:39], v[48:49], off
	global_load_dwordx4 v[40:43], v[44:45], off
	v_lshl_add_u64 v[48:49], v[44:45], 0, s[0:1]
	v_lshl_add_u64 v[52:53], v[48:49], 0, s[0:1]
	global_load_dwordx4 v[44:47], v[48:49], off
	v_lshl_add_u64 v[88:89], v[52:53], 0, s[8:9]
	global_load_dwordx4 v[48:51], v[52:53], off
	ds_read_b128 v[60:63], v159
	ds_read_b128 v[68:71], v158 offset:256
	ds_read_b128 v[64:67], v158 offset:272
	;; [unrolled: 1-line block ×4, first 2 shown]
	v_add_f64 v[128:129], v[128:129], 0
	v_add_f64 v[130:131], v[130:131], 0
	;; [unrolled: 1-line block ×8, first 2 shown]
	s_waitcnt vmcnt(3) lgkmcnt(4)
	v_mul_f64 v[72:73], v[38:39], v[62:63]
	v_mul_f64 v[74:75], v[38:39], v[60:61]
	s_waitcnt vmcnt(2)
	v_mul_f64 v[76:77], v[42:43], v[62:63]
	v_mul_f64 v[78:79], v[42:43], v[60:61]
	s_waitcnt vmcnt(1)
	;; [unrolled: 3-line block ×3, first 2 shown]
	v_mul_f64 v[86:87], v[50:51], v[60:61]
	v_mul_f64 v[84:85], v[50:51], v[62:63]
	v_fma_f64 v[74:75], v[36:37], v[62:63], -v[74:75]
	v_fmac_f64_e32 v[72:73], v[36:37], v[60:61]
	v_fmac_f64_e32 v[76:77], v[40:41], v[60:61]
	v_fma_f64 v[78:79], v[40:41], v[62:63], -v[78:79]
	v_fma_f64 v[82:83], v[44:45], v[62:63], -v[82:83]
	;; [unrolled: 1-line block ×3, first 2 shown]
	v_fmac_f64_e32 v[80:81], v[44:45], v[60:61]
	v_fmac_f64_e32 v[84:85], v[48:49], v[60:61]
	ds_write_b128 v160, v[72:75]
	ds_write_b128 v160, v[76:79] offset:1072
	ds_write_b128 v160, v[80:83] offset:2144
	;; [unrolled: 1-line block ×3, first 2 shown]
	v_lshl_add_u64 v[76:77], v[88:89], 0, s[0:1]
	v_lshl_add_u64 v[80:81], v[76:77], 0, s[0:1]
	s_waitcnt lgkmcnt(0)
	s_barrier
	ds_read_b128 v[144:147], v161
	ds_read_b128 v[140:143], v161 offset:16
	ds_read_b128 v[136:139], v161 offset:32
	;; [unrolled: 1-line block ×3, first 2 shown]
	s_waitcnt lgkmcnt(0)
	s_barrier
	global_load_dwordx4 v[60:63], v[88:89], off
	global_load_dwordx4 v[72:75], v[76:77], off
	v_lshl_add_u64 v[84:85], v[80:81], 0, s[0:1]
	global_load_dwordx4 v[76:79], v[80:81], off
	v_lshl_add_u64 v[154:155], v[84:85], 0, s[8:9]
	global_load_dwordx4 v[80:83], v[84:85], off
	ds_read_b128 v[88:91], v159
	ds_read_b128 v[108:111], v158 offset:512
	ds_read_b128 v[104:107], v158 offset:528
	;; [unrolled: 1-line block ×4, first 2 shown]
	v_add_f64 v[116:117], v[144:145], 0
	v_add_f64 v[118:119], v[146:147], 0
	;; [unrolled: 1-line block ×8, first 2 shown]
	s_waitcnt vmcnt(3) lgkmcnt(4)
	v_mul_f64 v[94:95], v[62:63], v[88:89]
	v_mul_f64 v[92:93], v[62:63], v[90:91]
	s_waitcnt vmcnt(2)
	v_mul_f64 v[100:101], v[74:75], v[90:91]
	v_mul_f64 v[102:103], v[74:75], v[88:89]
	s_waitcnt vmcnt(1)
	;; [unrolled: 3-line block ×3, first 2 shown]
	v_mul_f64 v[168:169], v[82:83], v[88:89]
	v_mul_f64 v[166:167], v[82:83], v[90:91]
	v_fma_f64 v[94:95], v[60:61], v[90:91], -v[94:95]
	v_fmac_f64_e32 v[92:93], v[60:61], v[88:89]
	v_fmac_f64_e32 v[100:101], v[72:73], v[88:89]
	v_fma_f64 v[102:103], v[72:73], v[90:91], -v[102:103]
	v_fma_f64 v[114:115], v[76:77], v[90:91], -v[114:115]
	;; [unrolled: 1-line block ×3, first 2 shown]
	v_fmac_f64_e32 v[112:113], v[76:77], v[88:89]
	v_fmac_f64_e32 v[166:167], v[80:81], v[88:89]
	ds_write_b128 v160, v[92:95]
	ds_write_b128 v160, v[100:103] offset:1072
	ds_write_b128 v160, v[112:115] offset:2144
	;; [unrolled: 1-line block ×3, first 2 shown]
	v_lshl_add_u64 v[100:101], v[154:155], 0, s[0:1]
	v_lshl_add_u64 v[112:113], v[100:101], 0, s[0:1]
	s_waitcnt lgkmcnt(0)
	s_barrier
	ds_read_b128 v[166:169], v161
	ds_read_b128 v[170:173], v161 offset:16
	ds_read_b128 v[174:177], v161 offset:32
	;; [unrolled: 1-line block ×3, first 2 shown]
	s_waitcnt lgkmcnt(0)
	s_barrier
	global_load_dwordx4 v[88:91], v[154:155], off
	global_load_dwordx4 v[92:95], v[100:101], off
	v_lshl_add_u64 v[154:155], v[112:113], 0, s[0:1]
	global_load_dwordx4 v[100:103], v[112:113], off
	v_add_f64 v[140:141], v[166:167], 0
	global_load_dwordx4 v[112:115], v[154:155], off
	ds_read_b128 v[136:139], v159
	ds_read_b128 v[116:119], v158 offset:768
	ds_read_b128 v[120:123], v158 offset:784
	ds_read_b128 v[124:127], v158 offset:800
	ds_read_b128 v[128:131], v158 offset:816
	v_add_f64 v[142:143], v[168:169], 0
	v_add_f64 v[140:141], v[140:141], v[170:171]
	v_add_f64 v[142:143], v[142:143], v[172:173]
	v_add_f64 v[140:141], v[140:141], v[174:175]
	v_add_f64 v[142:143], v[142:143], v[176:177]
	v_add_f64 v[140:141], v[140:141], v[178:179]
	v_add_f64 v[142:143], v[142:143], v[180:181]
	s_waitcnt vmcnt(3) lgkmcnt(4)
	v_mul_f64 v[146:147], v[90:91], v[136:137]
	v_mul_f64 v[144:145], v[90:91], v[138:139]
	s_waitcnt vmcnt(2)
	v_mul_f64 v[168:169], v[94:95], v[136:137]
	v_mul_f64 v[166:167], v[94:95], v[138:139]
	s_waitcnt vmcnt(1)
	;; [unrolled: 3-line block ×3, first 2 shown]
	v_mul_f64 v[176:177], v[114:115], v[136:137]
	v_mul_f64 v[174:175], v[114:115], v[138:139]
	v_fma_f64 v[146:147], v[88:89], v[138:139], -v[146:147]
	v_fma_f64 v[168:169], v[92:93], v[138:139], -v[168:169]
	;; [unrolled: 1-line block ×3, first 2 shown]
	v_fmac_f64_e32 v[144:145], v[88:89], v[136:137]
	v_fmac_f64_e32 v[166:167], v[92:93], v[136:137]
	;; [unrolled: 1-line block ×3, first 2 shown]
	v_fma_f64 v[176:177], v[112:113], v[138:139], -v[176:177]
	v_fmac_f64_e32 v[174:175], v[112:113], v[136:137]
	ds_write_b128 v160, v[144:147]
	ds_write_b128 v160, v[166:169] offset:1072
	ds_write_b128 v160, v[170:173] offset:2144
	;; [unrolled: 1-line block ×3, first 2 shown]
	s_waitcnt lgkmcnt(0)
	s_barrier
	ds_read_b128 v[136:139], v161
	ds_read_b128 v[144:147], v161 offset:16
	ds_read_b128 v[166:169], v161 offset:32
	;; [unrolled: 1-line block ×3, first 2 shown]
	s_waitcnt lgkmcnt(0)
	s_barrier
	ds_write_b128 v164, v[182:185]
	ds_write_b128 v164, v[132:135] offset:256
	ds_write_b128 v164, v[140:143] offset:512
	v_add_f64 v[132:133], v[136:137], 0
	v_add_f64 v[134:135], v[138:139], 0
	;; [unrolled: 1-line block ×8, first 2 shown]
	ds_write_b128 v164, v[132:135] offset:768
	s_waitcnt lgkmcnt(0)
	s_barrier
	s_and_saveexec_b64 s[12:13], s[4:5]
	s_cbranch_execz .LBB26_144
; %bb.148:                              ;   in Loop: Header=BB26_145 Depth=1
	ds_read_b128 v[132:135], v162
	ds_read_b128 v[136:139], v162 offset:16
	ds_read_b128 v[140:143], v162 offset:32
	;; [unrolled: 1-line block ×3, first 2 shown]
	s_waitcnt lgkmcnt(2)
	v_add_f64 v[132:133], v[136:137], v[132:133]
	v_add_f64 v[136:137], v[138:139], v[134:135]
	s_waitcnt lgkmcnt(1)
	v_add_f64 v[138:139], v[132:133], v[140:141]
	ds_read_b128 v[132:135], v162 offset:64
	v_add_f64 v[140:141], v[136:137], v[142:143]
	s_waitcnt lgkmcnt(1)
	v_add_f64 v[142:143], v[138:139], v[144:145]
	ds_read_b128 v[136:139], v162 offset:80
	;; [unrolled: 4-line block ×9, first 2 shown]
	v_add_f64 v[134:135], v[144:145], v[134:135]
	s_waitcnt lgkmcnt(1)
	v_add_f64 v[136:137], v[132:133], v[136:137]
	v_add_f64 v[144:145], v[134:135], v[138:139]
	ds_read_b128 v[132:135], v162 offset:208
	s_waitcnt lgkmcnt(1)
	v_add_f64 v[146:147], v[136:137], v[140:141]
	ds_read_b128 v[136:139], v162 offset:224
	v_add_f64 v[144:145], v[144:145], v[142:143]
	ds_read_b128 v[140:143], v163
	s_waitcnt lgkmcnt(2)
	v_add_f64 v[132:133], v[146:147], v[132:133]
	v_add_f64 v[134:135], v[144:145], v[134:135]
	s_waitcnt lgkmcnt(1)
	v_add_f64 v[132:133], v[132:133], v[136:137]
	v_add_f64 v[134:135], v[134:135], v[138:139]
	;; [unrolled: 3-line block ×3, first 2 shown]
	v_lshl_add_u64 v[136:137], v[150:151], 4, s[6:7]
	global_store_dwordx4 v[136:137], v[132:135], off
	s_branch .LBB26_144
.LBB26_149:
	s_movk_i32 s0, 0x430
	v_mad_u32_u24 v4, v149, s0, v156
	s_nor_b64 s[0:1], s[16:17], vcc
	ds_write_b128 v4, v[0:3]
	s_waitcnt lgkmcnt(0)
	s_barrier
	s_and_saveexec_b64 s[2:3], s[0:1]
	s_cbranch_execz .LBB26_151
; %bb.150:
	ds_read_b128 v[0:3], v156 offset:1072
	ds_read_b128 v[4:7], v156
	ds_read_b128 v[8:11], v156 offset:2144
	ds_read_b128 v[12:15], v156 offset:3216
	v_ashrrev_i32_e32 v149, 31, v148
	s_waitcnt lgkmcnt(2)
	v_add_f64 v[0:1], v[0:1], v[4:5]
	v_add_f64 v[2:3], v[2:3], v[6:7]
	s_waitcnt lgkmcnt(1)
	v_add_f64 v[0:1], v[0:1], v[8:9]
	v_add_f64 v[2:3], v[2:3], v[10:11]
	;; [unrolled: 3-line block ×3, first 2 shown]
	v_lshl_add_u64 v[4:5], v[148:149], 4, s[6:7]
	global_store_dwordx4 v[4:5], v[0:3], off
.LBB26_151:
	s_endpgm
	.section	.rodata,"a",@progbits
	.p2align	6, 0x0
	.amdhsa_kernel _ZL26rocblas_hemvn_kernel_lowerILb1ELi64ELi4ELi33ELi32ELi16EiPK19rocblas_complex_numIdES3_PS1_EviT6_lT7_lT5_lS6_lS7_lS5_lT8_i
		.amdhsa_group_segment_fixed_size 19200
		.amdhsa_private_segment_fixed_size 0
		.amdhsa_kernarg_size 376
		.amdhsa_user_sgpr_count 2
		.amdhsa_user_sgpr_dispatch_ptr 0
		.amdhsa_user_sgpr_queue_ptr 0
		.amdhsa_user_sgpr_kernarg_segment_ptr 1
		.amdhsa_user_sgpr_dispatch_id 0
		.amdhsa_user_sgpr_kernarg_preload_length 0
		.amdhsa_user_sgpr_kernarg_preload_offset 0
		.amdhsa_user_sgpr_private_segment_size 0
		.amdhsa_uses_dynamic_stack 0
		.amdhsa_enable_private_segment 0
		.amdhsa_system_sgpr_workgroup_id_x 1
		.amdhsa_system_sgpr_workgroup_id_y 0
		.amdhsa_system_sgpr_workgroup_id_z 1
		.amdhsa_system_sgpr_workgroup_info 0
		.amdhsa_system_vgpr_workitem_id 1
		.amdhsa_next_free_vgpr 186
		.amdhsa_next_free_sgpr 41
		.amdhsa_accum_offset 188
		.amdhsa_reserve_vcc 1
		.amdhsa_float_round_mode_32 0
		.amdhsa_float_round_mode_16_64 0
		.amdhsa_float_denorm_mode_32 3
		.amdhsa_float_denorm_mode_16_64 3
		.amdhsa_dx10_clamp 1
		.amdhsa_ieee_mode 1
		.amdhsa_fp16_overflow 0
		.amdhsa_tg_split 0
		.amdhsa_exception_fp_ieee_invalid_op 0
		.amdhsa_exception_fp_denorm_src 0
		.amdhsa_exception_fp_ieee_div_zero 0
		.amdhsa_exception_fp_ieee_overflow 0
		.amdhsa_exception_fp_ieee_underflow 0
		.amdhsa_exception_fp_ieee_inexact 0
		.amdhsa_exception_int_div_zero 0
	.end_amdhsa_kernel
	.section	.text._ZL26rocblas_hemvn_kernel_lowerILb1ELi64ELi4ELi33ELi32ELi16EiPK19rocblas_complex_numIdES3_PS1_EviT6_lT7_lT5_lS6_lS7_lS5_lT8_i,"axG",@progbits,_ZL26rocblas_hemvn_kernel_lowerILb1ELi64ELi4ELi33ELi32ELi16EiPK19rocblas_complex_numIdES3_PS1_EviT6_lT7_lT5_lS6_lS7_lS5_lT8_i,comdat
.Lfunc_end26:
	.size	_ZL26rocblas_hemvn_kernel_lowerILb1ELi64ELi4ELi33ELi32ELi16EiPK19rocblas_complex_numIdES3_PS1_EviT6_lT7_lT5_lS6_lS7_lS5_lT8_i, .Lfunc_end26-_ZL26rocblas_hemvn_kernel_lowerILb1ELi64ELi4ELi33ELi32ELi16EiPK19rocblas_complex_numIdES3_PS1_EviT6_lT7_lT5_lS6_lS7_lS5_lT8_i
                                        ; -- End function
	.set _ZL26rocblas_hemvn_kernel_lowerILb1ELi64ELi4ELi33ELi32ELi16EiPK19rocblas_complex_numIdES3_PS1_EviT6_lT7_lT5_lS6_lS7_lS5_lT8_i.num_vgpr, 186
	.set _ZL26rocblas_hemvn_kernel_lowerILb1ELi64ELi4ELi33ELi32ELi16EiPK19rocblas_complex_numIdES3_PS1_EviT6_lT7_lT5_lS6_lS7_lS5_lT8_i.num_agpr, 0
	.set _ZL26rocblas_hemvn_kernel_lowerILb1ELi64ELi4ELi33ELi32ELi16EiPK19rocblas_complex_numIdES3_PS1_EviT6_lT7_lT5_lS6_lS7_lS5_lT8_i.numbered_sgpr, 41
	.set _ZL26rocblas_hemvn_kernel_lowerILb1ELi64ELi4ELi33ELi32ELi16EiPK19rocblas_complex_numIdES3_PS1_EviT6_lT7_lT5_lS6_lS7_lS5_lT8_i.num_named_barrier, 0
	.set _ZL26rocblas_hemvn_kernel_lowerILb1ELi64ELi4ELi33ELi32ELi16EiPK19rocblas_complex_numIdES3_PS1_EviT6_lT7_lT5_lS6_lS7_lS5_lT8_i.private_seg_size, 0
	.set _ZL26rocblas_hemvn_kernel_lowerILb1ELi64ELi4ELi33ELi32ELi16EiPK19rocblas_complex_numIdES3_PS1_EviT6_lT7_lT5_lS6_lS7_lS5_lT8_i.uses_vcc, 1
	.set _ZL26rocblas_hemvn_kernel_lowerILb1ELi64ELi4ELi33ELi32ELi16EiPK19rocblas_complex_numIdES3_PS1_EviT6_lT7_lT5_lS6_lS7_lS5_lT8_i.uses_flat_scratch, 0
	.set _ZL26rocblas_hemvn_kernel_lowerILb1ELi64ELi4ELi33ELi32ELi16EiPK19rocblas_complex_numIdES3_PS1_EviT6_lT7_lT5_lS6_lS7_lS5_lT8_i.has_dyn_sized_stack, 0
	.set _ZL26rocblas_hemvn_kernel_lowerILb1ELi64ELi4ELi33ELi32ELi16EiPK19rocblas_complex_numIdES3_PS1_EviT6_lT7_lT5_lS6_lS7_lS5_lT8_i.has_recursion, 0
	.set _ZL26rocblas_hemvn_kernel_lowerILb1ELi64ELi4ELi33ELi32ELi16EiPK19rocblas_complex_numIdES3_PS1_EviT6_lT7_lT5_lS6_lS7_lS5_lT8_i.has_indirect_call, 0
	.section	.AMDGPU.csdata,"",@progbits
; Kernel info:
; codeLenInByte = 9760
; TotalNumSgprs: 47
; NumVgprs: 186
; NumAgprs: 0
; TotalNumVgprs: 186
; ScratchSize: 0
; MemoryBound: 0
; FloatMode: 240
; IeeeMode: 1
; LDSByteSize: 19200 bytes/workgroup (compile time only)
; SGPRBlocks: 5
; VGPRBlocks: 23
; NumSGPRsForWavesPerEU: 47
; NumVGPRsForWavesPerEU: 186
; AccumOffset: 188
; Occupancy: 2
; WaveLimiterHint : 1
; COMPUTE_PGM_RSRC2:SCRATCH_EN: 0
; COMPUTE_PGM_RSRC2:USER_SGPR: 2
; COMPUTE_PGM_RSRC2:TRAP_HANDLER: 0
; COMPUTE_PGM_RSRC2:TGID_X_EN: 1
; COMPUTE_PGM_RSRC2:TGID_Y_EN: 0
; COMPUTE_PGM_RSRC2:TGID_Z_EN: 1
; COMPUTE_PGM_RSRC2:TIDIG_COMP_CNT: 1
; COMPUTE_PGM_RSRC3_GFX90A:ACCUM_OFFSET: 46
; COMPUTE_PGM_RSRC3_GFX90A:TG_SPLIT: 0
	.section	.text._ZL36rocblas_hemvn_kernel_lower_block_sumILi64EiPK19rocblas_complex_numIdEPS1_S1_EviT1_lS5_lT2_lT0_lPT3_i,"axG",@progbits,_ZL36rocblas_hemvn_kernel_lower_block_sumILi64EiPK19rocblas_complex_numIdEPS1_S1_EviT1_lS5_lT2_lT0_lPT3_i,comdat
	.globl	_ZL36rocblas_hemvn_kernel_lower_block_sumILi64EiPK19rocblas_complex_numIdEPS1_S1_EviT1_lS5_lT2_lT0_lPT3_i ; -- Begin function _ZL36rocblas_hemvn_kernel_lower_block_sumILi64EiPK19rocblas_complex_numIdEPS1_S1_EviT1_lS5_lT2_lT0_lPT3_i
	.p2align	8
	.type	_ZL36rocblas_hemvn_kernel_lower_block_sumILi64EiPK19rocblas_complex_numIdEPS1_S1_EviT1_lS5_lT2_lT0_lPT3_i,@function
_ZL36rocblas_hemvn_kernel_lower_block_sumILi64EiPK19rocblas_complex_numIdEPS1_S1_EviT1_lS5_lT2_lT0_lPT3_i: ; @_ZL36rocblas_hemvn_kernel_lower_block_sumILi64EiPK19rocblas_complex_numIdEPS1_S1_EviT1_lS5_lT2_lT0_lPT3_i
; %bb.0:
	s_load_dwordx8 s[4:11], s[0:1], 0x8
	s_waitcnt lgkmcnt(0)
	s_mul_i32 s7, s7, s3
	s_mul_hi_u32 s12, s6, s3
	s_add_i32 s7, s12, s7
	s_mul_i32 s6, s6, s3
	s_lshl_b64 s[6:7], s[6:7], 4
	s_add_u32 s4, s4, s6
	s_addc_u32 s5, s5, s7
	s_load_dwordx4 s[12:15], s[4:5], 0x0
	s_mul_i32 s4, s11, s3
	s_mul_hi_u32 s5, s10, s3
	s_add_i32 s5, s5, s4
	s_mul_i32 s4, s10, s3
	s_lshl_b64 s[4:5], s[4:5], 4
	s_add_u32 s4, s8, s4
	s_addc_u32 s5, s9, s5
	s_load_dwordx4 s[8:11], s[4:5], 0x0
	s_waitcnt lgkmcnt(0)
	v_cmp_neq_f64_e64 s[4:5], s[12:13], 0
	v_cmp_neq_f64_e64 s[6:7], s[14:15], 0
	s_or_b64 s[4:5], s[4:5], s[6:7]
	s_mov_b64 s[6:7], -1
	s_and_b64 vcc, exec, s[4:5]
	s_cbranch_vccnz .LBB27_2
; %bb.1:
	v_cmp_neq_f64_e64 s[6:7], s[8:9], 1.0
	v_cmp_neq_f64_e64 s[16:17], s[10:11], 0
	s_or_b64 s[6:7], s[6:7], s[16:17]
.LBB27_2:
	s_andn2_b64 vcc, exec, s[6:7]
	s_cbranch_vccnz .LBB27_22
; %bb.3:
	s_load_dwordx2 s[16:17], s[0:1], 0x40
	s_xor_b64 s[20:21], s[4:5], -1
	s_load_dwordx4 s[4:7], s[0:1], 0x28
	s_load_dword s24, s[0:1], 0x38
	s_load_dword s18, s[0:1], 0x0
	v_lshl_or_b32 v8, s2, 6, v0
	s_waitcnt lgkmcnt(0)
	s_mul_i32 s17, s17, s3
	s_mul_hi_u32 s19, s16, s3
	s_add_i32 s17, s19, s17
	s_mul_i32 s16, s16, s3
	s_lshl_b64 s[16:17], s[16:17], 4
	s_add_u32 s16, s4, s16
	s_addc_u32 s17, s5, s17
	s_lshl_b64 s[4:5], s[6:7], 4
	s_add_u32 s6, s16, s4
	s_addc_u32 s7, s17, s5
	s_andn2_b64 vcc, exec, s[20:21]
	v_cmp_gt_i32_e64 s[4:5], s18, v8
	s_cbranch_vccnz .LBB27_8
; %bb.4:
	s_mov_b64 s[20:21], 0
	s_mov_b64 s[16:17], 0
                                        ; implicit-def: $vgpr2_vgpr3
                                        ; implicit-def: $vgpr4_vgpr5
	s_and_saveexec_b64 s[22:23], s[4:5]
	s_cbranch_execz .LBB27_9
; %bb.5:
	v_cmp_neq_f64_e64 s[4:5], s[8:9], 0
	v_cmp_neq_f64_e64 s[16:17], s[10:11], 0
	v_mul_lo_u32 v4, s24, v8
	s_or_b64 s[4:5], s[4:5], s[16:17]
	v_mov_b64_e32 v[2:3], 0
	v_ashrrev_i32_e32 v5, 31, v4
	s_andn2_b64 vcc, exec, s[4:5]
	v_mov_b64_e32 v[0:1], 0
	s_cbranch_vccnz .LBB27_7
; %bb.6:
	v_lshl_add_u64 v[0:1], v[4:5], 4, s[6:7]
	global_load_dwordx4 v[10:13], v[0:1], off
	s_waitcnt vmcnt(0)
	v_mul_f64 v[0:1], s[10:11], v[12:13]
	v_mul_f64 v[2:3], s[8:9], v[12:13]
	v_fma_f64 v[0:1], s[8:9], v[10:11], -v[0:1]
	v_fmac_f64_e32 v[2:3], s[10:11], v[10:11]
.LBB27_7:
	s_mov_b64 s[16:17], exec
	s_or_b64 exec, exec, s[22:23]
	s_and_b64 vcc, exec, s[20:21]
	s_cbranch_vccnz .LBB27_10
	s_branch .LBB27_20
.LBB27_8:
	s_mov_b64 s[16:17], 0
                                        ; implicit-def: $vgpr2_vgpr3
                                        ; implicit-def: $vgpr4_vgpr5
	s_cbranch_execnz .LBB27_10
	s_branch .LBB27_20
.LBB27_9:
	s_or_b64 exec, exec, s[22:23]
	s_and_b64 vcc, exec, s[20:21]
	s_cbranch_vccz .LBB27_20
.LBB27_10:
	v_cmp_gt_i32_e32 vcc, s18, v8
                                        ; implicit-def: $vgpr2_vgpr3
                                        ; implicit-def: $vgpr4_vgpr5
	s_and_saveexec_b64 s[4:5], vcc
	s_cbranch_execz .LBB27_19
; %bb.11:
	s_load_dword s20, s[0:1], 0x58
	v_mov_b64_e32 v[0:1], 0
	v_mov_b64_e32 v[6:7], 0
	s_waitcnt lgkmcnt(0)
	s_cmp_ge_i32 s2, s20
	s_cbranch_scc1 .LBB27_14
; %bb.12:
	s_ashr_i32 s19, s18, 31
	s_mul_i32 s21, s18, s2
	s_load_dwordx2 s[0:1], s[0:1], 0x48
	v_add_u32_e32 v0, s21, v8
	s_mul_hi_u32 s21, s18, s3
	s_mul_i32 s22, s19, s3
	s_add_i32 s21, s21, s22
	s_mul_i32 s3, s18, s3
	s_mul_i32 s21, s21, s20
	s_mul_hi_u32 s22, s3, s20
	s_add_i32 s23, s22, s21
	s_mul_i32 s22, s3, s20
	s_lshl_b64 s[22:23], s[22:23], 4
	s_waitcnt lgkmcnt(0)
	s_add_u32 s0, s0, s22
	v_ashrrev_i32_e32 v1, 31, v0
	s_addc_u32 s1, s1, s23
	v_lshl_add_u64 v[0:1], v[0:1], 4, s[0:1]
	v_lshl_add_u64 v[2:3], v[0:1], 0, 8
	s_lshl_b64 s[0:1], s[18:19], 4
	v_mov_b64_e32 v[0:1], 0
	v_mov_b64_e32 v[6:7], 0
.LBB27_13:                              ; =>This Inner Loop Header: Depth=1
	global_load_dwordx4 v[10:13], v[2:3], off offset:-8
	s_add_i32 s2, s2, 1
	v_lshl_add_u64 v[2:3], v[2:3], 0, s[0:1]
	s_cmp_ge_i32 s2, s20
	s_waitcnt vmcnt(0)
	v_add_f64 v[6:7], v[6:7], v[10:11]
	v_add_f64 v[0:1], v[0:1], v[12:13]
	s_cbranch_scc0 .LBB27_13
.LBB27_14:
	v_cmp_neq_f64_e64 s[2:3], s[8:9], 0
	v_cmp_neq_f64_e64 s[18:19], s[10:11], 0
	s_or_b64 s[2:3], s[2:3], s[18:19]
	v_mul_f64 v[10:11], s[14:15], v[0:1]
	v_mul_f64 v[2:3], s[12:13], v[0:1]
	v_mul_lo_u32 v4, s24, v8
	s_mov_b64 s[0:1], 0
	s_andn2_b64 vcc, exec, s[2:3]
	v_fma_f64 v[0:1], s[12:13], v[6:7], -v[10:11]
	v_fmac_f64_e32 v[2:3], s[14:15], v[6:7]
	v_ashrrev_i32_e32 v5, 31, v4
	s_cbranch_vccnz .LBB27_16
; %bb.15:
	s_mov_b64 s[0:1], -1
.LBB27_16:
	s_andn2_b64 vcc, exec, s[0:1]
	s_cbranch_vccnz .LBB27_18
; %bb.17:
	v_lshl_add_u64 v[6:7], v[4:5], 4, s[6:7]
	global_load_dwordx4 v[6:9], v[6:7], off
	s_waitcnt vmcnt(0)
	v_mul_f64 v[10:11], s[10:11], v[8:9]
	v_mul_f64 v[8:9], s[8:9], v[8:9]
	v_fma_f64 v[10:11], s[8:9], v[6:7], -v[10:11]
	v_fmac_f64_e32 v[8:9], s[10:11], v[6:7]
	v_add_f64 v[0:1], v[0:1], v[10:11]
	v_add_f64 v[2:3], v[2:3], v[8:9]
.LBB27_18:
	s_or_b64 s[16:17], s[16:17], exec
.LBB27_19:
	s_or_b64 exec, exec, s[4:5]
.LBB27_20:
	s_and_saveexec_b64 s[0:1], s[16:17]
	s_cbranch_execz .LBB27_22
; %bb.21:
	v_lshl_add_u64 v[4:5], v[4:5], 4, s[6:7]
	global_store_dwordx4 v[4:5], v[0:3], off
.LBB27_22:
	s_endpgm
	.section	.rodata,"a",@progbits
	.p2align	6, 0x0
	.amdhsa_kernel _ZL36rocblas_hemvn_kernel_lower_block_sumILi64EiPK19rocblas_complex_numIdEPS1_S1_EviT1_lS5_lT2_lT0_lPT3_i
		.amdhsa_group_segment_fixed_size 0
		.amdhsa_private_segment_fixed_size 0
		.amdhsa_kernarg_size 344
		.amdhsa_user_sgpr_count 2
		.amdhsa_user_sgpr_dispatch_ptr 0
		.amdhsa_user_sgpr_queue_ptr 0
		.amdhsa_user_sgpr_kernarg_segment_ptr 1
		.amdhsa_user_sgpr_dispatch_id 0
		.amdhsa_user_sgpr_kernarg_preload_length 0
		.amdhsa_user_sgpr_kernarg_preload_offset 0
		.amdhsa_user_sgpr_private_segment_size 0
		.amdhsa_uses_dynamic_stack 0
		.amdhsa_enable_private_segment 0
		.amdhsa_system_sgpr_workgroup_id_x 1
		.amdhsa_system_sgpr_workgroup_id_y 0
		.amdhsa_system_sgpr_workgroup_id_z 1
		.amdhsa_system_sgpr_workgroup_info 0
		.amdhsa_system_vgpr_workitem_id 0
		.amdhsa_next_free_vgpr 14
		.amdhsa_next_free_sgpr 25
		.amdhsa_accum_offset 16
		.amdhsa_reserve_vcc 1
		.amdhsa_float_round_mode_32 0
		.amdhsa_float_round_mode_16_64 0
		.amdhsa_float_denorm_mode_32 3
		.amdhsa_float_denorm_mode_16_64 3
		.amdhsa_dx10_clamp 1
		.amdhsa_ieee_mode 1
		.amdhsa_fp16_overflow 0
		.amdhsa_tg_split 0
		.amdhsa_exception_fp_ieee_invalid_op 0
		.amdhsa_exception_fp_denorm_src 0
		.amdhsa_exception_fp_ieee_div_zero 0
		.amdhsa_exception_fp_ieee_overflow 0
		.amdhsa_exception_fp_ieee_underflow 0
		.amdhsa_exception_fp_ieee_inexact 0
		.amdhsa_exception_int_div_zero 0
	.end_amdhsa_kernel
	.section	.text._ZL36rocblas_hemvn_kernel_lower_block_sumILi64EiPK19rocblas_complex_numIdEPS1_S1_EviT1_lS5_lT2_lT0_lPT3_i,"axG",@progbits,_ZL36rocblas_hemvn_kernel_lower_block_sumILi64EiPK19rocblas_complex_numIdEPS1_S1_EviT1_lS5_lT2_lT0_lPT3_i,comdat
.Lfunc_end27:
	.size	_ZL36rocblas_hemvn_kernel_lower_block_sumILi64EiPK19rocblas_complex_numIdEPS1_S1_EviT1_lS5_lT2_lT0_lPT3_i, .Lfunc_end27-_ZL36rocblas_hemvn_kernel_lower_block_sumILi64EiPK19rocblas_complex_numIdEPS1_S1_EviT1_lS5_lT2_lT0_lPT3_i
                                        ; -- End function
	.set _ZL36rocblas_hemvn_kernel_lower_block_sumILi64EiPK19rocblas_complex_numIdEPS1_S1_EviT1_lS5_lT2_lT0_lPT3_i.num_vgpr, 14
	.set _ZL36rocblas_hemvn_kernel_lower_block_sumILi64EiPK19rocblas_complex_numIdEPS1_S1_EviT1_lS5_lT2_lT0_lPT3_i.num_agpr, 0
	.set _ZL36rocblas_hemvn_kernel_lower_block_sumILi64EiPK19rocblas_complex_numIdEPS1_S1_EviT1_lS5_lT2_lT0_lPT3_i.numbered_sgpr, 25
	.set _ZL36rocblas_hemvn_kernel_lower_block_sumILi64EiPK19rocblas_complex_numIdEPS1_S1_EviT1_lS5_lT2_lT0_lPT3_i.num_named_barrier, 0
	.set _ZL36rocblas_hemvn_kernel_lower_block_sumILi64EiPK19rocblas_complex_numIdEPS1_S1_EviT1_lS5_lT2_lT0_lPT3_i.private_seg_size, 0
	.set _ZL36rocblas_hemvn_kernel_lower_block_sumILi64EiPK19rocblas_complex_numIdEPS1_S1_EviT1_lS5_lT2_lT0_lPT3_i.uses_vcc, 1
	.set _ZL36rocblas_hemvn_kernel_lower_block_sumILi64EiPK19rocblas_complex_numIdEPS1_S1_EviT1_lS5_lT2_lT0_lPT3_i.uses_flat_scratch, 0
	.set _ZL36rocblas_hemvn_kernel_lower_block_sumILi64EiPK19rocblas_complex_numIdEPS1_S1_EviT1_lS5_lT2_lT0_lPT3_i.has_dyn_sized_stack, 0
	.set _ZL36rocblas_hemvn_kernel_lower_block_sumILi64EiPK19rocblas_complex_numIdEPS1_S1_EviT1_lS5_lT2_lT0_lPT3_i.has_recursion, 0
	.set _ZL36rocblas_hemvn_kernel_lower_block_sumILi64EiPK19rocblas_complex_numIdEPS1_S1_EviT1_lS5_lT2_lT0_lPT3_i.has_indirect_call, 0
	.section	.AMDGPU.csdata,"",@progbits
; Kernel info:
; codeLenInByte = 780
; TotalNumSgprs: 31
; NumVgprs: 14
; NumAgprs: 0
; TotalNumVgprs: 14
; ScratchSize: 0
; MemoryBound: 0
; FloatMode: 240
; IeeeMode: 1
; LDSByteSize: 0 bytes/workgroup (compile time only)
; SGPRBlocks: 3
; VGPRBlocks: 1
; NumSGPRsForWavesPerEU: 31
; NumVGPRsForWavesPerEU: 14
; AccumOffset: 16
; Occupancy: 8
; WaveLimiterHint : 0
; COMPUTE_PGM_RSRC2:SCRATCH_EN: 0
; COMPUTE_PGM_RSRC2:USER_SGPR: 2
; COMPUTE_PGM_RSRC2:TRAP_HANDLER: 0
; COMPUTE_PGM_RSRC2:TGID_X_EN: 1
; COMPUTE_PGM_RSRC2:TGID_Y_EN: 0
; COMPUTE_PGM_RSRC2:TGID_Z_EN: 1
; COMPUTE_PGM_RSRC2:TIDIG_COMP_CNT: 0
; COMPUTE_PGM_RSRC3_GFX90A:ACCUM_OFFSET: 3
; COMPUTE_PGM_RSRC3_GFX90A:TG_SPLIT: 0
	.section	.text._ZL26rocblas_hemvn_kernel_lowerILb1ELi64ELi4ELi33ELi32ELi16El19rocblas_complex_numIdEPKS1_PS1_EviT6_lT7_lT5_lS6_lS7_lS5_lT8_i,"axG",@progbits,_ZL26rocblas_hemvn_kernel_lowerILb1ELi64ELi4ELi33ELi32ELi16El19rocblas_complex_numIdEPKS1_PS1_EviT6_lT7_lT5_lS6_lS7_lS5_lT8_i,comdat
	.globl	_ZL26rocblas_hemvn_kernel_lowerILb1ELi64ELi4ELi33ELi32ELi16El19rocblas_complex_numIdEPKS1_PS1_EviT6_lT7_lT5_lS6_lS7_lS5_lT8_i ; -- Begin function _ZL26rocblas_hemvn_kernel_lowerILb1ELi64ELi4ELi33ELi32ELi16El19rocblas_complex_numIdEPKS1_PS1_EviT6_lT7_lT5_lS6_lS7_lS5_lT8_i
	.p2align	8
	.type	_ZL26rocblas_hemvn_kernel_lowerILb1ELi64ELi4ELi33ELi32ELi16El19rocblas_complex_numIdEPKS1_PS1_EviT6_lT7_lT5_lS6_lS7_lS5_lT8_i,@function
_ZL26rocblas_hemvn_kernel_lowerILb1ELi64ELi4ELi33ELi32ELi16El19rocblas_complex_numIdEPKS1_PS1_EviT6_lT7_lT5_lS6_lS7_lS5_lT8_i: ; @_ZL26rocblas_hemvn_kernel_lowerILb1ELi64ELi4ELi33ELi32ELi16El19rocblas_complex_numIdEPKS1_PS1_EviT6_lT7_lT5_lS6_lS7_lS5_lT8_i
; %bb.0:
	s_load_dwordx2 s[6:7], s[0:1], 0x94
	s_add_u32 s4, s0, 0x88
	s_addc_u32 s5, s1, 0
	s_waitcnt lgkmcnt(0)
	s_lshr_b32 s8, s6, 16
	s_and_b32 s6, s6, 0xffff
	s_and_b32 s7, s7, 0xffff
	s_mul_i32 s6, s8, s6
	s_mul_i32 s6, s6, s7
	s_cmpk_lg_i32 s6, 0x100
	s_cbranch_scc1 .LBB28_151
; %bb.1:
	s_load_dwordx4 s[8:11], s[0:1], 0x8
	s_waitcnt lgkmcnt(0)
	v_cmp_neq_f64_e64 s[6:7], s[8:9], 0
	v_cmp_neq_f64_e64 s[8:9], s[10:11], 0
	s_or_b64 s[6:7], s[6:7], s[8:9]
	s_mov_b64 s[8:9], -1
	s_and_b64 vcc, exec, s[6:7]
	s_cbranch_vccnz .LBB28_3
; %bb.2:
	s_load_dwordx4 s[8:11], s[0:1], 0x60
	s_waitcnt lgkmcnt(0)
	v_cmp_neq_f64_e64 s[8:9], s[8:9], 1.0
	v_cmp_neq_f64_e64 s[10:11], s[10:11], 0
	s_or_b64 s[8:9], s[8:9], s[10:11]
.LBB28_3:
	s_andn2_b64 vcc, exec, s[8:9]
	s_cbranch_vccnz .LBB28_151
; %bb.4:
	s_andn2_b64 vcc, exec, s[6:7]
	s_cbranch_vccnz .LBB28_151
; %bb.5:
	s_load_dwordx16 s[36:51], s[0:1], 0x20
	s_load_dword s52, s[4:5], 0x0
	s_load_dword s33, s[0:1], 0x0
	v_and_b32_e32 v159, 0x3ff, v0
	v_bfe_u32 v158, v0, 10, 10
	s_waitcnt lgkmcnt(0)
	s_mul_i32 s5, s51, s3
	s_mul_hi_u32 s6, s50, s3
	s_mul_i32 s4, s50, s3
	s_add_i32 s5, s6, s5
	s_lshl_b64 s[4:5], s[4:5], 4
	s_add_u32 s6, s44, s4
	s_addc_u32 s7, s45, s5
	s_lshl_b64 s[4:5], s[46:47], 4
	s_add_u32 s4, s6, s4
	s_addc_u32 s5, s7, s5
	s_ashr_i32 s44, s33, 31
	s_lshr_b32 s7, s44, 26
	s_add_i32 s7, s33, s7
	s_lshl_b32 s24, s2, 6
	s_andn2_b32 s7, s7, 63
	s_add_i32 s6, s52, -1
	s_sub_i32 s7, s33, s7
	v_add_u32_e32 v148, s24, v159
	s_cmp_eq_u32 s2, s6
	v_ashrrev_i32_e32 v149, 31, v148
	s_cselect_b32 s22, s7, 0
	v_mul_lo_u32 v2, s48, v149
	v_mul_lo_u32 v3, s49, v148
	v_mad_u64_u32 v[0:1], s[6:7], s48, v148, 0
	v_add3_u32 v1, v1, v2, v3
	v_lshl_add_u64 v[36:37], v[0:1], 4, s[4:5]
	v_cmp_ne_u32_e64 s[4:5], 0, v158
	v_cmp_eq_u32_e64 s[18:19], 0, v158
	s_and_saveexec_b64 s[6:7], s[18:19]
	s_cbranch_execz .LBB28_10
; %bb.6:
	s_cmp_lg_u32 s22, 0
	s_cselect_b64 s[8:9], -1, 0
	v_cmp_le_i32_e32 vcc, s22, v159
	v_mov_b32_e32 v0, 0x4700
	s_and_b64 s[8:9], s[8:9], vcc
	v_lshl_add_u32 v0, v159, 4, v0
	s_and_saveexec_b64 s[10:11], s[8:9]
	s_xor_b64 s[8:9], exec, s[10:11]
; %bb.7:
	v_mov_b32_e32 v2, 0
	v_mov_b32_e32 v3, v2
	;; [unrolled: 1-line block ×4, first 2 shown]
	ds_write_b128 v0, v[2:5]
                                        ; implicit-def: $vgpr0
; %bb.8:
	s_andn2_saveexec_b64 s[8:9], s[8:9]
	s_cbranch_execz .LBB28_10
; %bb.9:
	global_load_dwordx4 v[2:5], v[36:37], off
	s_waitcnt vmcnt(0)
	ds_write2_b64 v0, v[2:3], v[4:5] offset1:1
.LBB28_10:
	s_or_b64 exec, exec, s[6:7]
	s_mul_i32 s6, s43, s3
	s_mul_hi_u32 s7, s42, s3
	s_add_i32 s7, s7, s6
	s_mul_i32 s6, s42, s3
	s_lshl_b64 s[6:7], s[6:7], 4
	s_add_u32 s8, s36, s6
	s_addc_u32 s9, s37, s7
	s_lshl_b64 s[6:7], s[38:39], 4
	s_add_u32 s8, s8, s6
	s_addc_u32 s9, s9, s7
	s_ashr_i32 s25, s24, 31
	v_lshl_add_u32 v42, v158, 6, v159
	s_lshl_b64 s[6:7], s[24:25], 4
	v_and_b32_e32 v8, 31, v159
	v_lshrrev_b32_e32 v12, 5, v42
	s_add_u32 s6, s8, s6
	v_mov_b32_e32 v9, 0
	s_addc_u32 s7, s9, s7
	v_mad_u64_u32 v[38:39], s[8:9], s40, v12, v[8:9]
	v_mov_b32_e32 v0, v39
	v_mad_u64_u32 v[0:1], s[8:9], s41, v12, v[0:1]
	v_mov_b32_e32 v39, v0
	v_lshl_add_u64 v[0:1], v[38:39], 4, s[6:7]
	s_mul_hi_u32 s6, s40, s24
	s_mul_i32 s7, s40, s25
	s_add_i32 s6, s6, s7
	s_mul_i32 s7, s41, s24
	s_add_i32 s27, s6, s7
	s_cmp_lg_u32 s22, 0
	s_mul_i32 s26, s40, s24
	s_cselect_b64 s[28:29], -1, 0
	s_cmp_eq_u32 s22, 0
	v_lshl_add_u64 v[4:5], s[26:27], 4, v[0:1]
	s_cselect_b64 s[20:21], -1, 0
	s_mov_b64 s[6:7], -1
	s_and_b64 vcc, exec, s[28:29]
	s_cbranch_vccnz .LBB28_12
; %bb.11:
	s_lshl_b64 s[6:7], s[40:41], 7
	v_lshl_add_u64 v[6:7], v[4:5], 0, s[6:7]
	global_load_dwordx4 v[0:3], v[4:5], off
	v_lshl_add_u64 v[10:11], v[6:7], 0, s[6:7]
	global_load_dwordx4 v[14:17], v[6:7], off
	global_load_dwordx4 v[18:21], v[10:11], off
	v_lshl_add_u64 v[6:7], v[10:11], 0, s[6:7]
	global_load_dwordx4 v[22:25], v[6:7], off
	v_mul_u32_u24_e32 v6, 0x210, v12
	v_lshl_add_u32 v6, v8, 4, v6
	s_mov_b64 s[6:7], 0
	v_add_u32_e32 v7, 0x1080, v6
	v_add_u32_e32 v9, 0x2100, v6
	;; [unrolled: 1-line block ×3, first 2 shown]
	s_waitcnt vmcnt(3)
	ds_write2_b64 v6, v[0:1], v[2:3] offset1:1
	s_waitcnt vmcnt(2)
	ds_write2_b64 v7, v[14:15], v[16:17] offset1:1
	;; [unrolled: 2-line block ×4, first 2 shown]
.LBB28_12:
	s_andn2_b64 vcc, exec, s[6:7]
	v_lshlrev_b32_e32 v9, 4, v8
	s_cbranch_vccnz .LBB28_30
; %bb.13:
	v_lshlrev_b32_e32 v0, 4, v8
	v_sub_co_u32_e32 v2, vcc, v4, v0
	s_ashr_i32 s23, s22, 31
	s_nop 0
	v_subbrev_co_u32_e32 v3, vcc, 0, v5, vcc
	v_lshl_add_u64 v[2:3], s[22:23], 4, v[2:3]
	v_lshl_add_u64 v[2:3], v[2:3], 0, -16
	v_cmp_gt_i32_e32 vcc, s22, v8
	s_movk_i32 s8, 0x210
	v_cmp_le_i32_e64 s[6:7], s22, v12
	v_cndmask_b32_e32 v3, v3, v5, vcc
	v_cndmask_b32_e32 v2, v2, v4, vcc
	v_mad_u32_u24 v1, v12, s8, v9
	s_and_saveexec_b64 s[8:9], s[6:7]
	s_xor_b64 s[6:7], exec, s[8:9]
; %bb.14:
	v_mov_b32_e32 v14, 0
	v_mov_b32_e32 v15, v14
	;; [unrolled: 1-line block ×4, first 2 shown]
	ds_write_b128 v1, v[14:17]
                                        ; implicit-def: $vgpr1
; %bb.15:
	s_andn2_saveexec_b64 s[6:7], s[6:7]
	s_cbranch_execz .LBB28_17
; %bb.16:
	global_load_dwordx4 v[14:17], v[2:3], off
	s_waitcnt vmcnt(0)
	ds_write2_b64 v1, v[14:15], v[16:17] offset1:1
.LBB28_17:
	s_or_b64 exec, exec, s[6:7]
	v_add_u32_e32 v6, 8, v12
	v_mul_u32_u24_e32 v1, 0x210, v12
	v_cmp_le_i32_e64 s[6:7], s22, v6
	s_and_saveexec_b64 s[8:9], s[6:7]
	s_xor_b64 s[6:7], exec, s[8:9]
	s_cbranch_execz .LBB28_19
; %bb.18:
	v_mov_b32_e32 v14, 0
	v_add_u32_e32 v6, v1, v9
	v_mov_b32_e32 v15, v14
	v_mov_b32_e32 v16, v14
	;; [unrolled: 1-line block ×3, first 2 shown]
	ds_write_b128 v6, v[14:17] offset:4224
.LBB28_19:
	s_andn2_saveexec_b64 s[6:7], s[6:7]
	s_cbranch_execz .LBB28_21
; %bb.20:
	s_lshl_b64 s[8:9], s[40:41], 7
	v_lshl_add_u64 v[6:7], v[2:3], 0, s[8:9]
	global_load_dwordx4 v[14:17], v[6:7], off
	s_movk_i32 s8, 0x1080
	v_add3_u32 v6, v1, v9, s8
	s_waitcnt vmcnt(0)
	ds_write2_b64 v6, v[14:15], v[16:17] offset1:1
.LBB28_21:
	s_or_b64 exec, exec, s[6:7]
	v_add_u32_e32 v6, 16, v12
	v_cmp_le_i32_e64 s[6:7], s22, v6
	s_and_saveexec_b64 s[8:9], s[6:7]
	s_xor_b64 s[6:7], exec, s[8:9]
	s_cbranch_execz .LBB28_23
; %bb.22:
	v_mov_b32_e32 v14, 0
	v_add_u32_e32 v6, v1, v9
	v_mov_b32_e32 v15, v14
	v_mov_b32_e32 v16, v14
	;; [unrolled: 1-line block ×3, first 2 shown]
	ds_write_b128 v6, v[14:17] offset:8448
.LBB28_23:
	s_andn2_saveexec_b64 s[6:7], s[6:7]
	s_cbranch_execz .LBB28_25
; %bb.24:
	s_lshl_b64 s[8:9], s[40:41], 8
	v_lshl_add_u64 v[6:7], v[2:3], 0, s[8:9]
	global_load_dwordx4 v[14:17], v[6:7], off
	s_movk_i32 s8, 0x2100
	v_add3_u32 v6, v1, v9, s8
	s_waitcnt vmcnt(0)
	ds_write2_b64 v6, v[14:15], v[16:17] offset1:1
.LBB28_25:
	s_or_b64 exec, exec, s[6:7]
	v_add_u32_e32 v6, 24, v12
	v_cmp_le_i32_e64 s[6:7], s22, v6
	s_and_saveexec_b64 s[8:9], s[6:7]
	s_xor_b64 s[6:7], exec, s[8:9]
	s_cbranch_execz .LBB28_27
; %bb.26:
	v_mov_b32_e32 v14, 0
	v_add_u32_e32 v1, v1, v9
	v_mov_b32_e32 v15, v14
	v_mov_b32_e32 v16, v14
	;; [unrolled: 1-line block ×3, first 2 shown]
	ds_write_b128 v1, v[14:17] offset:12672
                                        ; implicit-def: $vgpr1
.LBB28_27:
	s_andn2_saveexec_b64 s[6:7], s[6:7]
	s_cbranch_execz .LBB28_29
; %bb.28:
	v_mov_b32_e32 v6, 0x180
	v_mad_u64_u32 v[6:7], s[8:9], s40, v6, v[2:3]
	s_mul_i32 s8, s41, 0x180
	s_nop 0
	v_add_u32_e32 v7, s8, v7
	global_load_dwordx4 v[14:17], v[6:7], off
	s_movk_i32 s8, 0x3180
	v_add3_u32 v1, v1, v9, s8
	s_waitcnt vmcnt(0)
	ds_write2_b64 v1, v[14:15], v[16:17] offset1:1
.LBB28_29:
	s_or_b64 exec, exec, s[6:7]
	v_mov_b32_e32 v1, 0
	v_lshl_add_u64 v[0:1], v[2:3], 0, v[0:1]
	s_lshl_b64 s[6:7], s[22:23], 4
	v_mov_b32_e32 v2, s7
	v_subrev_co_u32_e64 v0, s[6:7], s6, v0
	s_nop 1
	v_subb_co_u32_e64 v1, s[6:7], v1, v2, s[6:7]
	v_lshl_add_u64 v[0:1], v[0:1], 0, 16
	v_cndmask_b32_e32 v5, v1, v5, vcc
	v_cndmask_b32_e32 v4, v0, v4, vcc
.LBB28_30:
	v_lshlrev_b32_e32 v13, 2, v12
	v_mul_u32_u24_e32 v15, 0x210, v8
	v_cmp_ge_u32_e64 s[8:9], v13, v8
	s_mov_b64 s[6:7], 0
	s_waitcnt lgkmcnt(0)
	s_barrier
                                        ; implicit-def: $vgpr7
	s_and_saveexec_b64 s[10:11], s[8:9]
	s_xor_b64 s[10:11], exec, s[10:11]
	s_cbranch_execz .LBB28_34
; %bb.31:
	v_cmp_eq_u32_e32 vcc, v13, v8
                                        ; implicit-def: $vgpr7
	s_and_saveexec_b64 s[12:13], vcc
	s_xor_b64 s[12:13], exec, s[12:13]
; %bb.32:
	s_mov_b64 s[6:7], exec
	v_add_u32_e32 v7, v9, v15
; %bb.33:
	s_or_b64 exec, exec, s[12:13]
	s_and_b64 s[6:7], s[6:7], exec
.LBB28_34:
	s_or_saveexec_b64 s[10:11], s[10:11]
	v_lshl_or_b32 v6, v8, 9, v9
	v_mov_b64_e32 v[2:3], 0
	s_xor_b64 exec, exec, s[10:11]
	s_cbranch_execz .LBB28_36
; %bb.35:
	s_movk_i32 s12, 0x840
	v_mad_u32_u24 v0, v12, s12, v9
	ds_read_b128 v[0:3], v0
	v_lshl_add_u32 v7, v13, 4, v6
	s_or_b64 s[6:7], s[6:7], exec
	s_waitcnt lgkmcnt(0)
	v_xor_b32_e32 v3, 0x80000000, v3
	ds_write_b64 v7, v[0:1]
.LBB28_36:
	s_or_b64 exec, exec, s[10:11]
	s_and_saveexec_b64 s[10:11], s[6:7]
; %bb.37:
	ds_write_b64 v7, v[2:3] offset:8
; %bb.38:
	s_or_b64 exec, exec, s[10:11]
	v_or_b32_e32 v16, 1, v13
	v_cmp_ge_u32_e64 s[10:11], v16, v8
	s_mov_b64 s[6:7], 0
                                        ; implicit-def: $vgpr7
	s_and_saveexec_b64 s[12:13], s[10:11]
	s_xor_b64 s[12:13], exec, s[12:13]
	s_cbranch_execnz .LBB28_100
; %bb.39:
	s_or_saveexec_b64 s[12:13], s[12:13]
	v_mov_b64_e32 v[2:3], 0
	s_xor_b64 exec, exec, s[12:13]
	s_cbranch_execnz .LBB28_103
.LBB28_40:
	s_or_b64 exec, exec, s[12:13]
	s_and_saveexec_b64 s[12:13], s[6:7]
.LBB28_41:
	ds_write_b64 v7, v[2:3] offset:8
.LBB28_42:
	s_or_b64 exec, exec, s[12:13]
	v_or_b32_e32 v17, 2, v13
	v_cmp_ge_u32_e64 s[12:13], v17, v8
	s_mov_b64 s[6:7], 0
                                        ; implicit-def: $vgpr7
	s_and_saveexec_b64 s[14:15], s[12:13]
	s_xor_b64 s[14:15], exec, s[14:15]
	s_cbranch_execnz .LBB28_104
; %bb.43:
	s_or_saveexec_b64 s[14:15], s[14:15]
	v_mov_b64_e32 v[2:3], 0
	s_xor_b64 exec, exec, s[14:15]
	s_cbranch_execnz .LBB28_107
.LBB28_44:
	s_or_b64 exec, exec, s[14:15]
	s_and_saveexec_b64 s[14:15], s[6:7]
.LBB28_45:
	ds_write_b64 v7, v[2:3] offset:8
.LBB28_46:
	s_or_b64 exec, exec, s[14:15]
	v_or_b32_e32 v18, 3, v13
	v_cmp_ge_u32_e64 s[14:15], v18, v8
	s_mov_b64 s[6:7], 0
                                        ; implicit-def: $vgpr7
	s_and_saveexec_b64 s[16:17], s[14:15]
	s_xor_b64 s[16:17], exec, s[16:17]
	s_cbranch_execnz .LBB28_108
; %bb.47:
	s_or_saveexec_b64 s[16:17], s[16:17]
	v_mov_b64_e32 v[2:3], 0
	s_xor_b64 exec, exec, s[16:17]
	s_cbranch_execnz .LBB28_111
.LBB28_48:
	s_or_b64 exec, exec, s[16:17]
	s_and_saveexec_b64 s[16:17], s[6:7]
.LBB28_49:
	ds_write_b64 v7, v[2:3] offset:8
.LBB28_50:
	s_or_b64 exec, exec, s[16:17]
	s_movk_i32 s6, 0x840
	v_lshlrev_b32_e32 v19, 4, v13
	s_waitcnt lgkmcnt(0)
	s_barrier
	v_mad_u32_u24 v6, v12, s6, v9
	ds_read_b128 v[0:3], v19 offset:18176
	ds_read_b128 v[20:23], v6
	ds_read_b128 v[24:27], v19 offset:18192
	ds_read_b128 v[28:31], v19 offset:18208
	s_movk_i32 s23, 0x210
	v_mad_u32_u24 v14, v16, s23, v9
	s_waitcnt lgkmcnt(2)
	v_mul_f64 v[6:7], v[2:3], v[22:23]
	v_mul_f64 v[10:11], v[0:1], v[22:23]
	v_fma_f64 v[6:7], v[0:1], v[20:21], -v[6:7]
	v_fmac_f64_e32 v[10:11], v[2:3], v[20:21]
	ds_read_b128 v[20:23], v19 offset:18224
	ds_read_b128 v[32:35], v14
	v_add_f64 v[2:3], v[6:7], 0
	v_add_f64 v[6:7], v[10:11], 0
	ds_read_b128 v[44:47], v14 offset:528
	v_mov_b64_e32 v[0:1], 0
	s_waitcnt lgkmcnt(1)
	v_mul_f64 v[10:11], v[26:27], v[34:35]
	v_fma_f64 v[10:11], v[24:25], v[32:33], -v[10:11]
	v_mul_f64 v[24:25], v[24:25], v[34:35]
	v_fmac_f64_e32 v[24:25], v[26:27], v[32:33]
	v_add_f64 v[6:7], v[6:7], v[24:25]
	ds_read_b128 v[24:27], v14 offset:1056
	v_add_f64 v[2:3], v[2:3], v[10:11]
	s_waitcnt lgkmcnt(1)
	v_mul_f64 v[10:11], v[30:31], v[46:47]
	v_fma_f64 v[10:11], v[28:29], v[44:45], -v[10:11]
	v_add_f64 v[2:3], v[2:3], v[10:11]
	s_waitcnt lgkmcnt(0)
	v_mul_f64 v[10:11], v[22:23], v[26:27]
	v_mul_f64 v[28:29], v[28:29], v[46:47]
	v_fma_f64 v[10:11], v[20:21], v[24:25], -v[10:11]
	v_fmac_f64_e32 v[28:29], v[30:31], v[44:45]
	v_mul_f64 v[26:27], v[20:21], v[26:27]
	v_add_f64 v[20:21], v[2:3], v[10:11]
	v_mul_u32_u24_e32 v2, 33, v8
	v_add_f64 v[6:7], v[6:7], v[28:29]
	v_fmac_f64_e32 v[26:27], v[22:23], v[24:25]
	v_lshlrev_b32_e32 v43, 4, v2
	v_add_f64 v[22:23], v[6:7], v[26:27]
	v_lshl_add_u32 v44, v12, 4, v43
	v_cmp_gt_u32_e64 s[6:7], 32, v42
	v_mov_b64_e32 v[2:3], 0
	s_barrier
	ds_write_b128 v44, v[20:23]
	s_waitcnt lgkmcnt(0)
	s_barrier
	s_and_saveexec_b64 s[16:17], s[6:7]
	s_cbranch_execz .LBB28_52
; %bb.51:
	ds_read_b128 v[0:3], v43
	ds_read_b128 v[20:23], v43 offset:16
	ds_read_b128 v[24:27], v43 offset:32
	;; [unrolled: 1-line block ×3, first 2 shown]
	s_waitcnt lgkmcnt(2)
	v_add_f64 v[0:1], v[20:21], v[0:1]
	v_add_f64 v[6:7], v[22:23], v[2:3]
	s_waitcnt lgkmcnt(1)
	v_add_f64 v[10:11], v[0:1], v[24:25]
	ds_read_b128 v[0:3], v43 offset:64
	ds_read_b128 v[20:23], v43 offset:80
	v_add_f64 v[6:7], v[6:7], v[26:27]
	s_waitcnt lgkmcnt(2)
	v_add_f64 v[10:11], v[10:11], v[28:29]
	v_add_f64 v[6:7], v[6:7], v[30:31]
	ds_read_b128 v[24:27], v43 offset:96
	s_waitcnt lgkmcnt(2)
	v_add_f64 v[10:11], v[10:11], v[0:1]
	v_add_f64 v[6:7], v[6:7], v[2:3]
	ds_read_b128 v[0:3], v43 offset:112
	s_waitcnt lgkmcnt(2)
	v_add_f64 v[10:11], v[10:11], v[20:21]
	v_add_f64 v[6:7], v[6:7], v[22:23]
	s_waitcnt lgkmcnt(1)
	v_add_f64 v[10:11], v[10:11], v[24:25]
	v_add_f64 v[6:7], v[6:7], v[26:27]
	s_waitcnt lgkmcnt(0)
	v_add_f64 v[0:1], v[10:11], v[0:1]
	v_add_f64 v[2:3], v[6:7], v[2:3]
.LBB28_52:
	s_or_b64 exec, exec, s[16:17]
	s_lshl_b64 s[16:17], s[40:41], 9
	v_lshl_add_u64 v[6:7], v[4:5], 0, s[16:17]
	s_mov_b64 s[16:17], 0x200
	v_cndmask_b32_e64 v4, 0, 1, s[20:21]
	v_lshl_add_u64 v[10:11], v[6:7], 0, s[16:17]
	v_mad_u32_u24 v14, v12, s23, v9
	v_cmp_ne_u32_e64 s[16:17], 1, v4
	s_andn2_b64 vcc, exec, s[20:21]
	s_mov_b64 s[20:21], -1
	s_barrier
	s_cbranch_vccnz .LBB28_54
; %bb.53:
	s_lshl_b64 s[20:21], s[40:41], 7
	v_lshl_add_u64 v[4:5], v[6:7], 0, s[20:21]
	global_load_dwordx4 v[20:23], v[10:11], off
	v_lshl_add_u64 v[32:33], v[4:5], 0, s[20:21]
	global_load_dwordx4 v[24:27], v[4:5], off offset:512
	global_load_dwordx4 v[28:31], v[32:33], off offset:512
	v_lshl_add_u64 v[4:5], v[32:33], 0, s[20:21]
	global_load_dwordx4 v[32:35], v[4:5], off offset:512
	s_mov_b64 s[20:21], 0
	v_add_u32_e32 v4, 0x1080, v14
	v_add_u32_e32 v5, 0x2100, v14
	;; [unrolled: 1-line block ×3, first 2 shown]
	s_waitcnt vmcnt(3)
	ds_write2_b64 v14, v[20:21], v[22:23] offset1:1
	s_waitcnt vmcnt(2)
	ds_write2_b64 v4, v[24:25], v[26:27] offset1:1
	;; [unrolled: 2-line block ×4, first 2 shown]
.LBB28_54:
	s_andn2_b64 vcc, exec, s[20:21]
	s_cbranch_vccnz .LBB28_72
; %bb.55:
	v_lshlrev_b32_e32 v4, 4, v8
	v_sub_co_u32_e32 v6, vcc, v6, v4
	s_ashr_i32 s23, s22, 31
	s_nop 0
	v_subbrev_co_u32_e32 v7, vcc, 0, v7, vcc
	v_or_b32_e32 v5, 32, v8
	v_lshl_add_u64 v[6:7], s[22:23], 4, v[6:7]
	v_lshl_add_u64 v[6:7], v[6:7], 0, -16
	v_cmp_gt_i32_e32 vcc, s22, v5
	s_sub_i32 s30, s22, 32
	v_cmp_le_i32_e64 s[20:21], s30, v12
	v_cndmask_b32_e32 v7, v7, v11, vcc
	v_cndmask_b32_e32 v6, v6, v10, vcc
	s_and_saveexec_b64 s[34:35], s[20:21]
	s_xor_b64 s[20:21], exec, s[34:35]
; %bb.56:
	v_mov_b32_e32 v20, 0
	v_mov_b32_e32 v21, v20
	;; [unrolled: 1-line block ×4, first 2 shown]
	ds_write_b128 v14, v[20:23]
; %bb.57:
	s_andn2_saveexec_b64 s[20:21], s[20:21]
	s_cbranch_execz .LBB28_59
; %bb.58:
	global_load_dwordx4 v[20:23], v[6:7], off
	s_waitcnt vmcnt(0)
	ds_write2_b64 v14, v[20:21], v[22:23] offset1:1
.LBB28_59:
	s_or_b64 exec, exec, s[20:21]
	v_add_u32_e32 v20, 8, v12
	v_mul_u32_u24_e32 v5, 0x210, v12
	v_cmp_le_i32_e64 s[20:21], s30, v20
	s_and_saveexec_b64 s[34:35], s[20:21]
	s_xor_b64 s[20:21], exec, s[34:35]
	s_cbranch_execz .LBB28_61
; %bb.60:
	v_mov_b32_e32 v22, 0
	v_add_u32_e32 v20, v5, v9
	v_mov_b32_e32 v23, v22
	v_mov_b32_e32 v24, v22
	;; [unrolled: 1-line block ×3, first 2 shown]
	ds_write_b128 v20, v[22:25] offset:4224
.LBB28_61:
	s_andn2_saveexec_b64 s[20:21], s[20:21]
	s_cbranch_execz .LBB28_63
; %bb.62:
	s_lshl_b64 s[34:35], s[40:41], 7
	v_lshl_add_u64 v[20:21], v[6:7], 0, s[34:35]
	global_load_dwordx4 v[20:23], v[20:21], off
	s_movk_i32 s31, 0x1080
	v_add3_u32 v24, v5, v9, s31
	s_waitcnt vmcnt(0)
	ds_write2_b64 v24, v[20:21], v[22:23] offset1:1
.LBB28_63:
	s_or_b64 exec, exec, s[20:21]
	v_add_u32_e32 v20, 16, v12
	v_cmp_le_i32_e64 s[20:21], s30, v20
	s_and_saveexec_b64 s[34:35], s[20:21]
	s_xor_b64 s[20:21], exec, s[34:35]
	s_cbranch_execz .LBB28_65
; %bb.64:
	v_mov_b32_e32 v22, 0
	v_add_u32_e32 v20, v5, v9
	v_mov_b32_e32 v23, v22
	v_mov_b32_e32 v24, v22
	;; [unrolled: 1-line block ×3, first 2 shown]
	ds_write_b128 v20, v[22:25] offset:8448
.LBB28_65:
	s_andn2_saveexec_b64 s[20:21], s[20:21]
	s_cbranch_execz .LBB28_67
; %bb.66:
	s_lshl_b64 s[34:35], s[40:41], 8
	v_lshl_add_u64 v[20:21], v[6:7], 0, s[34:35]
	global_load_dwordx4 v[20:23], v[20:21], off
	s_movk_i32 s31, 0x2100
	v_add3_u32 v24, v5, v9, s31
	s_waitcnt vmcnt(0)
	ds_write2_b64 v24, v[20:21], v[22:23] offset1:1
.LBB28_67:
	s_or_b64 exec, exec, s[20:21]
	v_add_u32_e32 v20, 24, v12
	v_cmp_le_i32_e64 s[20:21], s30, v20
	s_and_saveexec_b64 s[30:31], s[20:21]
	s_xor_b64 s[20:21], exec, s[30:31]
	s_cbranch_execz .LBB28_69
; %bb.68:
	v_mov_b32_e32 v20, 0
	v_add_u32_e32 v5, v5, v9
	v_mov_b32_e32 v21, v20
	v_mov_b32_e32 v22, v20
	;; [unrolled: 1-line block ×3, first 2 shown]
	ds_write_b128 v5, v[20:23] offset:12672
                                        ; implicit-def: $vgpr5
.LBB28_69:
	s_andn2_saveexec_b64 s[20:21], s[20:21]
	s_cbranch_execz .LBB28_71
; %bb.70:
	v_mov_b32_e32 v20, 0x180
	v_mad_u64_u32 v[20:21], s[30:31], s40, v20, v[6:7]
	s_mul_i32 s30, s41, 0x180
	s_nop 0
	v_add_u32_e32 v21, s30, v21
	global_load_dwordx4 v[20:23], v[20:21], off
	s_movk_i32 s30, 0x3180
	v_add3_u32 v5, v5, v9, s30
	s_waitcnt vmcnt(0)
	ds_write2_b64 v5, v[20:21], v[22:23] offset1:1
.LBB28_71:
	s_or_b64 exec, exec, s[20:21]
	v_mov_b32_e32 v5, 0
	v_lshl_add_u64 v[4:5], v[6:7], 0, v[4:5]
	s_lshl_b64 s[20:21], s[22:23], 4
	v_mov_b32_e32 v6, s21
	v_subrev_co_u32_e64 v4, s[20:21], s20, v4
	s_nop 1
	v_subb_co_u32_e64 v5, s[20:21], v5, v6, s[20:21]
	s_mov_b64 s[20:21], 0x210
	s_nop 0
	v_lshl_add_u64 v[4:5], v[4:5], 0, s[20:21]
	v_cndmask_b32_e32 v11, v5, v11, vcc
	v_cndmask_b32_e32 v10, v4, v10, vcc
.LBB28_72:
	v_mul_u32_u24_e32 v4, 0x840, v12
	v_add_u32_e32 v45, 0x4700, v19
	v_mul_u32_u24_e32 v20, 0x210, v16
	s_lshl_b64 s[20:21], s[40:41], 5
	s_mov_b64 s[30:31], 0
	s_waitcnt lgkmcnt(0)
	s_barrier
                                        ; implicit-def: $vgpr21
	s_and_saveexec_b64 s[34:35], s[8:9]
	s_xor_b64 s[8:9], exec, s[34:35]
	s_cbranch_execz .LBB28_76
; %bb.73:
	v_cmp_eq_u32_e32 vcc, v13, v8
                                        ; implicit-def: $vgpr21
	s_and_saveexec_b64 s[34:35], vcc
	s_xor_b64 s[34:35], exec, s[34:35]
; %bb.74:
	s_mov_b64 s[30:31], exec
	v_add_u32_e32 v21, v9, v15
; %bb.75:
	s_or_b64 exec, exec, s[34:35]
	s_and_b64 s[30:31], s[30:31], exec
.LBB28_76:
	s_or_saveexec_b64 s[8:9], s[8:9]
	v_mov_b64_e32 v[6:7], 0
	v_add_u32_e32 v19, v9, v4
	s_xor_b64 exec, exec, s[8:9]
	s_cbranch_execz .LBB28_78
; %bb.77:
	ds_read_b128 v[4:7], v19
	v_lshl_add_u32 v21, v13, 4, v43
	s_or_b64 s[30:31], s[30:31], exec
	s_waitcnt lgkmcnt(0)
	v_xor_b32_e32 v7, 0x80000000, v7
	ds_write_b64 v21, v[4:5]
.LBB28_78:
	s_or_b64 exec, exec, s[8:9]
	s_and_saveexec_b64 s[8:9], s[30:31]
; %bb.79:
	ds_write_b64 v21, v[6:7] offset:8
; %bb.80:
	s_or_b64 exec, exec, s[8:9]
	s_mov_b64 s[8:9], 0
                                        ; implicit-def: $vgpr21
	s_and_saveexec_b64 s[30:31], s[10:11]
	s_xor_b64 s[10:11], exec, s[30:31]
	s_cbranch_execz .LBB28_84
; %bb.81:
	v_cmp_eq_u32_e32 vcc, v16, v8
                                        ; implicit-def: $vgpr21
	s_and_saveexec_b64 s[30:31], vcc
; %bb.82:
	s_mov_b64 s[8:9], exec
	v_add_u32_e32 v21, v9, v15
; %bb.83:
	s_or_b64 exec, exec, s[30:31]
	s_and_b64 s[8:9], s[8:9], exec
.LBB28_84:
	s_or_saveexec_b64 s[10:11], s[10:11]
	v_mov_b64_e32 v[6:7], 0
	v_add_u32_e32 v16, v9, v20
	s_xor_b64 exec, exec, s[10:11]
	s_cbranch_execz .LBB28_86
; %bb.85:
	ds_read_b128 v[4:7], v16
	v_lshl_add_u32 v20, v13, 4, v43
	v_add_u32_e32 v21, 16, v20
	s_or_b64 s[8:9], s[8:9], exec
	s_waitcnt lgkmcnt(0)
	v_xor_b32_e32 v7, 0x80000000, v7
	ds_write_b64 v20, v[4:5] offset:16
.LBB28_86:
	s_or_b64 exec, exec, s[10:11]
	s_and_saveexec_b64 s[10:11], s[8:9]
; %bb.87:
	ds_write_b64 v21, v[6:7] offset:8
; %bb.88:
	s_or_b64 exec, exec, s[10:11]
	s_mov_b64 s[8:9], 0
                                        ; implicit-def: $vgpr20
	s_and_saveexec_b64 s[10:11], s[12:13]
	s_xor_b64 s[10:11], exec, s[10:11]
	s_cbranch_execnz .LBB28_112
; %bb.89:
	s_or_saveexec_b64 s[10:11], s[10:11]
	v_mov_b64_e32 v[6:7], 0
	s_xor_b64 exec, exec, s[10:11]
	s_cbranch_execnz .LBB28_115
.LBB28_90:
	s_or_b64 exec, exec, s[10:11]
	s_and_saveexec_b64 s[10:11], s[8:9]
.LBB28_91:
	ds_write_b64 v20, v[6:7] offset:8
.LBB28_92:
	s_or_b64 exec, exec, s[10:11]
	s_mov_b64 s[8:9], 0
                                        ; implicit-def: $vgpr17
	s_and_saveexec_b64 s[10:11], s[14:15]
	s_xor_b64 s[10:11], exec, s[10:11]
	s_cbranch_execnz .LBB28_116
; %bb.93:
	s_or_saveexec_b64 s[10:11], s[10:11]
	v_mov_b64_e32 v[6:7], 0
	s_xor_b64 exec, exec, s[10:11]
	s_cbranch_execnz .LBB28_119
.LBB28_94:
	s_or_b64 exec, exec, s[10:11]
	s_and_saveexec_b64 s[10:11], s[8:9]
.LBB28_95:
	ds_write_b64 v17, v[6:7] offset:8
.LBB28_96:
	s_or_b64 exec, exec, s[10:11]
	s_waitcnt lgkmcnt(0)
	s_barrier
	ds_read_b128 v[4:7], v19
	ds_read_b128 v[18:21], v45 offset:512
	ds_read_b128 v[22:25], v45 offset:528
	;; [unrolled: 1-line block ×5, first 2 shown]
	ds_read_b128 v[50:53], v16
	s_waitcnt lgkmcnt(5)
	v_mul_f64 v[34:35], v[20:21], v[6:7]
	v_mul_f64 v[6:7], v[18:19], v[6:7]
	v_fmac_f64_e32 v[6:7], v[20:21], v[4:5]
	v_fma_f64 v[34:35], v[18:19], v[4:5], -v[34:35]
	v_add_f64 v[20:21], v[6:7], 0
	ds_read_b128 v[4:7], v16 offset:528
	s_waitcnt lgkmcnt(1)
	v_mul_f64 v[16:17], v[24:25], v[52:53]
	v_fma_f64 v[16:17], v[22:23], v[50:51], -v[16:17]
	v_mul_f64 v[22:23], v[22:23], v[52:53]
	v_add_f64 v[18:19], v[34:35], 0
	v_fmac_f64_e32 v[22:23], v[24:25], v[50:51]
	v_add_f64 v[16:17], v[18:19], v[16:17]
	v_add_f64 v[18:19], v[20:21], v[22:23]
	s_waitcnt lgkmcnt(0)
	v_mul_f64 v[20:21], v[28:29], v[6:7]
	v_mul_f64 v[6:7], v[26:27], v[6:7]
	v_fma_f64 v[20:21], v[26:27], v[4:5], -v[20:21]
	v_fmac_f64_e32 v[6:7], v[28:29], v[4:5]
	v_add_f64 v[4:5], v[16:17], v[20:21]
	v_add_f64 v[6:7], v[18:19], v[6:7]
	v_mul_f64 v[16:17], v[32:33], v[48:49]
	v_mul_f64 v[18:19], v[30:31], v[48:49]
	v_fma_f64 v[16:17], v[30:31], v[46:47], -v[16:17]
	v_fmac_f64_e32 v[18:19], v[32:33], v[46:47]
	v_add_f64 v[4:5], v[4:5], v[16:17]
	v_add_f64 v[6:7], v[6:7], v[18:19]
	v_cmp_eq_u32_e64 s[8:9], 1, v12
	s_barrier
	ds_write_b128 v44, v[4:7]
	s_waitcnt lgkmcnt(0)
	s_barrier
	s_and_saveexec_b64 s[10:11], s[8:9]
	s_cbranch_execz .LBB28_98
; %bb.97:
	ds_read_b128 v[0:3], v43
	ds_read_b128 v[4:7], v43 offset:16
	ds_read_b128 v[16:19], v43 offset:32
	;; [unrolled: 1-line block ×3, first 2 shown]
	s_waitcnt lgkmcnt(2)
	v_add_f64 v[0:1], v[4:5], v[0:1]
	v_add_f64 v[4:5], v[6:7], v[2:3]
	s_waitcnt lgkmcnt(1)
	v_add_f64 v[6:7], v[0:1], v[16:17]
	ds_read_b128 v[0:3], v43 offset:64
	v_add_f64 v[4:5], v[4:5], v[18:19]
	s_waitcnt lgkmcnt(1)
	v_add_f64 v[16:17], v[6:7], v[20:21]
	v_add_f64 v[20:21], v[4:5], v[22:23]
	ds_read_b128 v[4:7], v43 offset:80
	s_waitcnt lgkmcnt(1)
	v_add_f64 v[22:23], v[16:17], v[0:1]
	ds_read_b128 v[16:19], v43 offset:96
	v_add_f64 v[20:21], v[20:21], v[2:3]
	ds_read_b128 v[0:3], v43 offset:112
	s_waitcnt lgkmcnt(2)
	v_add_f64 v[4:5], v[22:23], v[4:5]
	v_add_f64 v[6:7], v[20:21], v[6:7]
	s_waitcnt lgkmcnt(1)
	v_add_f64 v[4:5], v[4:5], v[16:17]
	v_add_f64 v[6:7], v[6:7], v[18:19]
	;; [unrolled: 3-line block ×3, first 2 shown]
.LBB28_98:
	s_or_b64 exec, exec, s[10:11]
	s_lshl_b64 s[10:11], s[20:21], 4
	v_mov_b32_e32 v4, s11
	v_subrev_co_u32_e64 v40, s[10:11], s10, v10
	s_and_b64 vcc, exec, s[16:17]
	s_nop 0
	v_subb_co_u32_e64 v41, s[10:11], v11, v4, s[10:11]
	s_barrier
	s_cbranch_vccnz .LBB28_120
; %bb.99:
	s_lshl_b64 s[10:11], s[40:41], 7
	v_lshl_add_u64 v[4:5], v[40:41], 0, s[10:11]
	global_load_dwordx4 v[18:21], v[40:41], off
	v_lshl_add_u64 v[6:7], v[4:5], 0, s[10:11]
	global_load_dwordx4 v[22:25], v[4:5], off
	global_load_dwordx4 v[26:29], v[6:7], off
	v_lshl_add_u64 v[4:5], v[6:7], 0, s[10:11]
	global_load_dwordx4 v[30:33], v[4:5], off
	v_add_u32_e32 v10, 8, v12
	s_movk_i32 s10, 0x210
	v_mov_b32_e32 v4, 0x1080
	v_mov_b32_e32 v6, 0x2100
	v_add_u32_e32 v11, 16, v12
	v_add_u32_e32 v15, 24, v12
	v_mul_u32_u24_e32 v5, 0x210, v10
	v_mad_u32_u24 v7, v10, s10, v9
	v_mad_u32_u24 v4, v10, s10, v4
	;; [unrolled: 1-line block ×3, first 2 shown]
	v_add_u32_e32 v6, v9, v4
	v_add_u32_e32 v17, v9, v16
	s_waitcnt vmcnt(3)
	ds_write2_b64 v14, v[18:19], v[20:21] offset1:1
	s_waitcnt vmcnt(2)
	ds_write2_b64 v7, v[22:23], v[24:25] offset1:1
	;; [unrolled: 2-line block ×4, first 2 shown]
	s_cbranch_execz .LBB28_121
	s_branch .LBB28_138
.LBB28_100:
	v_cmp_eq_u32_e32 vcc, v16, v8
                                        ; implicit-def: $vgpr7
	s_and_saveexec_b64 s[14:15], vcc
; %bb.101:
	s_mov_b64 s[6:7], exec
	v_add_u32_e32 v7, v9, v15
; %bb.102:
	s_or_b64 exec, exec, s[14:15]
	s_and_b64 s[6:7], s[6:7], exec
	s_or_saveexec_b64 s[12:13], s[12:13]
	v_mov_b64_e32 v[2:3], 0
	s_xor_b64 exec, exec, s[12:13]
	s_cbranch_execz .LBB28_40
.LBB28_103:
	s_movk_i32 s14, 0x210
	v_mad_u32_u24 v0, v16, s14, v9
	ds_read_b128 v[0:3], v0
	v_lshl_add_u32 v10, v13, 4, v6
	v_add_u32_e32 v7, 16, v10
	s_or_b64 s[6:7], s[6:7], exec
	s_waitcnt lgkmcnt(0)
	v_xor_b32_e32 v3, 0x80000000, v3
	ds_write_b64 v10, v[0:1] offset:16
	s_or_b64 exec, exec, s[12:13]
	s_and_saveexec_b64 s[12:13], s[6:7]
	s_cbranch_execnz .LBB28_41
	s_branch .LBB28_42
.LBB28_104:
	v_cmp_eq_u32_e32 vcc, v17, v8
                                        ; implicit-def: $vgpr7
	s_and_saveexec_b64 s[16:17], vcc
; %bb.105:
	s_mov_b64 s[6:7], exec
	v_add_u32_e32 v7, v9, v15
; %bb.106:
	s_or_b64 exec, exec, s[16:17]
	s_and_b64 s[6:7], s[6:7], exec
	s_or_saveexec_b64 s[14:15], s[14:15]
	v_mov_b64_e32 v[2:3], 0
	s_xor_b64 exec, exec, s[14:15]
	s_cbranch_execz .LBB28_44
.LBB28_107:
	s_movk_i32 s16, 0x210
	v_mad_u32_u24 v0, v17, s16, v9
	ds_read_b128 v[0:3], v0
	v_lshl_add_u32 v10, v13, 4, v6
	v_add_u32_e32 v7, 32, v10
	s_or_b64 s[6:7], s[6:7], exec
	s_waitcnt lgkmcnt(0)
	v_xor_b32_e32 v3, 0x80000000, v3
	ds_write_b64 v10, v[0:1] offset:32
	s_or_b64 exec, exec, s[14:15]
	s_and_saveexec_b64 s[14:15], s[6:7]
	s_cbranch_execnz .LBB28_45
	s_branch .LBB28_46
.LBB28_108:
	v_cmp_eq_u32_e32 vcc, v18, v8
                                        ; implicit-def: $vgpr7
	s_and_saveexec_b64 s[30:31], vcc
; %bb.109:
	s_mov_b64 s[6:7], exec
	v_add_u32_e32 v7, v9, v15
; %bb.110:
	s_or_b64 exec, exec, s[30:31]
	s_and_b64 s[6:7], s[6:7], exec
                                        ; implicit-def: $vgpr6
	s_or_saveexec_b64 s[16:17], s[16:17]
	v_mov_b64_e32 v[2:3], 0
	s_xor_b64 exec, exec, s[16:17]
	s_cbranch_execz .LBB28_48
.LBB28_111:
	s_movk_i32 s23, 0x210
	v_mad_u32_u24 v0, v18, s23, v9
	ds_read_b128 v[0:3], v0
	v_lshl_add_u32 v6, v13, 4, v6
	v_add_u32_e32 v7, 48, v6
	s_or_b64 s[6:7], s[6:7], exec
	s_waitcnt lgkmcnt(0)
	v_xor_b32_e32 v3, 0x80000000, v3
	ds_write_b64 v6, v[0:1] offset:48
	s_or_b64 exec, exec, s[16:17]
	s_and_saveexec_b64 s[16:17], s[6:7]
	s_cbranch_execnz .LBB28_49
	s_branch .LBB28_50
.LBB28_112:
	v_cmp_eq_u32_e32 vcc, v17, v8
                                        ; implicit-def: $vgpr20
	s_and_saveexec_b64 s[12:13], vcc
; %bb.113:
	s_mov_b64 s[8:9], exec
	v_add_u32_e32 v20, v9, v15
; %bb.114:
	s_or_b64 exec, exec, s[12:13]
	s_and_b64 s[8:9], s[8:9], exec
	s_or_saveexec_b64 s[10:11], s[10:11]
	v_mov_b64_e32 v[6:7], 0
	s_xor_b64 exec, exec, s[10:11]
	s_cbranch_execz .LBB28_90
.LBB28_115:
	ds_read_b128 v[4:7], v16 offset:528
	v_lshl_add_u32 v17, v13, 4, v43
	v_add_u32_e32 v20, 32, v17
	s_or_b64 s[8:9], s[8:9], exec
	s_waitcnt lgkmcnt(0)
	v_xor_b32_e32 v7, 0x80000000, v7
	ds_write_b64 v17, v[4:5] offset:32
	s_or_b64 exec, exec, s[10:11]
	s_and_saveexec_b64 s[10:11], s[8:9]
	s_cbranch_execnz .LBB28_91
	s_branch .LBB28_92
.LBB28_116:
	v_cmp_eq_u32_e32 vcc, v18, v8
                                        ; implicit-def: $vgpr17
	s_and_saveexec_b64 s[12:13], vcc
; %bb.117:
	s_mov_b64 s[8:9], exec
	v_add_u32_e32 v17, v9, v15
; %bb.118:
	s_or_b64 exec, exec, s[12:13]
	s_and_b64 s[8:9], s[8:9], exec
	s_or_saveexec_b64 s[10:11], s[10:11]
	v_mov_b64_e32 v[6:7], 0
	s_xor_b64 exec, exec, s[10:11]
	s_cbranch_execz .LBB28_94
.LBB28_119:
	ds_read_b128 v[4:7], v16 offset:1056
	v_lshl_add_u32 v15, v13, 4, v43
	v_add_u32_e32 v17, 48, v15
	s_or_b64 s[8:9], s[8:9], exec
	s_waitcnt lgkmcnt(0)
	v_xor_b32_e32 v7, 0x80000000, v7
	ds_write_b64 v15, v[4:5] offset:48
	s_or_b64 exec, exec, s[10:11]
	s_and_saveexec_b64 s[10:11], s[8:9]
	s_cbranch_execnz .LBB28_95
	s_branch .LBB28_96
.LBB28_120:
                                        ; implicit-def: $vgpr10
                                        ; implicit-def: $vgpr5
                                        ; implicit-def: $vgpr11
                                        ; implicit-def: $vgpr4
                                        ; implicit-def: $vgpr15
                                        ; implicit-def: $vgpr16
.LBB28_121:
	v_lshlrev_b32_e32 v4, 4, v8
	v_sub_co_u32_e32 v6, vcc, v40, v4
	s_ashr_i32 s23, s22, 31
	s_nop 0
	v_subbrev_co_u32_e32 v7, vcc, 0, v41, vcc
	s_movk_i32 s10, 0xfdf0
	v_or_b32_e32 v5, 32, v8
	v_lshl_add_u64 v[6:7], s[22:23], 4, v[6:7]
	s_mov_b32 s11, -1
	v_lshl_add_u64 v[6:7], v[6:7], 0, s[10:11]
	v_cmp_gt_i32_e32 vcc, s22, v5
	v_cmp_le_i32_e64 s[10:11], s22, v12
	s_nop 0
	v_cndmask_b32_e32 v7, v7, v41, vcc
	v_cndmask_b32_e32 v6, v6, v40, vcc
	s_and_saveexec_b64 s[12:13], s[10:11]
	s_xor_b64 s[10:11], exec, s[12:13]
; %bb.122:
	v_mov_b32_e32 v16, 0
	v_mov_b32_e32 v17, v16
	;; [unrolled: 1-line block ×4, first 2 shown]
	ds_write_b128 v14, v[16:19]
; %bb.123:
	s_andn2_saveexec_b64 s[10:11], s[10:11]
	s_cbranch_execz .LBB28_125
; %bb.124:
	global_load_dwordx4 v[16:19], v[6:7], off
	s_waitcnt vmcnt(0)
	ds_write2_b64 v14, v[16:17], v[18:19] offset1:1
.LBB28_125:
	s_or_b64 exec, exec, s[10:11]
	v_add_u32_e32 v10, 8, v12
	v_cmp_le_i32_e64 s[10:11], s22, v10
	s_and_saveexec_b64 s[12:13], s[10:11]
	s_xor_b64 s[10:11], exec, s[12:13]
	s_cbranch_execz .LBB28_127
; %bb.126:
	s_movk_i32 s12, 0x210
	v_mov_b32_e32 v16, 0
	v_mad_u32_u24 v5, v10, s12, v9
	v_mov_b32_e32 v17, v16
	v_mov_b32_e32 v18, v16
	;; [unrolled: 1-line block ×3, first 2 shown]
	ds_write_b128 v5, v[16:19]
.LBB28_127:
	s_andn2_saveexec_b64 s[10:11], s[10:11]
	s_cbranch_execz .LBB28_129
; %bb.128:
	s_lshl_b64 s[12:13], s[40:41], 7
	v_lshl_add_u64 v[16:17], v[6:7], 0, s[12:13]
	global_load_dwordx4 v[16:19], v[16:17], off
	s_movk_i32 s12, 0x210
	v_mad_u32_u24 v5, v10, s12, v9
	s_waitcnt vmcnt(0)
	ds_write2_b64 v5, v[16:17], v[18:19] offset1:1
.LBB28_129:
	s_or_b64 exec, exec, s[10:11]
	v_add_u32_e32 v11, 16, v12
	v_cmp_le_i32_e64 s[10:11], s22, v11
	s_and_saveexec_b64 s[12:13], s[10:11]
	s_xor_b64 s[10:11], exec, s[12:13]
	s_cbranch_execz .LBB28_131
; %bb.130:
	s_movk_i32 s12, 0x210
	v_mov_b32_e32 v16, 0
	v_mad_u32_u24 v5, v11, s12, v9
	v_mov_b32_e32 v17, v16
	v_mov_b32_e32 v18, v16
	;; [unrolled: 1-line block ×3, first 2 shown]
	ds_write_b128 v5, v[16:19]
.LBB28_131:
	s_andn2_saveexec_b64 s[10:11], s[10:11]
	s_cbranch_execz .LBB28_133
; %bb.132:
	s_lshl_b64 s[12:13], s[40:41], 8
	v_lshl_add_u64 v[16:17], v[6:7], 0, s[12:13]
	global_load_dwordx4 v[16:19], v[16:17], off
	s_movk_i32 s12, 0x210
	v_mad_u32_u24 v5, v11, s12, v9
	s_waitcnt vmcnt(0)
	ds_write2_b64 v5, v[16:17], v[18:19] offset1:1
.LBB28_133:
	s_or_b64 exec, exec, s[10:11]
	v_add_u32_e32 v15, 24, v12
	v_cmp_le_i32_e64 s[10:11], s22, v15
                                        ; implicit-def: $vgpr16
	s_and_saveexec_b64 s[12:13], s[10:11]
	s_xor_b64 s[10:11], exec, s[12:13]
	s_cbranch_execz .LBB28_135
; %bb.134:
	s_movk_i32 s12, 0x210
	v_mov_b32_e32 v18, 0
	v_mul_u32_u24_e32 v16, 0x210, v15
	v_mad_u32_u24 v5, v15, s12, v9
	v_mov_b32_e32 v19, v18
	v_mov_b32_e32 v20, v18
	;; [unrolled: 1-line block ×3, first 2 shown]
	ds_write_b128 v5, v[18:21]
.LBB28_135:
	s_andn2_saveexec_b64 s[10:11], s[10:11]
	s_cbranch_execz .LBB28_137
; %bb.136:
	v_mov_b32_e32 v5, 0x180
	v_mad_u64_u32 v[16:17], s[12:13], s40, v5, v[6:7]
	s_mul_i32 s12, s41, 0x180
	s_nop 0
	v_add_u32_e32 v17, s12, v17
	global_load_dwordx4 v[18:21], v[16:17], off
	s_movk_i32 s12, 0x210
	v_mul_u32_u24_e32 v16, 0x210, v15
	v_mad_u32_u24 v5, v15, s12, v9
	s_waitcnt vmcnt(0)
	ds_write2_b64 v5, v[18:19], v[20:21] offset1:1
.LBB28_137:
	s_or_b64 exec, exec, s[10:11]
	v_mov_b32_e32 v5, 0
	v_lshl_add_u64 v[4:5], v[6:7], 0, v[4:5]
	s_lshl_b64 s[10:11], s[22:23], 4
	v_mov_b32_e32 v6, s11
	v_subrev_co_u32_e64 v4, s[10:11], s10, v4
	s_nop 1
	v_subb_co_u32_e64 v5, s[10:11], v5, v6, s[10:11]
	s_mov_b64 s[10:11], 0x210
	s_nop 0
	v_lshl_add_u64 v[4:5], v[4:5], 0, s[10:11]
	v_cndmask_b32_e32 v40, v4, v40, vcc
	s_movk_i32 s10, 0x210
	v_mov_b32_e32 v4, 0x1080
	v_cndmask_b32_e32 v41, v5, v41, vcc
	v_mul_u32_u24_e32 v5, 0x210, v10
	v_mad_u32_u24 v4, v10, s10, v4
.LBB28_138:
	v_lshlrev_b32_e32 v6, 4, v12
	s_waitcnt lgkmcnt(0)
	s_barrier
	ds_read_b128 v[20:23], v6 offset:18176
	ds_read_b128 v[24:27], v14
	v_lshlrev_b32_e32 v6, 4, v10
	v_add_u32_e32 v5, v9, v5
	ds_read_b128 v[46:49], v6 offset:18176
	ds_read_b128 v[50:53], v5
	v_lshlrev_b32_e32 v5, 4, v11
	v_add_u32_e32 v4, v9, v4
	ds_read_b128 v[54:57], v5 offset:18176
	ds_read_b128 v[58:61], v4
	v_lshlrev_b32_e32 v5, 4, v15
	s_waitcnt lgkmcnt(4)
	v_mul_f64 v[6:7], v[22:23], v[26:27]
	v_add_u32_e32 v4, v9, v16
	ds_read_b128 v[62:65], v5 offset:18176
	ds_read2_b64 v[66:69], v4 offset1:1
	v_fma_f64 v[6:7], v[20:21], v[24:25], -v[6:7]
	s_waitcnt lgkmcnt(4)
	v_mul_f64 v[18:19], v[48:49], v[52:53]
	v_add_f64 v[6:7], v[6:7], 0
	v_fma_f64 v[18:19], v[46:47], v[50:51], -v[18:19]
	v_add_f64 v[4:5], v[6:7], v[18:19]
	s_waitcnt lgkmcnt(2)
	v_mul_f64 v[6:7], v[56:57], v[60:61]
	v_fma_f64 v[6:7], v[54:55], v[58:59], -v[6:7]
	v_add_f64 v[4:5], v[4:5], v[6:7]
	s_waitcnt lgkmcnt(0)
	v_mul_f64 v[6:7], v[64:65], v[68:69]
	v_fma_f64 v[6:7], v[62:63], v[66:67], -v[6:7]
	v_add_f64 v[70:71], v[4:5], v[6:7]
	v_lshl_add_u32 v4, v13, 4, v43
	v_mul_f64 v[72:73], v[20:21], v[26:27]
	ds_read_b128 v[28:31], v4
	ds_read_b128 v[16:19], v4 offset:16
	ds_read_b128 v[8:11], v4 offset:32
	;; [unrolled: 1-line block ×3, first 2 shown]
	v_fmac_f64_e32 v[72:73], v[22:23], v[24:25]
	v_mul_f64 v[46:47], v[46:47], v[52:53]
	v_fmac_f64_e32 v[46:47], v[48:49], v[50:51]
	v_add_f64 v[48:49], v[72:73], 0
	ds_read_b128 v[32:35], v45 offset:512
	ds_read_b128 v[24:27], v45 offset:528
	;; [unrolled: 1-line block ×4, first 2 shown]
	v_add_f64 v[46:47], v[48:49], v[46:47]
	v_mul_f64 v[48:49], v[54:55], v[60:61]
	v_fmac_f64_e32 v[48:49], v[56:57], v[58:59]
	v_add_f64 v[46:47], v[46:47], v[48:49]
	v_mul_f64 v[48:49], v[62:63], v[68:69]
	v_fmac_f64_e32 v[48:49], v[64:65], v[66:67]
	v_add_f64 v[72:73], v[46:47], v[48:49]
	s_waitcnt lgkmcnt(0)
	s_barrier
	ds_write_b128 v44, v[70:73]
	s_waitcnt lgkmcnt(0)
	s_barrier
	s_and_saveexec_b64 s[10:11], s[8:9]
	s_cbranch_execz .LBB28_140
; %bb.139:
	ds_read_b128 v[46:49], v43
	ds_read_b128 v[50:53], v43 offset:16
	ds_read_b128 v[54:57], v43 offset:32
	;; [unrolled: 1-line block ×3, first 2 shown]
	s_waitcnt lgkmcnt(3)
	v_add_f64 v[0:1], v[0:1], v[46:47]
	v_add_f64 v[2:3], v[2:3], v[48:49]
	s_waitcnt lgkmcnt(2)
	v_add_f64 v[0:1], v[0:1], v[50:51]
	v_add_f64 v[46:47], v[2:3], v[52:53]
	s_waitcnt lgkmcnt(1)
	v_add_f64 v[48:49], v[0:1], v[54:55]
	ds_read_b128 v[0:3], v43 offset:64
	v_add_f64 v[46:47], v[46:47], v[56:57]
	s_waitcnt lgkmcnt(1)
	v_add_f64 v[50:51], v[48:49], v[58:59]
	v_add_f64 v[54:55], v[46:47], v[60:61]
	ds_read_b128 v[46:49], v43 offset:80
	s_waitcnt lgkmcnt(1)
	v_add_f64 v[56:57], v[50:51], v[0:1]
	ds_read_b128 v[50:53], v43 offset:96
	v_add_f64 v[54:55], v[54:55], v[2:3]
	ds_read_b128 v[0:3], v43 offset:112
	s_waitcnt lgkmcnt(2)
	v_add_f64 v[46:47], v[56:57], v[46:47]
	v_add_f64 v[48:49], v[54:55], v[48:49]
	s_waitcnt lgkmcnt(1)
	v_add_f64 v[46:47], v[46:47], v[50:51]
	v_add_f64 v[48:49], v[48:49], v[52:53]
	;; [unrolled: 3-line block ×3, first 2 shown]
.LBB28_140:
	s_or_b64 exec, exec, s[10:11]
	v_mul_f64 v[46:47], v[30:31], v[34:35]
	v_mul_f64 v[30:31], v[30:31], v[32:33]
	v_fmac_f64_e32 v[46:47], v[28:29], v[32:33]
	v_fma_f64 v[28:29], v[28:29], v[34:35], -v[30:31]
	v_mul_f64 v[32:33], v[18:19], v[26:27]
	v_mul_f64 v[18:19], v[18:19], v[24:25]
	v_add_f64 v[28:29], v[28:29], 0
	v_fmac_f64_e32 v[32:33], v[16:17], v[24:25]
	v_fma_f64 v[16:17], v[16:17], v[26:27], -v[18:19]
	v_mul_f64 v[24:25], v[10:11], v[22:23]
	v_mul_f64 v[10:11], v[10:11], v[20:21]
	v_add_f64 v[30:31], v[46:47], 0
	v_add_f64 v[16:17], v[28:29], v[16:17]
	v_fmac_f64_e32 v[24:25], v[8:9], v[20:21]
	v_fma_f64 v[8:9], v[8:9], v[22:23], -v[10:11]
	v_add_f64 v[18:19], v[30:31], v[32:33]
	v_add_f64 v[8:9], v[16:17], v[8:9]
	v_mul_f64 v[16:17], v[6:7], v[14:15]
	v_mul_f64 v[6:7], v[6:7], v[12:13]
	v_add_f64 v[10:11], v[18:19], v[24:25]
	v_fmac_f64_e32 v[16:17], v[4:5], v[12:13]
	v_fma_f64 v[6:7], v[4:5], v[14:15], -v[6:7]
	v_add_f64 v[4:5], v[10:11], v[16:17]
	v_add_f64 v[6:7], v[8:9], v[6:7]
	s_barrier
	ds_write_b128 v44, v[4:7]
	s_waitcnt lgkmcnt(0)
	s_barrier
	s_and_saveexec_b64 s[8:9], s[6:7]
	s_cbranch_execz .LBB28_142
; %bb.141:
	ds_read_b128 v[4:7], v43
	ds_read_b128 v[8:11], v43 offset:16
	ds_read_b128 v[12:15], v43 offset:32
	;; [unrolled: 1-line block ×3, first 2 shown]
	s_waitcnt lgkmcnt(3)
	v_add_f64 v[0:1], v[0:1], v[4:5]
	v_add_f64 v[2:3], v[2:3], v[6:7]
	s_waitcnt lgkmcnt(2)
	v_add_f64 v[0:1], v[0:1], v[8:9]
	v_add_f64 v[4:5], v[2:3], v[10:11]
	s_waitcnt lgkmcnt(1)
	v_add_f64 v[6:7], v[0:1], v[12:13]
	ds_read_b128 v[0:3], v43 offset:64
	v_add_f64 v[4:5], v[4:5], v[14:15]
	s_waitcnt lgkmcnt(1)
	v_add_f64 v[8:9], v[6:7], v[16:17]
	v_add_f64 v[12:13], v[4:5], v[18:19]
	ds_read_b128 v[4:7], v43 offset:80
	s_waitcnt lgkmcnt(1)
	v_add_f64 v[14:15], v[8:9], v[0:1]
	ds_read_b128 v[8:11], v43 offset:96
	v_add_f64 v[12:13], v[12:13], v[2:3]
	ds_read_b128 v[0:3], v43 offset:112
	s_waitcnt lgkmcnt(2)
	v_add_f64 v[4:5], v[14:15], v[4:5]
	v_add_f64 v[6:7], v[12:13], v[6:7]
	s_waitcnt lgkmcnt(1)
	v_add_f64 v[4:5], v[4:5], v[8:9]
	v_add_f64 v[6:7], v[6:7], v[10:11]
	;; [unrolled: 3-line block ×3, first 2 shown]
.LBB28_142:
	s_or_b64 exec, exec, s[8:9]
	s_load_dwordx2 s[0:1], s[0:1], 0x78
	s_mul_hi_u32 s6, s33, s3
	s_mul_i32 s44, s44, s3
	s_add_i32 s6, s6, s44
	s_mul_i32 s3, s33, s3
	s_mul_i32 s6, s6, s52
	s_mul_hi_u32 s7, s3, s52
	s_add_i32 s7, s7, s6
	s_mul_i32 s6, s3, s52
	s_lshl_b64 s[6:7], s[6:7], 4
	s_waitcnt lgkmcnt(0)
	s_add_u32 s3, s0, s6
	s_mul_i32 s0, s33, s2
	s_addc_u32 s7, s1, s7
	s_ashr_i32 s1, s0, 31
	s_lshl_b64 s[0:1], s[0:1], 4
	s_add_u32 s6, s3, s0
	v_cmp_le_i32_e32 vcc, s22, v159
	s_addc_u32 s7, s7, s1
	s_and_b64 vcc, s[28:29], vcc
	s_cmp_lt_i32 s2, 1
	v_lshlrev_b32_e32 v150, 4, v159
	s_barrier
	s_cbranch_scc1 .LBB28_149
; %bb.143:
	s_mul_i32 s0, s48, s25
	s_mul_hi_u32 s1, s48, s24
	s_add_i32 s0, s1, s0
	s_mul_i32 s1, s49, s24
	s_add_i32 s1, s0, s1
	s_mul_i32 s0, s48, s24
	s_lshl_b64 s[0:1], s[0:1], 4
	v_mov_b32_e32 v4, s1
	v_subrev_co_u32_e64 v152, s[0:1], s0, v36
	v_lshlrev_b32_e32 v9, 2, v158
	s_nop 0
	v_subb_co_u32_e64 v153, s[0:1], v37, v4, s[0:1]
	s_lshl_b64 s[0:1], s[26:27], 4
	s_nop 0
	v_mov_b32_e32 v4, s1
	v_subrev_co_u32_e64 v6, s[0:1], s0, v40
	s_ashr_i32 s23, s22, 31
	s_nop 0
	v_subb_co_u32_e64 v7, s[0:1], v41, v4, s[0:1]
	v_lshlrev_b64 v[4:5], 4, v[38:39]
	v_sub_co_u32_e64 v4, s[0:1], v6, v4
	v_mov_b32_e32 v155, 0
	s_nop 0
	v_subb_co_u32_e64 v5, s[0:1], v7, v5, s[0:1]
	v_mad_u64_u32 v[6:7], s[0:1], s40, v9, 0
	v_mov_b32_e32 v8, v7
	v_mad_u64_u32 v[8:9], s[0:1], s41, v9, v[8:9]
	v_mov_b32_e32 v7, v8
	v_lshl_add_u64 v[4:5], v[6:7], 4, v[4:5]
	s_movk_i32 s0, 0xfdf0
	v_lshl_add_u64 v[6:7], s[22:23], 4, v[4:5]
	s_mov_b32 s1, -1
	v_lshl_add_u64 v[6:7], v[6:7], 0, s[0:1]
	v_mov_b32_e32 v151, v155
	s_movk_i32 s0, 0xfe00
	v_lshl_add_u64 v[4:5], v[4:5], 0, v[150:151]
	s_mov_b32 s1, -1
	v_lshl_add_u64 v[4:5], v[4:5], 0, s[0:1]
	v_cndmask_b32_e32 v9, v5, v7, vcc
	v_and_b32_e32 v5, 48, v159
	v_lshrrev_b32_e32 v10, 4, v42
	v_and_b32_e32 v11, 15, v159
	v_cndmask_b32_e32 v8, v4, v6, vcc
	v_mov_b32_e32 v4, 0x4300
	s_movk_i32 s3, 0x430
	v_lshlrev_b32_e32 v5, 4, v5
	v_lshl_add_u32 v160, v158, 6, v4
	v_lshlrev_b32_e32 v4, 6, v10
	v_mad_u32_u24 v164, v11, s3, v5
	v_or_b32_e32 v5, 0xf0, v150
	s_movk_i32 s0, 0x10c0
	v_mad_u32_u24 v163, v11, s3, v4
	v_mul_i32_i24_e32 v4, 0xffffffd0, v10
	v_mad_u32_u24 v165, v11, s3, v5
	s_mul_i32 s3, s41, 0xd0
	s_mul_hi_u32 s10, s40, 0xd0
	v_add_u32_e32 v151, 0x4300, v150
	v_add_u32_e32 v161, 0x4700, v150
	v_mad_u32_u24 v162, v158, s0, v150
	v_cmp_gt_u32_e64 s[0:1], 64, v42
	s_lshl_b64 s[8:9], s[40:41], 4
	s_add_i32 s11, s10, s3
	s_mul_i32 s10, s40, 0xd0
	s_mov_b32 s3, 0
	v_add_u32_e32 v166, v163, v4
	s_branch .LBB28_145
.LBB28_144:                             ;   in Loop: Header=BB28_145 Depth=1
	s_or_b64 exec, exec, s[12:13]
	v_mul_f64 v[132:133], v[6:7], v[34:35]
	v_fma_f64 v[132:133], v[4:5], v[32:33], -v[132:133]
	v_mul_f64 v[4:5], v[4:5], v[34:35]
	v_mul_f64 v[34:35], v[10:11], v[30:31]
	v_add_f64 v[0:1], v[0:1], v[132:133]
	v_fma_f64 v[34:35], v[8:9], v[28:29], -v[34:35]
	v_mul_f64 v[8:9], v[8:9], v[30:31]
	v_mul_f64 v[30:31], v[14:15], v[26:27]
	v_add_f64 v[0:1], v[0:1], v[34:35]
	v_fma_f64 v[30:31], v[12:13], v[24:25], -v[30:31]
	v_mul_f64 v[12:13], v[12:13], v[26:27]
	v_mul_f64 v[26:27], v[18:19], v[22:23]
	v_fmac_f64_e32 v[4:5], v[6:7], v[32:33]
	v_add_f64 v[0:1], v[0:1], v[30:31]
	v_fma_f64 v[26:27], v[16:17], v[20:21], -v[26:27]
	v_add_f64 v[2:3], v[2:3], v[4:5]
	v_mul_f64 v[4:5], v[38:39], v[70:71]
	v_add_f64 v[0:1], v[0:1], v[26:27]
	v_fma_f64 v[4:5], v[36:37], v[68:69], -v[4:5]
	v_add_f64 v[0:1], v[0:1], v[4:5]
	v_mul_f64 v[4:5], v[42:43], v[66:67]
	v_fma_f64 v[4:5], v[40:41], v[64:65], -v[4:5]
	v_add_f64 v[0:1], v[0:1], v[4:5]
	v_mul_f64 v[4:5], v[46:47], v[58:59]
	;; [unrolled: 3-line block ×4, first 2 shown]
	v_fmac_f64_e32 v[8:9], v[10:11], v[28:29]
	v_fma_f64 v[4:5], v[60:61], v[108:109], -v[4:5]
	v_mul_f64 v[16:17], v[16:17], v[22:23]
	v_add_f64 v[2:3], v[2:3], v[8:9]
	v_fmac_f64_e32 v[12:13], v[14:15], v[24:25]
	v_add_f64 v[0:1], v[0:1], v[4:5]
	v_mul_f64 v[4:5], v[74:75], v[106:107]
	v_add_f64 v[2:3], v[2:3], v[12:13]
	v_fmac_f64_e32 v[16:17], v[18:19], v[20:21]
	v_mul_f64 v[6:7], v[36:37], v[70:71]
	v_fma_f64 v[4:5], v[72:73], v[104:105], -v[4:5]
	v_add_f64 v[2:3], v[2:3], v[16:17]
	v_mul_f64 v[8:9], v[40:41], v[66:67]
	v_fmac_f64_e32 v[6:7], v[38:39], v[68:69]
	v_add_f64 v[0:1], v[0:1], v[4:5]
	v_mul_f64 v[4:5], v[78:79], v[98:99]
	v_mul_f64 v[10:11], v[44:45], v[58:59]
	v_add_f64 v[2:3], v[2:3], v[6:7]
	v_fmac_f64_e32 v[8:9], v[42:43], v[64:65]
	v_fma_f64 v[4:5], v[76:77], v[96:97], -v[4:5]
	v_mul_f64 v[12:13], v[48:49], v[54:55]
	v_add_f64 v[2:3], v[2:3], v[8:9]
	v_fmac_f64_e32 v[10:11], v[46:47], v[56:57]
	v_add_f64 v[0:1], v[0:1], v[4:5]
	v_mul_f64 v[4:5], v[82:83], v[86:87]
	v_add_f64 v[2:3], v[2:3], v[10:11]
	v_fmac_f64_e32 v[12:13], v[50:51], v[52:53]
	v_mul_f64 v[6:7], v[60:61], v[110:111]
	v_fma_f64 v[4:5], v[80:81], v[84:85], -v[4:5]
	v_add_f64 v[2:3], v[2:3], v[12:13]
	v_mul_f64 v[8:9], v[72:73], v[106:107]
	v_add_f64 v[0:1], v[0:1], v[4:5]
	v_fmac_f64_e32 v[6:7], v[62:63], v[108:109]
	v_mul_f64 v[4:5], v[90:91], v[118:119]
	v_mul_f64 v[10:11], v[76:77], v[98:99]
	v_add_f64 v[2:3], v[2:3], v[6:7]
	v_fmac_f64_e32 v[8:9], v[74:75], v[104:105]
	v_fma_f64 v[4:5], v[88:89], v[116:117], -v[4:5]
	v_mul_f64 v[12:13], v[80:81], v[86:87]
	v_add_f64 v[2:3], v[2:3], v[8:9]
	v_fmac_f64_e32 v[10:11], v[78:79], v[96:97]
	v_add_f64 v[0:1], v[0:1], v[4:5]
	v_mul_f64 v[4:5], v[94:95], v[122:123]
	v_add_f64 v[2:3], v[2:3], v[10:11]
	v_fmac_f64_e32 v[12:13], v[82:83], v[84:85]
	v_mul_f64 v[6:7], v[88:89], v[118:119]
	v_fma_f64 v[4:5], v[92:93], v[120:121], -v[4:5]
	v_add_f64 v[2:3], v[2:3], v[12:13]
	v_mul_f64 v[8:9], v[92:93], v[122:123]
	v_add_f64 v[0:1], v[0:1], v[4:5]
	v_mul_f64 v[4:5], v[102:103], v[126:127]
	v_fmac_f64_e32 v[6:7], v[90:91], v[116:117]
	v_fma_f64 v[4:5], v[100:101], v[124:125], -v[4:5]
	v_mul_f64 v[10:11], v[100:101], v[126:127]
	v_fmac_f64_e32 v[8:9], v[94:95], v[120:121]
	v_add_f64 v[2:3], v[2:3], v[6:7]
	v_add_f64 v[0:1], v[0:1], v[4:5]
	v_mul_f64 v[4:5], v[114:115], v[130:131]
	v_mul_f64 v[12:13], v[112:113], v[130:131]
	v_fmac_f64_e32 v[10:11], v[102:103], v[124:125]
	v_add_f64 v[2:3], v[2:3], v[8:9]
	v_fma_f64 v[4:5], v[112:113], v[128:129], -v[4:5]
	v_fmac_f64_e32 v[12:13], v[114:115], v[128:129]
	v_add_f64 v[2:3], v[2:3], v[10:11]
	s_add_i32 s3, s3, 64
	s_add_i32 s2, s2, -1
	v_add_f64 v[0:1], v[0:1], v[4:5]
	v_add_f64 v[2:3], v[2:3], v[12:13]
	s_cmp_eq_u32 s2, 0
	v_lshl_add_u64 v[8:9], v[156:157], 0, s[10:11]
	s_barrier
	s_cbranch_scc1 .LBB28_149
.LBB28_145:                             ; =>This Inner Loop Header: Depth=1
	s_and_saveexec_b64 s[12:13], s[18:19]
	s_cbranch_execz .LBB28_147
; %bb.146:                              ;   in Loop: Header=BB28_145 Depth=1
	s_mul_i32 s14, s49, s3
	s_mul_hi_u32 s15, s48, s3
	s_add_i32 s15, s15, s14
	s_mul_i32 s14, s48, s3
	v_lshl_add_u64 v[4:5], s[14:15], 4, v[152:153]
	global_load_dwordx4 v[4:7], v[4:5], off
	s_waitcnt vmcnt(0)
	ds_write2_b64 v151, v[4:5], v[6:7] offset1:1
.LBB28_147:                             ;   in Loop: Header=BB28_145 Depth=1
	s_or_b64 exec, exec, s[12:13]
	v_lshl_add_u64 v[12:13], v[8:9], 0, s[8:9]
	s_waitcnt lgkmcnt(0)
	s_barrier
	global_load_dwordx4 v[4:7], v[8:9], off
	v_lshl_add_u64 v[16:17], v[12:13], 0, s[8:9]
	global_load_dwordx4 v[8:11], v[12:13], off
	v_lshl_add_u64 v[40:41], v[16:17], 0, s[8:9]
	;; [unrolled: 2-line block ×3, first 2 shown]
	global_load_dwordx4 v[16:19], v[40:41], off
	ds_read_b128 v[36:39], v161
	ds_read_b128 v[32:35], v160
	ds_read_b128 v[28:31], v160 offset:16
	ds_read_b128 v[24:27], v160 offset:32
	;; [unrolled: 1-line block ×3, first 2 shown]
	s_waitcnt vmcnt(3) lgkmcnt(4)
	v_mul_f64 v[40:41], v[6:7], v[38:39]
	v_mul_f64 v[42:43], v[6:7], v[36:37]
	s_waitcnt vmcnt(2)
	v_mul_f64 v[44:45], v[10:11], v[38:39]
	v_mul_f64 v[46:47], v[10:11], v[36:37]
	v_fmac_f64_e32 v[44:45], v[8:9], v[36:37]
	v_fma_f64 v[46:47], v[8:9], v[38:39], -v[46:47]
	v_fmac_f64_e32 v[40:41], v[4:5], v[36:37]
	v_fma_f64 v[42:43], v[4:5], v[38:39], -v[42:43]
	ds_write_b128 v162, v[44:47] offset:1072
	s_waitcnt vmcnt(0)
	v_mul_f64 v[44:45], v[18:19], v[38:39]
	v_mul_f64 v[46:47], v[18:19], v[36:37]
	ds_write_b128 v162, v[40:43]
	v_mul_f64 v[40:41], v[14:15], v[38:39]
	v_mul_f64 v[42:43], v[14:15], v[36:37]
	v_fmac_f64_e32 v[44:45], v[16:17], v[36:37]
	v_fma_f64 v[46:47], v[16:17], v[38:39], -v[46:47]
	v_fmac_f64_e32 v[40:41], v[12:13], v[36:37]
	v_fma_f64 v[42:43], v[12:13], v[38:39], -v[42:43]
	ds_write_b128 v162, v[44:47] offset:3216
	v_lshl_add_u64 v[44:45], v[48:49], 0, s[8:9]
	ds_write_b128 v162, v[40:43] offset:2144
	s_waitcnt lgkmcnt(0)
	s_barrier
	ds_read_b128 v[128:131], v163
	ds_read_b128 v[124:127], v163 offset:16
	ds_read_b128 v[120:123], v163 offset:32
	ds_read_b128 v[116:119], v163 offset:48
	s_waitcnt lgkmcnt(0)
	s_barrier
	global_load_dwordx4 v[36:39], v[48:49], off
	global_load_dwordx4 v[40:43], v[44:45], off
	v_lshl_add_u64 v[48:49], v[44:45], 0, s[8:9]
	v_lshl_add_u64 v[52:53], v[48:49], 0, s[8:9]
	global_load_dwordx4 v[44:47], v[48:49], off
	v_lshl_add_u64 v[88:89], v[52:53], 0, s[10:11]
	global_load_dwordx4 v[48:51], v[52:53], off
	ds_read_b128 v[60:63], v161
	ds_read_b128 v[68:71], v160 offset:256
	ds_read_b128 v[64:67], v160 offset:272
	;; [unrolled: 1-line block ×4, first 2 shown]
	v_add_f64 v[128:129], v[128:129], 0
	v_add_f64 v[130:131], v[130:131], 0
	;; [unrolled: 1-line block ×8, first 2 shown]
	s_waitcnt vmcnt(3) lgkmcnt(4)
	v_mul_f64 v[72:73], v[38:39], v[62:63]
	v_mul_f64 v[74:75], v[38:39], v[60:61]
	s_waitcnt vmcnt(2)
	v_mul_f64 v[76:77], v[42:43], v[62:63]
	v_mul_f64 v[78:79], v[42:43], v[60:61]
	s_waitcnt vmcnt(1)
	;; [unrolled: 3-line block ×3, first 2 shown]
	v_mul_f64 v[86:87], v[50:51], v[60:61]
	v_mul_f64 v[84:85], v[50:51], v[62:63]
	v_fma_f64 v[74:75], v[36:37], v[62:63], -v[74:75]
	v_fmac_f64_e32 v[72:73], v[36:37], v[60:61]
	v_fmac_f64_e32 v[76:77], v[40:41], v[60:61]
	v_fma_f64 v[78:79], v[40:41], v[62:63], -v[78:79]
	v_fma_f64 v[82:83], v[44:45], v[62:63], -v[82:83]
	;; [unrolled: 1-line block ×3, first 2 shown]
	v_fmac_f64_e32 v[80:81], v[44:45], v[60:61]
	v_fmac_f64_e32 v[84:85], v[48:49], v[60:61]
	ds_write_b128 v162, v[72:75]
	ds_write_b128 v162, v[76:79] offset:1072
	ds_write_b128 v162, v[80:83] offset:2144
	;; [unrolled: 1-line block ×3, first 2 shown]
	v_lshl_add_u64 v[76:77], v[88:89], 0, s[8:9]
	v_lshl_add_u64 v[80:81], v[76:77], 0, s[8:9]
	s_waitcnt lgkmcnt(0)
	s_barrier
	ds_read_b128 v[144:147], v163
	ds_read_b128 v[140:143], v163 offset:16
	ds_read_b128 v[136:139], v163 offset:32
	;; [unrolled: 1-line block ×3, first 2 shown]
	s_waitcnt lgkmcnt(0)
	s_barrier
	global_load_dwordx4 v[60:63], v[88:89], off
	global_load_dwordx4 v[72:75], v[76:77], off
	v_lshl_add_u64 v[84:85], v[80:81], 0, s[8:9]
	global_load_dwordx4 v[76:79], v[80:81], off
	v_lshl_add_u64 v[156:157], v[84:85], 0, s[10:11]
	global_load_dwordx4 v[80:83], v[84:85], off
	ds_read_b128 v[88:91], v161
	ds_read_b128 v[108:111], v160 offset:512
	ds_read_b128 v[104:107], v160 offset:528
	ds_read_b128 v[96:99], v160 offset:544
	ds_read_b128 v[84:87], v160 offset:560
	v_add_f64 v[116:117], v[144:145], 0
	v_add_f64 v[118:119], v[146:147], 0
	;; [unrolled: 1-line block ×8, first 2 shown]
	s_waitcnt vmcnt(3) lgkmcnt(4)
	v_mul_f64 v[94:95], v[62:63], v[88:89]
	v_mul_f64 v[92:93], v[62:63], v[90:91]
	s_waitcnt vmcnt(2)
	v_mul_f64 v[100:101], v[74:75], v[90:91]
	v_mul_f64 v[102:103], v[74:75], v[88:89]
	s_waitcnt vmcnt(1)
	;; [unrolled: 3-line block ×3, first 2 shown]
	v_mul_f64 v[170:171], v[82:83], v[88:89]
	v_mul_f64 v[168:169], v[82:83], v[90:91]
	v_fma_f64 v[94:95], v[60:61], v[90:91], -v[94:95]
	v_fmac_f64_e32 v[92:93], v[60:61], v[88:89]
	v_fmac_f64_e32 v[100:101], v[72:73], v[88:89]
	v_fma_f64 v[102:103], v[72:73], v[90:91], -v[102:103]
	v_fma_f64 v[114:115], v[76:77], v[90:91], -v[114:115]
	;; [unrolled: 1-line block ×3, first 2 shown]
	v_fmac_f64_e32 v[112:113], v[76:77], v[88:89]
	v_fmac_f64_e32 v[168:169], v[80:81], v[88:89]
	ds_write_b128 v162, v[92:95]
	ds_write_b128 v162, v[100:103] offset:1072
	ds_write_b128 v162, v[112:115] offset:2144
	;; [unrolled: 1-line block ×3, first 2 shown]
	v_lshl_add_u64 v[100:101], v[156:157], 0, s[8:9]
	v_lshl_add_u64 v[112:113], v[100:101], 0, s[8:9]
	s_waitcnt lgkmcnt(0)
	s_barrier
	ds_read_b128 v[168:171], v163
	ds_read_b128 v[172:175], v163 offset:16
	ds_read_b128 v[176:179], v163 offset:32
	;; [unrolled: 1-line block ×3, first 2 shown]
	s_waitcnt lgkmcnt(0)
	s_barrier
	global_load_dwordx4 v[88:91], v[156:157], off
	global_load_dwordx4 v[92:95], v[100:101], off
	v_lshl_add_u64 v[156:157], v[112:113], 0, s[8:9]
	global_load_dwordx4 v[100:103], v[112:113], off
	v_add_f64 v[140:141], v[168:169], 0
	global_load_dwordx4 v[112:115], v[156:157], off
	ds_read_b128 v[136:139], v161
	ds_read_b128 v[116:119], v160 offset:768
	ds_read_b128 v[120:123], v160 offset:784
	;; [unrolled: 1-line block ×4, first 2 shown]
	v_add_f64 v[142:143], v[170:171], 0
	v_add_f64 v[140:141], v[140:141], v[172:173]
	;; [unrolled: 1-line block ×7, first 2 shown]
	s_waitcnt vmcnt(3) lgkmcnt(4)
	v_mul_f64 v[146:147], v[90:91], v[136:137]
	v_mul_f64 v[144:145], v[90:91], v[138:139]
	s_waitcnt vmcnt(2)
	v_mul_f64 v[170:171], v[94:95], v[136:137]
	v_mul_f64 v[168:169], v[94:95], v[138:139]
	s_waitcnt vmcnt(1)
	;; [unrolled: 3-line block ×3, first 2 shown]
	v_mul_f64 v[178:179], v[114:115], v[136:137]
	v_mul_f64 v[176:177], v[114:115], v[138:139]
	v_fma_f64 v[146:147], v[88:89], v[138:139], -v[146:147]
	v_fma_f64 v[170:171], v[92:93], v[138:139], -v[170:171]
	;; [unrolled: 1-line block ×3, first 2 shown]
	v_fmac_f64_e32 v[144:145], v[88:89], v[136:137]
	v_fmac_f64_e32 v[168:169], v[92:93], v[136:137]
	;; [unrolled: 1-line block ×3, first 2 shown]
	v_fma_f64 v[178:179], v[112:113], v[138:139], -v[178:179]
	v_fmac_f64_e32 v[176:177], v[112:113], v[136:137]
	ds_write_b128 v162, v[144:147]
	ds_write_b128 v162, v[168:171] offset:1072
	ds_write_b128 v162, v[172:175] offset:2144
	;; [unrolled: 1-line block ×3, first 2 shown]
	s_waitcnt lgkmcnt(0)
	s_barrier
	ds_read_b128 v[136:139], v163
	ds_read_b128 v[144:147], v163 offset:16
	ds_read_b128 v[168:171], v163 offset:32
	;; [unrolled: 1-line block ×3, first 2 shown]
	s_waitcnt lgkmcnt(0)
	s_barrier
	ds_write_b128 v166, v[184:187]
	ds_write_b128 v166, v[132:135] offset:256
	ds_write_b128 v166, v[140:143] offset:512
	v_add_f64 v[132:133], v[136:137], 0
	v_add_f64 v[134:135], v[138:139], 0
	;; [unrolled: 1-line block ×8, first 2 shown]
	ds_write_b128 v166, v[132:135] offset:768
	s_waitcnt lgkmcnt(0)
	s_barrier
	s_and_saveexec_b64 s[12:13], s[0:1]
	s_cbranch_execz .LBB28_144
; %bb.148:                              ;   in Loop: Header=BB28_145 Depth=1
	ds_read_b128 v[132:135], v164
	ds_read_b128 v[136:139], v164 offset:16
	ds_read_b128 v[140:143], v164 offset:32
	;; [unrolled: 1-line block ×3, first 2 shown]
	v_add_u32_e32 v154, s3, v159
	s_waitcnt lgkmcnt(2)
	v_add_f64 v[132:133], v[136:137], v[132:133]
	v_add_f64 v[136:137], v[138:139], v[134:135]
	s_waitcnt lgkmcnt(1)
	v_add_f64 v[138:139], v[132:133], v[140:141]
	ds_read_b128 v[132:135], v164 offset:64
	v_add_f64 v[140:141], v[136:137], v[142:143]
	s_waitcnt lgkmcnt(1)
	v_add_f64 v[142:143], v[138:139], v[144:145]
	ds_read_b128 v[136:139], v164 offset:80
	;; [unrolled: 4-line block ×9, first 2 shown]
	v_add_f64 v[134:135], v[144:145], v[134:135]
	s_waitcnt lgkmcnt(1)
	v_add_f64 v[136:137], v[132:133], v[136:137]
	v_add_f64 v[144:145], v[134:135], v[138:139]
	ds_read_b128 v[132:135], v164 offset:208
	s_waitcnt lgkmcnt(1)
	v_add_f64 v[146:147], v[136:137], v[140:141]
	ds_read_b128 v[136:139], v164 offset:224
	v_add_f64 v[144:145], v[144:145], v[142:143]
	ds_read_b128 v[140:143], v165
	s_waitcnt lgkmcnt(2)
	v_add_f64 v[132:133], v[146:147], v[132:133]
	v_add_f64 v[134:135], v[144:145], v[134:135]
	s_waitcnt lgkmcnt(1)
	v_add_f64 v[132:133], v[132:133], v[136:137]
	v_add_f64 v[134:135], v[134:135], v[138:139]
	;; [unrolled: 3-line block ×3, first 2 shown]
	v_lshl_add_u64 v[136:137], v[154:155], 4, s[6:7]
	global_store_dwordx4 v[136:137], v[132:135], off
	s_branch .LBB28_144
.LBB28_149:
	s_movk_i32 s0, 0x430
	v_mad_u32_u24 v4, v158, s0, v150
	s_nor_b64 s[0:1], s[4:5], vcc
	ds_write_b128 v4, v[0:3]
	s_waitcnt lgkmcnt(0)
	s_barrier
	s_and_saveexec_b64 s[2:3], s[0:1]
	s_cbranch_execz .LBB28_151
; %bb.150:
	ds_read_b128 v[0:3], v150 offset:1072
	ds_read_b128 v[4:7], v150
	ds_read_b128 v[8:11], v150 offset:2144
	ds_read_b128 v[12:15], v150 offset:3216
	s_waitcnt lgkmcnt(2)
	v_add_f64 v[0:1], v[0:1], v[4:5]
	v_add_f64 v[2:3], v[2:3], v[6:7]
	s_waitcnt lgkmcnt(1)
	v_add_f64 v[0:1], v[0:1], v[8:9]
	v_add_f64 v[2:3], v[2:3], v[10:11]
	;; [unrolled: 3-line block ×3, first 2 shown]
	v_lshl_add_u64 v[4:5], v[148:149], 4, s[6:7]
	global_store_dwordx4 v[4:5], v[0:3], off
.LBB28_151:
	s_endpgm
	.section	.rodata,"a",@progbits
	.p2align	6, 0x0
	.amdhsa_kernel _ZL26rocblas_hemvn_kernel_lowerILb1ELi64ELi4ELi33ELi32ELi16El19rocblas_complex_numIdEPKS1_PS1_EviT6_lT7_lT5_lS6_lS7_lS5_lT8_i
		.amdhsa_group_segment_fixed_size 19200
		.amdhsa_private_segment_fixed_size 0
		.amdhsa_kernarg_size 392
		.amdhsa_user_sgpr_count 2
		.amdhsa_user_sgpr_dispatch_ptr 0
		.amdhsa_user_sgpr_queue_ptr 0
		.amdhsa_user_sgpr_kernarg_segment_ptr 1
		.amdhsa_user_sgpr_dispatch_id 0
		.amdhsa_user_sgpr_kernarg_preload_length 0
		.amdhsa_user_sgpr_kernarg_preload_offset 0
		.amdhsa_user_sgpr_private_segment_size 0
		.amdhsa_uses_dynamic_stack 0
		.amdhsa_enable_private_segment 0
		.amdhsa_system_sgpr_workgroup_id_x 1
		.amdhsa_system_sgpr_workgroup_id_y 0
		.amdhsa_system_sgpr_workgroup_id_z 1
		.amdhsa_system_sgpr_workgroup_info 0
		.amdhsa_system_vgpr_workitem_id 1
		.amdhsa_next_free_vgpr 188
		.amdhsa_next_free_sgpr 53
		.amdhsa_accum_offset 188
		.amdhsa_reserve_vcc 1
		.amdhsa_float_round_mode_32 0
		.amdhsa_float_round_mode_16_64 0
		.amdhsa_float_denorm_mode_32 3
		.amdhsa_float_denorm_mode_16_64 3
		.amdhsa_dx10_clamp 1
		.amdhsa_ieee_mode 1
		.amdhsa_fp16_overflow 0
		.amdhsa_tg_split 0
		.amdhsa_exception_fp_ieee_invalid_op 0
		.amdhsa_exception_fp_denorm_src 0
		.amdhsa_exception_fp_ieee_div_zero 0
		.amdhsa_exception_fp_ieee_overflow 0
		.amdhsa_exception_fp_ieee_underflow 0
		.amdhsa_exception_fp_ieee_inexact 0
		.amdhsa_exception_int_div_zero 0
	.end_amdhsa_kernel
	.section	.text._ZL26rocblas_hemvn_kernel_lowerILb1ELi64ELi4ELi33ELi32ELi16El19rocblas_complex_numIdEPKS1_PS1_EviT6_lT7_lT5_lS6_lS7_lS5_lT8_i,"axG",@progbits,_ZL26rocblas_hemvn_kernel_lowerILb1ELi64ELi4ELi33ELi32ELi16El19rocblas_complex_numIdEPKS1_PS1_EviT6_lT7_lT5_lS6_lS7_lS5_lT8_i,comdat
.Lfunc_end28:
	.size	_ZL26rocblas_hemvn_kernel_lowerILb1ELi64ELi4ELi33ELi32ELi16El19rocblas_complex_numIdEPKS1_PS1_EviT6_lT7_lT5_lS6_lS7_lS5_lT8_i, .Lfunc_end28-_ZL26rocblas_hemvn_kernel_lowerILb1ELi64ELi4ELi33ELi32ELi16El19rocblas_complex_numIdEPKS1_PS1_EviT6_lT7_lT5_lS6_lS7_lS5_lT8_i
                                        ; -- End function
	.set _ZL26rocblas_hemvn_kernel_lowerILb1ELi64ELi4ELi33ELi32ELi16El19rocblas_complex_numIdEPKS1_PS1_EviT6_lT7_lT5_lS6_lS7_lS5_lT8_i.num_vgpr, 188
	.set _ZL26rocblas_hemvn_kernel_lowerILb1ELi64ELi4ELi33ELi32ELi16El19rocblas_complex_numIdEPKS1_PS1_EviT6_lT7_lT5_lS6_lS7_lS5_lT8_i.num_agpr, 0
	.set _ZL26rocblas_hemvn_kernel_lowerILb1ELi64ELi4ELi33ELi32ELi16El19rocblas_complex_numIdEPKS1_PS1_EviT6_lT7_lT5_lS6_lS7_lS5_lT8_i.numbered_sgpr, 53
	.set _ZL26rocblas_hemvn_kernel_lowerILb1ELi64ELi4ELi33ELi32ELi16El19rocblas_complex_numIdEPKS1_PS1_EviT6_lT7_lT5_lS6_lS7_lS5_lT8_i.num_named_barrier, 0
	.set _ZL26rocblas_hemvn_kernel_lowerILb1ELi64ELi4ELi33ELi32ELi16El19rocblas_complex_numIdEPKS1_PS1_EviT6_lT7_lT5_lS6_lS7_lS5_lT8_i.private_seg_size, 0
	.set _ZL26rocblas_hemvn_kernel_lowerILb1ELi64ELi4ELi33ELi32ELi16El19rocblas_complex_numIdEPKS1_PS1_EviT6_lT7_lT5_lS6_lS7_lS5_lT8_i.uses_vcc, 1
	.set _ZL26rocblas_hemvn_kernel_lowerILb1ELi64ELi4ELi33ELi32ELi16El19rocblas_complex_numIdEPKS1_PS1_EviT6_lT7_lT5_lS6_lS7_lS5_lT8_i.uses_flat_scratch, 0
	.set _ZL26rocblas_hemvn_kernel_lowerILb1ELi64ELi4ELi33ELi32ELi16El19rocblas_complex_numIdEPKS1_PS1_EviT6_lT7_lT5_lS6_lS7_lS5_lT8_i.has_dyn_sized_stack, 0
	.set _ZL26rocblas_hemvn_kernel_lowerILb1ELi64ELi4ELi33ELi32ELi16El19rocblas_complex_numIdEPKS1_PS1_EviT6_lT7_lT5_lS6_lS7_lS5_lT8_i.has_recursion, 0
	.set _ZL26rocblas_hemvn_kernel_lowerILb1ELi64ELi4ELi33ELi32ELi16El19rocblas_complex_numIdEPKS1_PS1_EviT6_lT7_lT5_lS6_lS7_lS5_lT8_i.has_indirect_call, 0
	.section	.AMDGPU.csdata,"",@progbits
; Kernel info:
; codeLenInByte = 9740
; TotalNumSgprs: 59
; NumVgprs: 188
; NumAgprs: 0
; TotalNumVgprs: 188
; ScratchSize: 0
; MemoryBound: 0
; FloatMode: 240
; IeeeMode: 1
; LDSByteSize: 19200 bytes/workgroup (compile time only)
; SGPRBlocks: 7
; VGPRBlocks: 23
; NumSGPRsForWavesPerEU: 59
; NumVGPRsForWavesPerEU: 188
; AccumOffset: 188
; Occupancy: 2
; WaveLimiterHint : 0
; COMPUTE_PGM_RSRC2:SCRATCH_EN: 0
; COMPUTE_PGM_RSRC2:USER_SGPR: 2
; COMPUTE_PGM_RSRC2:TRAP_HANDLER: 0
; COMPUTE_PGM_RSRC2:TGID_X_EN: 1
; COMPUTE_PGM_RSRC2:TGID_Y_EN: 0
; COMPUTE_PGM_RSRC2:TGID_Z_EN: 1
; COMPUTE_PGM_RSRC2:TIDIG_COMP_CNT: 1
; COMPUTE_PGM_RSRC3_GFX90A:ACCUM_OFFSET: 46
; COMPUTE_PGM_RSRC3_GFX90A:TG_SPLIT: 0
	.section	.text._ZL36rocblas_hemvn_kernel_lower_block_sumILi64El19rocblas_complex_numIdEPS1_S1_EviT1_lS3_lT2_lT0_lPT3_i,"axG",@progbits,_ZL36rocblas_hemvn_kernel_lower_block_sumILi64El19rocblas_complex_numIdEPS1_S1_EviT1_lS3_lT2_lT0_lPT3_i,comdat
	.globl	_ZL36rocblas_hemvn_kernel_lower_block_sumILi64El19rocblas_complex_numIdEPS1_S1_EviT1_lS3_lT2_lT0_lPT3_i ; -- Begin function _ZL36rocblas_hemvn_kernel_lower_block_sumILi64El19rocblas_complex_numIdEPS1_S1_EviT1_lS3_lT2_lT0_lPT3_i
	.p2align	8
	.type	_ZL36rocblas_hemvn_kernel_lower_block_sumILi64El19rocblas_complex_numIdEPS1_S1_EviT1_lS3_lT2_lT0_lPT3_i,@function
_ZL36rocblas_hemvn_kernel_lower_block_sumILi64El19rocblas_complex_numIdEPS1_S1_EviT1_lS3_lT2_lT0_lPT3_i: ; @_ZL36rocblas_hemvn_kernel_lower_block_sumILi64El19rocblas_complex_numIdEPS1_S1_EviT1_lS3_lT2_lT0_lPT3_i
; %bb.0:
	s_load_dwordx4 s[12:15], s[0:1], 0x8
	s_load_dwordx4 s[8:11], s[0:1], 0x20
	s_waitcnt lgkmcnt(0)
	v_cmp_neq_f64_e64 s[4:5], s[12:13], 0
	v_cmp_neq_f64_e64 s[6:7], s[14:15], 0
	s_or_b64 s[4:5], s[4:5], s[6:7]
	s_mov_b64 s[6:7], -1
	s_and_b64 vcc, exec, s[4:5]
	s_cbranch_vccnz .LBB29_2
; %bb.1:
	v_cmp_neq_f64_e64 s[6:7], s[8:9], 1.0
	v_cmp_neq_f64_e64 s[16:17], s[10:11], 0
	s_or_b64 s[6:7], s[6:7], s[16:17]
.LBB29_2:
	s_andn2_b64 vcc, exec, s[6:7]
	s_cbranch_vccnz .LBB29_22
; %bb.3:
	s_load_dwordx2 s[16:17], s[0:1], 0x50
	s_xor_b64 s[18:19], s[4:5], -1
	s_load_dwordx2 s[22:23], s[0:1], 0x38
	s_load_dword s20, s[0:1], 0x0
	s_load_dwordx4 s[4:7], s[0:1], 0x40
	v_lshl_or_b32 v6, s2, 6, v0
	s_waitcnt lgkmcnt(0)
	s_mul_i32 s17, s17, s3
	s_mul_hi_u32 s21, s16, s3
	s_add_i32 s17, s21, s17
	s_mul_i32 s16, s16, s3
	s_lshl_b64 s[16:17], s[16:17], 4
	s_add_u32 s16, s22, s16
	s_addc_u32 s17, s23, s17
	s_lshl_b64 s[4:5], s[4:5], 4
	s_add_u32 s16, s16, s4
	s_addc_u32 s17, s17, s5
	s_andn2_b64 vcc, exec, s[18:19]
	v_cmp_gt_i32_e64 s[4:5], s20, v6
	s_cbranch_vccnz .LBB29_8
; %bb.4:
	s_mov_b64 s[22:23], 0
	s_mov_b64 s[18:19], 0
                                        ; implicit-def: $vgpr2_vgpr3
                                        ; implicit-def: $vgpr4_vgpr5
	s_and_saveexec_b64 s[24:25], s[4:5]
	s_cbranch_execz .LBB29_9
; %bb.5:
	v_cmp_neq_f64_e64 s[4:5], s[8:9], 0
	v_cmp_neq_f64_e64 s[18:19], s[10:11], 0
	v_ashrrev_i32_e32 v0, 31, v6
	v_mul_lo_u32 v1, s7, v6
	v_mul_lo_u32 v0, s6, v0
	v_mad_u64_u32 v[4:5], s[26:27], s6, v6, 0
	s_or_b64 s[4:5], s[4:5], s[18:19]
	v_mov_b64_e32 v[2:3], 0
	v_add3_u32 v5, v5, v0, v1
	s_andn2_b64 vcc, exec, s[4:5]
	v_mov_b64_e32 v[0:1], 0
	s_cbranch_vccnz .LBB29_7
; %bb.6:
	v_lshl_add_u64 v[0:1], v[4:5], 4, s[16:17]
	global_load_dwordx4 v[8:11], v[0:1], off
	s_waitcnt vmcnt(0)
	v_mul_f64 v[0:1], s[10:11], v[10:11]
	v_mul_f64 v[2:3], s[8:9], v[10:11]
	v_fma_f64 v[0:1], s[8:9], v[8:9], -v[0:1]
	v_fmac_f64_e32 v[2:3], s[10:11], v[8:9]
.LBB29_7:
	s_mov_b64 s[18:19], exec
	s_or_b64 exec, exec, s[24:25]
	s_and_b64 vcc, exec, s[22:23]
	s_cbranch_vccnz .LBB29_10
	s_branch .LBB29_20
.LBB29_8:
	s_mov_b64 s[18:19], 0
                                        ; implicit-def: $vgpr2_vgpr3
                                        ; implicit-def: $vgpr4_vgpr5
	s_cbranch_execnz .LBB29_10
	s_branch .LBB29_20
.LBB29_9:
	s_or_b64 exec, exec, s[24:25]
	s_and_b64 vcc, exec, s[22:23]
	s_cbranch_vccz .LBB29_20
.LBB29_10:
	v_cmp_gt_i32_e32 vcc, s20, v6
                                        ; implicit-def: $vgpr2_vgpr3
                                        ; implicit-def: $vgpr4_vgpr5
	s_and_saveexec_b64 s[4:5], vcc
	s_cbranch_execz .LBB29_19
; %bb.11:
	s_load_dword s22, s[0:1], 0x68
	v_mov_b64_e32 v[0:1], 0
	v_mov_b64_e32 v[4:5], 0
	s_waitcnt lgkmcnt(0)
	s_cmp_ge_i32 s2, s22
	s_cbranch_scc1 .LBB29_14
; %bb.12:
	s_ashr_i32 s21, s20, 31
	s_mul_i32 s23, s20, s2
	s_load_dwordx2 s[0:1], s[0:1], 0x58
	v_add_u32_e32 v0, s23, v6
	s_mul_hi_u32 s23, s20, s3
	s_mul_i32 s24, s21, s3
	s_add_i32 s23, s23, s24
	s_mul_i32 s3, s20, s3
	s_mul_i32 s23, s23, s22
	s_mul_hi_u32 s24, s3, s22
	s_add_i32 s25, s24, s23
	s_mul_i32 s24, s3, s22
	s_lshl_b64 s[24:25], s[24:25], 4
	s_waitcnt lgkmcnt(0)
	s_add_u32 s0, s0, s24
	v_ashrrev_i32_e32 v1, 31, v0
	s_addc_u32 s1, s1, s25
	v_lshl_add_u64 v[0:1], v[0:1], 4, s[0:1]
	v_lshl_add_u64 v[2:3], v[0:1], 0, 8
	s_lshl_b64 s[0:1], s[20:21], 4
	v_mov_b64_e32 v[0:1], 0
	v_mov_b64_e32 v[4:5], 0
.LBB29_13:                              ; =>This Inner Loop Header: Depth=1
	global_load_dwordx4 v[8:11], v[2:3], off offset:-8
	s_add_i32 s2, s2, 1
	v_lshl_add_u64 v[2:3], v[2:3], 0, s[0:1]
	s_cmp_ge_i32 s2, s22
	s_waitcnt vmcnt(0)
	v_add_f64 v[4:5], v[4:5], v[8:9]
	v_add_f64 v[0:1], v[0:1], v[10:11]
	s_cbranch_scc0 .LBB29_13
.LBB29_14:
	v_cmp_neq_f64_e64 s[2:3], s[8:9], 0
	v_cmp_neq_f64_e64 s[20:21], s[10:11], 0
	s_or_b64 s[2:3], s[2:3], s[20:21]
	v_mul_f64 v[8:9], s[14:15], v[0:1]
	v_mul_f64 v[2:3], s[12:13], v[0:1]
	v_ashrrev_i32_e32 v10, 31, v6
	s_mov_b64 s[0:1], 0
	s_andn2_b64 vcc, exec, s[2:3]
	v_fma_f64 v[0:1], s[12:13], v[4:5], -v[8:9]
	v_fmac_f64_e32 v[2:3], s[14:15], v[4:5]
	v_mul_lo_u32 v7, s7, v6
	v_mul_lo_u32 v8, s6, v10
	s_cbranch_vccz .LBB29_16
; %bb.15:
	v_mad_u64_u32 v[4:5], s[2:3], s6, v6, 0
	v_add3_u32 v5, v5, v8, v7
	s_andn2_b64 vcc, exec, s[0:1]
	s_cbranch_vccz .LBB29_17
	s_branch .LBB29_18
.LBB29_16:
                                        ; implicit-def: $vgpr4_vgpr5
.LBB29_17:
	v_mad_u64_u32 v[4:5], s[0:1], s6, v6, 0
	v_add3_u32 v5, v5, v8, v7
	v_lshl_add_u64 v[6:7], v[4:5], 4, s[16:17]
	global_load_dwordx4 v[6:9], v[6:7], off
	s_waitcnt vmcnt(0)
	v_mul_f64 v[10:11], s[10:11], v[8:9]
	v_mul_f64 v[8:9], s[8:9], v[8:9]
	v_fma_f64 v[10:11], s[8:9], v[6:7], -v[10:11]
	v_fmac_f64_e32 v[8:9], s[10:11], v[6:7]
	v_add_f64 v[0:1], v[0:1], v[10:11]
	v_add_f64 v[2:3], v[2:3], v[8:9]
.LBB29_18:
	s_or_b64 s[18:19], s[18:19], exec
.LBB29_19:
	s_or_b64 exec, exec, s[4:5]
.LBB29_20:
	s_and_saveexec_b64 s[0:1], s[18:19]
	s_cbranch_execz .LBB29_22
; %bb.21:
	v_lshl_add_u64 v[4:5], v[4:5], 4, s[16:17]
	global_store_dwordx4 v[4:5], v[0:3], off
.LBB29_22:
	s_endpgm
	.section	.rodata,"a",@progbits
	.p2align	6, 0x0
	.amdhsa_kernel _ZL36rocblas_hemvn_kernel_lower_block_sumILi64El19rocblas_complex_numIdEPS1_S1_EviT1_lS3_lT2_lT0_lPT3_i
		.amdhsa_group_segment_fixed_size 0
		.amdhsa_private_segment_fixed_size 0
		.amdhsa_kernarg_size 360
		.amdhsa_user_sgpr_count 2
		.amdhsa_user_sgpr_dispatch_ptr 0
		.amdhsa_user_sgpr_queue_ptr 0
		.amdhsa_user_sgpr_kernarg_segment_ptr 1
		.amdhsa_user_sgpr_dispatch_id 0
		.amdhsa_user_sgpr_kernarg_preload_length 0
		.amdhsa_user_sgpr_kernarg_preload_offset 0
		.amdhsa_user_sgpr_private_segment_size 0
		.amdhsa_uses_dynamic_stack 0
		.amdhsa_enable_private_segment 0
		.amdhsa_system_sgpr_workgroup_id_x 1
		.amdhsa_system_sgpr_workgroup_id_y 0
		.amdhsa_system_sgpr_workgroup_id_z 1
		.amdhsa_system_sgpr_workgroup_info 0
		.amdhsa_system_vgpr_workitem_id 0
		.amdhsa_next_free_vgpr 12
		.amdhsa_next_free_sgpr 28
		.amdhsa_accum_offset 12
		.amdhsa_reserve_vcc 1
		.amdhsa_float_round_mode_32 0
		.amdhsa_float_round_mode_16_64 0
		.amdhsa_float_denorm_mode_32 3
		.amdhsa_float_denorm_mode_16_64 3
		.amdhsa_dx10_clamp 1
		.amdhsa_ieee_mode 1
		.amdhsa_fp16_overflow 0
		.amdhsa_tg_split 0
		.amdhsa_exception_fp_ieee_invalid_op 0
		.amdhsa_exception_fp_denorm_src 0
		.amdhsa_exception_fp_ieee_div_zero 0
		.amdhsa_exception_fp_ieee_overflow 0
		.amdhsa_exception_fp_ieee_underflow 0
		.amdhsa_exception_fp_ieee_inexact 0
		.amdhsa_exception_int_div_zero 0
	.end_amdhsa_kernel
	.section	.text._ZL36rocblas_hemvn_kernel_lower_block_sumILi64El19rocblas_complex_numIdEPS1_S1_EviT1_lS3_lT2_lT0_lPT3_i,"axG",@progbits,_ZL36rocblas_hemvn_kernel_lower_block_sumILi64El19rocblas_complex_numIdEPS1_S1_EviT1_lS3_lT2_lT0_lPT3_i,comdat
.Lfunc_end29:
	.size	_ZL36rocblas_hemvn_kernel_lower_block_sumILi64El19rocblas_complex_numIdEPS1_S1_EviT1_lS3_lT2_lT0_lPT3_i, .Lfunc_end29-_ZL36rocblas_hemvn_kernel_lower_block_sumILi64El19rocblas_complex_numIdEPS1_S1_EviT1_lS3_lT2_lT0_lPT3_i
                                        ; -- End function
	.set _ZL36rocblas_hemvn_kernel_lower_block_sumILi64El19rocblas_complex_numIdEPS1_S1_EviT1_lS3_lT2_lT0_lPT3_i.num_vgpr, 12
	.set _ZL36rocblas_hemvn_kernel_lower_block_sumILi64El19rocblas_complex_numIdEPS1_S1_EviT1_lS3_lT2_lT0_lPT3_i.num_agpr, 0
	.set _ZL36rocblas_hemvn_kernel_lower_block_sumILi64El19rocblas_complex_numIdEPS1_S1_EviT1_lS3_lT2_lT0_lPT3_i.numbered_sgpr, 28
	.set _ZL36rocblas_hemvn_kernel_lower_block_sumILi64El19rocblas_complex_numIdEPS1_S1_EviT1_lS3_lT2_lT0_lPT3_i.num_named_barrier, 0
	.set _ZL36rocblas_hemvn_kernel_lower_block_sumILi64El19rocblas_complex_numIdEPS1_S1_EviT1_lS3_lT2_lT0_lPT3_i.private_seg_size, 0
	.set _ZL36rocblas_hemvn_kernel_lower_block_sumILi64El19rocblas_complex_numIdEPS1_S1_EviT1_lS3_lT2_lT0_lPT3_i.uses_vcc, 1
	.set _ZL36rocblas_hemvn_kernel_lower_block_sumILi64El19rocblas_complex_numIdEPS1_S1_EviT1_lS3_lT2_lT0_lPT3_i.uses_flat_scratch, 0
	.set _ZL36rocblas_hemvn_kernel_lower_block_sumILi64El19rocblas_complex_numIdEPS1_S1_EviT1_lS3_lT2_lT0_lPT3_i.has_dyn_sized_stack, 0
	.set _ZL36rocblas_hemvn_kernel_lower_block_sumILi64El19rocblas_complex_numIdEPS1_S1_EviT1_lS3_lT2_lT0_lPT3_i.has_recursion, 0
	.set _ZL36rocblas_hemvn_kernel_lower_block_sumILi64El19rocblas_complex_numIdEPS1_S1_EviT1_lS3_lT2_lT0_lPT3_i.has_indirect_call, 0
	.section	.AMDGPU.csdata,"",@progbits
; Kernel info:
; codeLenInByte = 776
; TotalNumSgprs: 34
; NumVgprs: 12
; NumAgprs: 0
; TotalNumVgprs: 12
; ScratchSize: 0
; MemoryBound: 0
; FloatMode: 240
; IeeeMode: 1
; LDSByteSize: 0 bytes/workgroup (compile time only)
; SGPRBlocks: 4
; VGPRBlocks: 1
; NumSGPRsForWavesPerEU: 34
; NumVGPRsForWavesPerEU: 12
; AccumOffset: 12
; Occupancy: 8
; WaveLimiterHint : 0
; COMPUTE_PGM_RSRC2:SCRATCH_EN: 0
; COMPUTE_PGM_RSRC2:USER_SGPR: 2
; COMPUTE_PGM_RSRC2:TRAP_HANDLER: 0
; COMPUTE_PGM_RSRC2:TGID_X_EN: 1
; COMPUTE_PGM_RSRC2:TGID_Y_EN: 0
; COMPUTE_PGM_RSRC2:TGID_Z_EN: 1
; COMPUTE_PGM_RSRC2:TIDIG_COMP_CNT: 0
; COMPUTE_PGM_RSRC3_GFX90A:ACCUM_OFFSET: 2
; COMPUTE_PGM_RSRC3_GFX90A:TG_SPLIT: 0
	.section	.text._ZL26rocblas_hemvn_kernel_lowerILb1ELi64ELi4ELi33ELi32ELi16Ei19rocblas_complex_numIdEPKS1_PS1_EviT6_lT7_lT5_lS6_lS7_lS5_lT8_i,"axG",@progbits,_ZL26rocblas_hemvn_kernel_lowerILb1ELi64ELi4ELi33ELi32ELi16Ei19rocblas_complex_numIdEPKS1_PS1_EviT6_lT7_lT5_lS6_lS7_lS5_lT8_i,comdat
	.globl	_ZL26rocblas_hemvn_kernel_lowerILb1ELi64ELi4ELi33ELi32ELi16Ei19rocblas_complex_numIdEPKS1_PS1_EviT6_lT7_lT5_lS6_lS7_lS5_lT8_i ; -- Begin function _ZL26rocblas_hemvn_kernel_lowerILb1ELi64ELi4ELi33ELi32ELi16Ei19rocblas_complex_numIdEPKS1_PS1_EviT6_lT7_lT5_lS6_lS7_lS5_lT8_i
	.p2align	8
	.type	_ZL26rocblas_hemvn_kernel_lowerILb1ELi64ELi4ELi33ELi32ELi16Ei19rocblas_complex_numIdEPKS1_PS1_EviT6_lT7_lT5_lS6_lS7_lS5_lT8_i,@function
_ZL26rocblas_hemvn_kernel_lowerILb1ELi64ELi4ELi33ELi32ELi16Ei19rocblas_complex_numIdEPKS1_PS1_EviT6_lT7_lT5_lS6_lS7_lS5_lT8_i: ; @_ZL26rocblas_hemvn_kernel_lowerILb1ELi64ELi4ELi33ELi32ELi16Ei19rocblas_complex_numIdEPKS1_PS1_EviT6_lT7_lT5_lS6_lS7_lS5_lT8_i
; %bb.0:
	s_load_dwordx2 s[4:5], s[0:1], 0x94
	s_add_u32 s12, s0, 0x88
	s_addc_u32 s13, s1, 0
	s_waitcnt lgkmcnt(0)
	s_lshr_b32 s6, s4, 16
	s_and_b32 s4, s4, 0xffff
	s_and_b32 s5, s5, 0xffff
	s_mul_i32 s4, s6, s4
	s_mul_i32 s4, s4, s5
	s_cmpk_lg_i32 s4, 0x100
	s_cbranch_scc1 .LBB30_151
; %bb.1:
	s_load_dwordx4 s[16:19], s[0:1], 0x8
	s_load_dwordx4 s[4:7], s[0:1], 0x58
	s_load_dwordx2 s[10:11], s[0:1], 0x68
	s_waitcnt lgkmcnt(0)
	v_cmp_neq_f64_e64 s[8:9], s[16:17], 0
	v_cmp_neq_f64_e64 s[14:15], s[18:19], 0
	s_or_b64 s[8:9], s[8:9], s[14:15]
	s_mov_b64 s[14:15], -1
	s_and_b64 vcc, exec, s[8:9]
	s_cbranch_vccnz .LBB30_3
; %bb.2:
	v_cmp_neq_f64_e64 s[6:7], s[6:7], 1.0
	v_cmp_neq_f64_e64 s[10:11], s[10:11], 0
	s_or_b64 s[14:15], s[6:7], s[10:11]
.LBB30_3:
	s_andn2_b64 vcc, exec, s[14:15]
	s_cbranch_vccnz .LBB30_151
; %bb.4:
	s_andn2_b64 vcc, exec, s[8:9]
	s_cbranch_vccnz .LBB30_151
; %bb.5:
	s_load_dword s39, s[12:13], 0x0
	s_load_dword s38, s[0:1], 0x0
	s_load_dwordx4 s[8:11], s[0:1], 0x38
	s_load_dwordx2 s[6:7], s[0:1], 0x48
	s_load_dword s33, s[0:1], 0x50
	s_mul_i32 s5, s5, s3
	s_mul_hi_u32 s12, s4, s3
	s_add_i32 s5, s12, s5
	s_mul_i32 s4, s4, s3
	s_lshl_b64 s[4:5], s[4:5], 4
	s_waitcnt lgkmcnt(0)
	s_add_u32 s10, s10, s4
	s_addc_u32 s11, s11, s5
	s_lshl_b64 s[4:5], s[6:7], 4
	s_add_u32 s4, s10, s4
	s_addc_u32 s5, s11, s5
	s_ashr_i32 s40, s38, 31
	s_lshr_b32 s7, s40, 26
	v_and_b32_e32 v150, 0x3ff, v0
	s_lshl_b32 s26, s2, 6
	s_add_i32 s7, s38, s7
	s_andn2_b32 s7, s7, 63
	v_add_u32_e32 v148, s26, v150
	v_bfe_u32 v149, v0, 10, 10
	s_add_i32 s6, s39, -1
	s_sub_i32 s7, s38, s7
	v_mul_lo_u32 v0, s33, v148
	s_cmp_eq_u32 s2, s6
	v_ashrrev_i32_e32 v1, 31, v0
	s_cselect_b32 s22, s7, 0
	v_lshl_add_u64 v[36:37], v[0:1], 4, s[4:5]
	v_cmp_ne_u32_e64 s[4:5], 0, v149
	v_cmp_eq_u32_e64 s[18:19], 0, v149
	s_and_saveexec_b64 s[6:7], s[18:19]
	s_cbranch_execz .LBB30_10
; %bb.6:
	s_cmp_lg_u32 s22, 0
	s_cselect_b64 s[10:11], -1, 0
	v_cmp_le_i32_e32 vcc, s22, v150
	v_mov_b32_e32 v0, 0x4700
	s_and_b64 s[10:11], s[10:11], vcc
	v_lshl_add_u32 v0, v150, 4, v0
	s_and_saveexec_b64 s[12:13], s[10:11]
	s_xor_b64 s[10:11], exec, s[12:13]
; %bb.7:
	v_mov_b32_e32 v2, 0
	v_mov_b32_e32 v3, v2
	;; [unrolled: 1-line block ×4, first 2 shown]
	ds_write_b128 v0, v[2:5]
                                        ; implicit-def: $vgpr0
; %bb.8:
	s_andn2_saveexec_b64 s[10:11], s[10:11]
	s_cbranch_execz .LBB30_10
; %bb.9:
	global_load_dwordx4 v[2:5], v[36:37], off
	s_waitcnt vmcnt(0)
	ds_write2_b64 v0, v[2:3], v[4:5] offset1:1
.LBB30_10:
	s_or_b64 exec, exec, s[6:7]
	s_load_dwordx4 s[12:15], s[0:1], 0x20
	s_load_dword s24, s[0:1], 0x30
	s_mul_i32 s6, s9, s3
	s_mul_hi_u32 s7, s8, s3
	s_add_i32 s7, s7, s6
	s_mul_i32 s6, s8, s3
	s_lshl_b64 s[6:7], s[6:7], 4
	s_waitcnt lgkmcnt(0)
	s_add_u32 s8, s12, s6
	s_addc_u32 s9, s13, s7
	s_lshl_b64 s[6:7], s[14:15], 4
	s_add_u32 s8, s8, s6
	s_addc_u32 s9, s9, s7
	s_ashr_i32 s27, s26, 31
	v_lshl_add_u32 v42, v149, 6, v150
	s_lshl_b64 s[6:7], s[26:27], 4
	v_and_b32_e32 v10, 31, v150
	v_lshrrev_b32_e32 v11, 5, v42
	s_add_u32 s6, s8, s6
	s_mul_i32 s28, s24, s26
	s_addc_u32 s7, s9, s7
	v_mad_u64_u32 v[38:39], s[8:9], s24, v11, v[10:11]
	s_ashr_i32 s29, s28, 31
	v_ashrrev_i32_e32 v39, 31, v38
	s_cmp_lg_u32 s22, 0
	v_lshl_add_u64 v[0:1], v[38:39], 4, s[6:7]
	s_cselect_b64 s[30:31], -1, 0
	s_cmp_eq_u32 s22, 0
	v_lshl_add_u64 v[4:5], s[28:29], 4, v[0:1]
	s_cselect_b64 s[20:21], -1, 0
	s_mov_b64 s[6:7], -1
	s_and_b64 vcc, exec, s[30:31]
	s_cbranch_vccnz .LBB30_12
; %bb.11:
	s_lshl_b32 s6, s24, 3
	s_ashr_i32 s7, s6, 31
	s_ashr_i32 s25, s24, 31
	v_lshl_add_u64 v[16:17], s[6:7], 4, v[4:5]
	s_lshl_b64 s[6:7], s[24:25], 7
	global_load_dwordx4 v[0:3], v[4:5], off
	v_lshl_add_u64 v[18:19], v[16:17], 0, s[6:7]
	global_load_dwordx4 v[6:9], v[16:17], off
	global_load_dwordx4 v[12:15], v[18:19], off
	v_lshl_add_u64 v[16:17], v[18:19], 0, s[6:7]
	global_load_dwordx4 v[16:19], v[16:17], off
	v_mul_u32_u24_e32 v20, 0x210, v11
	v_lshl_add_u32 v20, v10, 4, v20
	s_mov_b64 s[6:7], 0
	v_add_u32_e32 v21, 0x1080, v20
	v_add_u32_e32 v22, 0x2100, v20
	;; [unrolled: 1-line block ×3, first 2 shown]
	s_waitcnt vmcnt(3)
	ds_write2_b64 v20, v[0:1], v[2:3] offset1:1
	s_waitcnt vmcnt(2)
	ds_write2_b64 v21, v[6:7], v[8:9] offset1:1
	;; [unrolled: 2-line block ×4, first 2 shown]
.LBB30_12:
	s_andn2_b64 vcc, exec, s[6:7]
	v_lshlrev_b32_e32 v8, 4, v10
	s_cbranch_vccnz .LBB30_30
; %bb.13:
	v_sub_co_u32_e32 v0, vcc, v4, v8
	s_ashr_i32 s23, s22, 31
	s_nop 0
	v_subbrev_co_u32_e32 v1, vcc, 0, v5, vcc
	v_lshl_add_u64 v[0:1], s[22:23], 4, v[0:1]
	v_lshl_add_u64 v[0:1], v[0:1], 0, -16
	v_cmp_gt_i32_e32 vcc, s22, v10
	s_movk_i32 s8, 0x210
	v_cmp_le_i32_e64 s[6:7], s22, v11
	v_cndmask_b32_e32 v1, v1, v5, vcc
	v_cndmask_b32_e32 v0, v0, v4, vcc
	v_mad_u32_u24 v2, v11, s8, v8
	s_and_saveexec_b64 s[8:9], s[6:7]
	s_xor_b64 s[6:7], exec, s[8:9]
; %bb.14:
	v_mov_b32_e32 v12, 0
	v_mov_b32_e32 v13, v12
	;; [unrolled: 1-line block ×4, first 2 shown]
	ds_write_b128 v2, v[12:15]
                                        ; implicit-def: $vgpr2
; %bb.15:
	s_andn2_saveexec_b64 s[6:7], s[6:7]
	s_cbranch_execz .LBB30_17
; %bb.16:
	global_load_dwordx4 v[12:15], v[0:1], off
	s_waitcnt vmcnt(0)
	ds_write2_b64 v2, v[12:13], v[14:15] offset1:1
.LBB30_17:
	s_or_b64 exec, exec, s[6:7]
	v_add_u32_e32 v3, 8, v11
	v_mul_u32_u24_e32 v2, 0x210, v11
	v_cmp_le_i32_e64 s[6:7], s22, v3
	s_and_saveexec_b64 s[8:9], s[6:7]
	s_xor_b64 s[6:7], exec, s[8:9]
	s_cbranch_execz .LBB30_19
; %bb.18:
	v_mov_b32_e32 v12, 0
	v_add_u32_e32 v3, v2, v8
	v_mov_b32_e32 v13, v12
	v_mov_b32_e32 v14, v12
	;; [unrolled: 1-line block ×3, first 2 shown]
	ds_write_b128 v3, v[12:15] offset:4224
.LBB30_19:
	s_andn2_saveexec_b64 s[6:7], s[6:7]
	s_cbranch_execz .LBB30_21
; %bb.20:
	s_lshl_b32 s8, s24, 3
	s_ashr_i32 s9, s8, 31
	v_lshl_add_u64 v[6:7], s[8:9], 4, v[0:1]
	global_load_dwordx4 v[12:15], v[6:7], off
	s_movk_i32 s8, 0x1080
	v_add3_u32 v3, v2, v8, s8
	s_waitcnt vmcnt(0)
	ds_write2_b64 v3, v[12:13], v[14:15] offset1:1
.LBB30_21:
	s_or_b64 exec, exec, s[6:7]
	v_add_u32_e32 v3, 16, v11
	v_cmp_le_i32_e64 s[6:7], s22, v3
	s_and_saveexec_b64 s[8:9], s[6:7]
	s_xor_b64 s[6:7], exec, s[8:9]
	s_cbranch_execz .LBB30_23
; %bb.22:
	v_mov_b32_e32 v12, 0
	v_add_u32_e32 v3, v2, v8
	v_mov_b32_e32 v13, v12
	v_mov_b32_e32 v14, v12
	;; [unrolled: 1-line block ×3, first 2 shown]
	ds_write_b128 v3, v[12:15] offset:8448
.LBB30_23:
	s_andn2_saveexec_b64 s[6:7], s[6:7]
	s_cbranch_execz .LBB30_25
; %bb.24:
	s_lshl_b32 s8, s24, 4
	s_ashr_i32 s9, s8, 31
	v_lshl_add_u64 v[6:7], s[8:9], 4, v[0:1]
	global_load_dwordx4 v[12:15], v[6:7], off
	s_movk_i32 s8, 0x2100
	v_add3_u32 v3, v2, v8, s8
	s_waitcnt vmcnt(0)
	ds_write2_b64 v3, v[12:13], v[14:15] offset1:1
.LBB30_25:
	s_or_b64 exec, exec, s[6:7]
	v_add_u32_e32 v3, 24, v11
	v_cmp_le_i32_e64 s[6:7], s22, v3
	s_and_saveexec_b64 s[8:9], s[6:7]
	s_xor_b64 s[6:7], exec, s[8:9]
	s_cbranch_execz .LBB30_27
; %bb.26:
	v_mov_b32_e32 v12, 0
	v_add_u32_e32 v2, v2, v8
	v_mov_b32_e32 v13, v12
	v_mov_b32_e32 v14, v12
	;; [unrolled: 1-line block ×3, first 2 shown]
	ds_write_b128 v2, v[12:15] offset:12672
                                        ; implicit-def: $vgpr2
.LBB30_27:
	s_andn2_saveexec_b64 s[6:7], s[6:7]
	s_cbranch_execz .LBB30_29
; %bb.28:
	s_mul_i32 s8, s24, 24
	s_ashr_i32 s9, s8, 31
	v_lshl_add_u64 v[6:7], s[8:9], 4, v[0:1]
	global_load_dwordx4 v[12:15], v[6:7], off
	s_movk_i32 s8, 0x3180
	v_add3_u32 v2, v2, v8, s8
	s_waitcnt vmcnt(0)
	ds_write2_b64 v2, v[12:13], v[14:15] offset1:1
.LBB30_29:
	s_or_b64 exec, exec, s[6:7]
	v_mov_b32_e32 v9, 0
	v_lshl_add_u64 v[0:1], v[0:1], 0, v[8:9]
	s_lshl_b64 s[6:7], s[22:23], 4
	v_mov_b32_e32 v2, s7
	v_subrev_co_u32_e64 v0, s[6:7], s6, v0
	s_nop 1
	v_subb_co_u32_e64 v1, s[6:7], v1, v2, s[6:7]
	v_lshl_add_u64 v[0:1], v[0:1], 0, 16
	v_cndmask_b32_e32 v5, v1, v5, vcc
	v_cndmask_b32_e32 v4, v0, v4, vcc
.LBB30_30:
	v_lshlrev_b32_e32 v14, 2, v11
	v_mul_u32_u24_e32 v15, 0x210, v10
	v_cmp_ge_u32_e64 s[8:9], v14, v10
	s_mov_b64 s[6:7], 0
	s_waitcnt lgkmcnt(0)
	s_barrier
                                        ; implicit-def: $vgpr7
	s_and_saveexec_b64 s[10:11], s[8:9]
	s_xor_b64 s[10:11], exec, s[10:11]
	s_cbranch_execz .LBB30_34
; %bb.31:
	v_cmp_eq_u32_e32 vcc, v14, v10
                                        ; implicit-def: $vgpr7
	s_and_saveexec_b64 s[12:13], vcc
	s_xor_b64 s[12:13], exec, s[12:13]
; %bb.32:
	s_mov_b64 s[6:7], exec
	v_add_u32_e32 v7, v8, v15
; %bb.33:
	s_or_b64 exec, exec, s[12:13]
	s_and_b64 s[6:7], s[6:7], exec
.LBB30_34:
	s_or_saveexec_b64 s[10:11], s[10:11]
	v_lshl_or_b32 v6, v10, 9, v8
	v_mov_b64_e32 v[2:3], 0
	s_xor_b64 exec, exec, s[10:11]
	s_cbranch_execz .LBB30_36
; %bb.35:
	s_movk_i32 s12, 0x840
	v_mad_u32_u24 v0, v11, s12, v8
	ds_read_b128 v[0:3], v0
	v_lshl_add_u32 v7, v14, 4, v6
	s_or_b64 s[6:7], s[6:7], exec
	s_waitcnt lgkmcnt(0)
	v_xor_b32_e32 v3, 0x80000000, v3
	ds_write_b64 v7, v[0:1]
.LBB30_36:
	s_or_b64 exec, exec, s[10:11]
	s_and_saveexec_b64 s[10:11], s[6:7]
; %bb.37:
	ds_write_b64 v7, v[2:3] offset:8
; %bb.38:
	s_or_b64 exec, exec, s[10:11]
	v_or_b32_e32 v16, 1, v14
	v_cmp_ge_u32_e64 s[10:11], v16, v10
	s_mov_b64 s[6:7], 0
                                        ; implicit-def: $vgpr7
	s_and_saveexec_b64 s[12:13], s[10:11]
	s_xor_b64 s[12:13], exec, s[12:13]
	s_cbranch_execnz .LBB30_100
; %bb.39:
	s_or_saveexec_b64 s[12:13], s[12:13]
	v_mov_b64_e32 v[2:3], 0
	s_xor_b64 exec, exec, s[12:13]
	s_cbranch_execnz .LBB30_103
.LBB30_40:
	s_or_b64 exec, exec, s[12:13]
	s_and_saveexec_b64 s[12:13], s[6:7]
.LBB30_41:
	ds_write_b64 v7, v[2:3] offset:8
.LBB30_42:
	s_or_b64 exec, exec, s[12:13]
	v_or_b32_e32 v17, 2, v14
	v_cmp_ge_u32_e64 s[12:13], v17, v10
	s_mov_b64 s[6:7], 0
                                        ; implicit-def: $vgpr7
	s_and_saveexec_b64 s[14:15], s[12:13]
	s_xor_b64 s[14:15], exec, s[14:15]
	s_cbranch_execnz .LBB30_104
; %bb.43:
	s_or_saveexec_b64 s[14:15], s[14:15]
	v_mov_b64_e32 v[2:3], 0
	s_xor_b64 exec, exec, s[14:15]
	s_cbranch_execnz .LBB30_107
.LBB30_44:
	s_or_b64 exec, exec, s[14:15]
	s_and_saveexec_b64 s[14:15], s[6:7]
.LBB30_45:
	ds_write_b64 v7, v[2:3] offset:8
.LBB30_46:
	s_or_b64 exec, exec, s[14:15]
	v_or_b32_e32 v18, 3, v14
	v_cmp_ge_u32_e64 s[14:15], v18, v10
	s_mov_b64 s[6:7], 0
                                        ; implicit-def: $vgpr7
	s_and_saveexec_b64 s[16:17], s[14:15]
	s_xor_b64 s[16:17], exec, s[16:17]
	s_cbranch_execnz .LBB30_108
; %bb.47:
	s_or_saveexec_b64 s[16:17], s[16:17]
	v_mov_b64_e32 v[2:3], 0
	s_xor_b64 exec, exec, s[16:17]
	s_cbranch_execnz .LBB30_111
.LBB30_48:
	s_or_b64 exec, exec, s[16:17]
	s_and_saveexec_b64 s[16:17], s[6:7]
.LBB30_49:
	ds_write_b64 v7, v[2:3] offset:8
.LBB30_50:
	s_or_b64 exec, exec, s[16:17]
	s_movk_i32 s6, 0x840
	v_lshlrev_b32_e32 v6, 4, v14
	s_waitcnt lgkmcnt(0)
	s_barrier
	v_mad_u32_u24 v7, v11, s6, v8
	ds_read_b128 v[0:3], v6 offset:18176
	ds_read_b128 v[20:23], v7
	ds_read_b128 v[24:27], v6 offset:18192
	ds_read_b128 v[28:31], v6 offset:18208
	s_movk_i32 s6, 0x210
	v_mad_u32_u24 v7, v16, s6, v8
	s_waitcnt lgkmcnt(2)
	v_mul_f64 v[12:13], v[2:3], v[22:23]
	v_mul_f64 v[40:41], v[0:1], v[22:23]
	v_fma_f64 v[12:13], v[0:1], v[20:21], -v[12:13]
	v_fmac_f64_e32 v[40:41], v[2:3], v[20:21]
	ds_read_b128 v[20:23], v6 offset:18224
	ds_read_b128 v[32:35], v7
	v_add_f64 v[2:3], v[12:13], 0
	v_add_f64 v[12:13], v[40:41], 0
	ds_read_b128 v[44:47], v7 offset:528
	v_mov_b64_e32 v[0:1], 0
	s_waitcnt lgkmcnt(1)
	v_mul_f64 v[40:41], v[26:27], v[34:35]
	v_fma_f64 v[40:41], v[24:25], v[32:33], -v[40:41]
	v_mul_f64 v[24:25], v[24:25], v[34:35]
	v_fmac_f64_e32 v[24:25], v[26:27], v[32:33]
	v_add_f64 v[12:13], v[12:13], v[24:25]
	ds_read_b128 v[24:27], v7 offset:1056
	s_waitcnt lgkmcnt(1)
	v_mul_f64 v[32:33], v[30:31], v[46:47]
	v_fma_f64 v[32:33], v[28:29], v[44:45], -v[32:33]
	v_mul_f64 v[28:29], v[28:29], v[46:47]
	v_fmac_f64_e32 v[28:29], v[30:31], v[44:45]
	v_add_f64 v[2:3], v[2:3], v[40:41]
	v_add_f64 v[12:13], v[12:13], v[28:29]
	s_waitcnt lgkmcnt(0)
	v_mul_f64 v[28:29], v[22:23], v[26:27]
	v_add_f64 v[2:3], v[2:3], v[32:33]
	v_fma_f64 v[28:29], v[20:21], v[24:25], -v[28:29]
	v_mul_f64 v[26:27], v[20:21], v[26:27]
	v_add_f64 v[20:21], v[2:3], v[28:29]
	v_mul_u32_u24_e32 v2, 33, v10
	v_fmac_f64_e32 v[26:27], v[22:23], v[24:25]
	v_lshlrev_b32_e32 v43, 4, v2
	v_add_f64 v[22:23], v[12:13], v[26:27]
	v_lshl_add_u32 v44, v11, 4, v43
	v_cmp_gt_u32_e64 s[6:7], 32, v42
	v_mov_b64_e32 v[2:3], 0
	s_barrier
	ds_write_b128 v44, v[20:23]
	s_waitcnt lgkmcnt(0)
	s_barrier
	s_and_saveexec_b64 s[16:17], s[6:7]
	s_cbranch_execz .LBB30_52
; %bb.51:
	ds_read_b128 v[0:3], v43
	ds_read_b128 v[20:23], v43 offset:16
	ds_read_b128 v[24:27], v43 offset:32
	;; [unrolled: 1-line block ×3, first 2 shown]
	s_waitcnt lgkmcnt(2)
	v_add_f64 v[0:1], v[20:21], v[0:1]
	v_add_f64 v[12:13], v[22:23], v[2:3]
	s_waitcnt lgkmcnt(1)
	v_add_f64 v[20:21], v[0:1], v[24:25]
	ds_read_b128 v[0:3], v43 offset:64
	v_add_f64 v[12:13], v[12:13], v[26:27]
	s_waitcnt lgkmcnt(1)
	v_add_f64 v[24:25], v[20:21], v[28:29]
	ds_read_b128 v[20:23], v43 offset:80
	;; [unrolled: 4-line block ×3, first 2 shown]
	v_add_f64 v[12:13], v[12:13], v[2:3]
	ds_read_b128 v[0:3], v43 offset:112
	s_waitcnt lgkmcnt(2)
	v_add_f64 v[20:21], v[28:29], v[20:21]
	v_add_f64 v[12:13], v[12:13], v[22:23]
	s_waitcnt lgkmcnt(1)
	v_add_f64 v[20:21], v[20:21], v[24:25]
	v_add_f64 v[12:13], v[12:13], v[26:27]
	;; [unrolled: 3-line block ×3, first 2 shown]
.LBB30_52:
	s_or_b64 exec, exec, s[16:17]
	s_lshl_b32 s34, s24, 5
	s_ashr_i32 s35, s34, 31
	v_lshl_add_u64 v[4:5], s[34:35], 4, v[4:5]
	s_mov_b64 s[16:17], 0x200
	v_cndmask_b32_e64 v7, 0, 1, s[20:21]
	v_lshl_add_u64 v[12:13], v[4:5], 0, s[16:17]
	v_cmp_ne_u32_e64 s[16:17], 1, v7
	s_andn2_b64 vcc, exec, s[20:21]
	s_mov_b64 s[20:21], -1
	s_barrier
	s_cbranch_vccnz .LBB30_54
; %bb.53:
	s_lshl_b32 s20, s24, 3
	s_ashr_i32 s21, s20, 31
	s_ashr_i32 s25, s24, 31
	v_lshl_add_u64 v[32:33], s[20:21], 4, v[4:5]
	s_lshl_b64 s[20:21], s[24:25], 7
	global_load_dwordx4 v[20:23], v[12:13], off
	v_lshl_add_u64 v[34:35], v[32:33], 0, s[20:21]
	global_load_dwordx4 v[24:27], v[32:33], off offset:512
	global_load_dwordx4 v[28:31], v[34:35], off offset:512
	v_lshl_add_u64 v[32:33], v[34:35], 0, s[20:21]
	global_load_dwordx4 v[32:35], v[32:33], off offset:512
	s_movk_i32 s20, 0x210
	v_mad_u32_u24 v7, v11, s20, v8
	s_mov_b64 s[20:21], 0
	v_add_u32_e32 v9, 0x1080, v7
	v_add_u32_e32 v19, 0x2100, v7
	;; [unrolled: 1-line block ×3, first 2 shown]
	s_waitcnt vmcnt(3)
	ds_write2_b64 v7, v[20:21], v[22:23] offset1:1
	s_waitcnt vmcnt(2)
	ds_write2_b64 v9, v[24:25], v[26:27] offset1:1
	;; [unrolled: 2-line block ×4, first 2 shown]
.LBB30_54:
	s_andn2_b64 vcc, exec, s[20:21]
	s_cbranch_vccnz .LBB30_72
; %bb.55:
	v_sub_co_u32_e32 v4, vcc, v4, v8
	s_ashr_i32 s23, s22, 31
	s_nop 0
	v_subbrev_co_u32_e32 v5, vcc, 0, v5, vcc
	v_or_b32_e32 v7, 32, v10
	v_lshl_add_u64 v[4:5], s[22:23], 4, v[4:5]
	v_lshl_add_u64 v[4:5], v[4:5], 0, -16
	v_cmp_gt_i32_e32 vcc, s22, v7
	s_sub_i32 s25, s22, 32
	s_movk_i32 s27, 0x210
	v_cndmask_b32_e32 v5, v5, v13, vcc
	v_cndmask_b32_e32 v4, v4, v12, vcc
	v_cmp_le_i32_e64 s[20:21], s25, v11
	v_mad_u32_u24 v7, v11, s27, v8
	s_and_saveexec_b64 s[36:37], s[20:21]
	s_xor_b64 s[20:21], exec, s[36:37]
; %bb.56:
	v_mov_b32_e32 v20, 0
	v_mov_b32_e32 v21, v20
	;; [unrolled: 1-line block ×4, first 2 shown]
	ds_write_b128 v7, v[20:23]
                                        ; implicit-def: $vgpr7
; %bb.57:
	s_andn2_saveexec_b64 s[20:21], s[20:21]
	s_cbranch_execz .LBB30_59
; %bb.58:
	global_load_dwordx4 v[20:23], v[4:5], off
	s_waitcnt vmcnt(0)
	ds_write2_b64 v7, v[20:21], v[22:23] offset1:1
.LBB30_59:
	s_or_b64 exec, exec, s[20:21]
	v_add_u32_e32 v9, 8, v11
	v_mul_u32_u24_e32 v7, 0x210, v11
	v_cmp_le_i32_e64 s[20:21], s25, v9
	s_and_saveexec_b64 s[36:37], s[20:21]
	s_xor_b64 s[20:21], exec, s[36:37]
	s_cbranch_execz .LBB30_61
; %bb.60:
	v_mov_b32_e32 v20, 0
	v_add_u32_e32 v9, v7, v8
	v_mov_b32_e32 v21, v20
	v_mov_b32_e32 v22, v20
	;; [unrolled: 1-line block ×3, first 2 shown]
	ds_write_b128 v9, v[20:23] offset:4224
.LBB30_61:
	s_andn2_saveexec_b64 s[20:21], s[20:21]
	s_cbranch_execz .LBB30_63
; %bb.62:
	s_lshl_b32 s36, s24, 3
	s_ashr_i32 s37, s36, 31
	v_lshl_add_u64 v[20:21], s[36:37], 4, v[4:5]
	global_load_dwordx4 v[20:23], v[20:21], off
	s_movk_i32 s27, 0x1080
	v_add3_u32 v9, v7, v8, s27
	s_waitcnt vmcnt(0)
	ds_write2_b64 v9, v[20:21], v[22:23] offset1:1
.LBB30_63:
	s_or_b64 exec, exec, s[20:21]
	v_add_u32_e32 v9, 16, v11
	v_cmp_le_i32_e64 s[20:21], s25, v9
	s_and_saveexec_b64 s[36:37], s[20:21]
	s_xor_b64 s[20:21], exec, s[36:37]
	s_cbranch_execz .LBB30_65
; %bb.64:
	v_mov_b32_e32 v20, 0
	v_add_u32_e32 v9, v7, v8
	v_mov_b32_e32 v21, v20
	v_mov_b32_e32 v22, v20
	;; [unrolled: 1-line block ×3, first 2 shown]
	ds_write_b128 v9, v[20:23] offset:8448
.LBB30_65:
	s_andn2_saveexec_b64 s[20:21], s[20:21]
	s_cbranch_execz .LBB30_67
; %bb.66:
	s_lshl_b32 s36, s24, 4
	s_ashr_i32 s37, s36, 31
	v_lshl_add_u64 v[20:21], s[36:37], 4, v[4:5]
	global_load_dwordx4 v[20:23], v[20:21], off
	s_movk_i32 s27, 0x2100
	v_add3_u32 v9, v7, v8, s27
	s_waitcnt vmcnt(0)
	ds_write2_b64 v9, v[20:21], v[22:23] offset1:1
.LBB30_67:
	s_or_b64 exec, exec, s[20:21]
	v_add_u32_e32 v9, 24, v11
	v_cmp_le_i32_e64 s[20:21], s25, v9
	s_and_saveexec_b64 s[36:37], s[20:21]
	s_xor_b64 s[20:21], exec, s[36:37]
	s_cbranch_execz .LBB30_69
; %bb.68:
	v_mov_b32_e32 v20, 0
	v_add_u32_e32 v7, v7, v8
	v_mov_b32_e32 v21, v20
	v_mov_b32_e32 v22, v20
	;; [unrolled: 1-line block ×3, first 2 shown]
	ds_write_b128 v7, v[20:23] offset:12672
                                        ; implicit-def: $vgpr7
.LBB30_69:
	s_andn2_saveexec_b64 s[20:21], s[20:21]
	s_cbranch_execz .LBB30_71
; %bb.70:
	s_mul_i32 s36, s24, 24
	s_ashr_i32 s37, s36, 31
	v_lshl_add_u64 v[20:21], s[36:37], 4, v[4:5]
	global_load_dwordx4 v[20:23], v[20:21], off
	s_movk_i32 s25, 0x3180
	v_add3_u32 v7, v7, v8, s25
	s_waitcnt vmcnt(0)
	ds_write2_b64 v7, v[20:21], v[22:23] offset1:1
.LBB30_71:
	s_or_b64 exec, exec, s[20:21]
	v_mov_b32_e32 v9, 0
	v_lshl_add_u64 v[4:5], v[4:5], 0, v[8:9]
	s_lshl_b64 s[20:21], s[22:23], 4
	v_mov_b32_e32 v7, s21
	v_subrev_co_u32_e64 v4, s[20:21], s20, v4
	s_nop 1
	v_subb_co_u32_e64 v5, s[20:21], v5, v7, s[20:21]
	s_mov_b64 s[20:21], 0x210
	s_nop 0
	v_lshl_add_u64 v[4:5], v[4:5], 0, s[20:21]
	v_cndmask_b32_e32 v13, v5, v13, vcc
	v_cndmask_b32_e32 v12, v4, v12, vcc
.LBB30_72:
	v_mul_u32_u24_e32 v4, 0x840, v11
	v_add_u32_e32 v45, 0x4700, v6
	v_mul_u32_u24_e32 v19, 0x210, v16
	s_mov_b64 s[20:21], 0
	s_waitcnt lgkmcnt(0)
	s_barrier
                                        ; implicit-def: $vgpr20
	s_and_saveexec_b64 s[36:37], s[8:9]
	s_xor_b64 s[8:9], exec, s[36:37]
	s_cbranch_execz .LBB30_76
; %bb.73:
	v_cmp_eq_u32_e32 vcc, v14, v10
                                        ; implicit-def: $vgpr20
	s_and_saveexec_b64 s[36:37], vcc
	s_xor_b64 s[36:37], exec, s[36:37]
; %bb.74:
	s_mov_b64 s[20:21], exec
	v_add_u32_e32 v20, v8, v15
; %bb.75:
	s_or_b64 exec, exec, s[36:37]
	s_and_b64 s[20:21], s[20:21], exec
.LBB30_76:
	s_or_saveexec_b64 s[8:9], s[8:9]
	v_mov_b64_e32 v[6:7], 0
	v_add_u32_e32 v9, v8, v4
	s_xor_b64 exec, exec, s[8:9]
	s_cbranch_execz .LBB30_78
; %bb.77:
	ds_read_b128 v[4:7], v9
	v_lshl_add_u32 v20, v14, 4, v43
	s_or_b64 s[20:21], s[20:21], exec
	s_waitcnt lgkmcnt(0)
	v_xor_b32_e32 v7, 0x80000000, v7
	ds_write_b64 v20, v[4:5]
.LBB30_78:
	s_or_b64 exec, exec, s[8:9]
	s_and_saveexec_b64 s[8:9], s[20:21]
; %bb.79:
	ds_write_b64 v20, v[6:7] offset:8
; %bb.80:
	s_or_b64 exec, exec, s[8:9]
	s_mov_b64 s[8:9], 0
                                        ; implicit-def: $vgpr20
	s_and_saveexec_b64 s[20:21], s[10:11]
	s_xor_b64 s[10:11], exec, s[20:21]
	s_cbranch_execz .LBB30_84
; %bb.81:
	v_cmp_eq_u32_e32 vcc, v16, v10
                                        ; implicit-def: $vgpr20
	s_and_saveexec_b64 s[20:21], vcc
; %bb.82:
	s_mov_b64 s[8:9], exec
	v_add_u32_e32 v20, v8, v15
; %bb.83:
	s_or_b64 exec, exec, s[20:21]
	s_and_b64 s[8:9], s[8:9], exec
.LBB30_84:
	s_or_saveexec_b64 s[10:11], s[10:11]
	v_mov_b64_e32 v[6:7], 0
	v_add_u32_e32 v16, v8, v19
	s_xor_b64 exec, exec, s[10:11]
	s_cbranch_execz .LBB30_86
; %bb.85:
	ds_read_b128 v[4:7], v16
	v_lshl_add_u32 v19, v14, 4, v43
	v_add_u32_e32 v20, 16, v19
	s_or_b64 s[8:9], s[8:9], exec
	s_waitcnt lgkmcnt(0)
	v_xor_b32_e32 v7, 0x80000000, v7
	ds_write_b64 v19, v[4:5] offset:16
.LBB30_86:
	s_or_b64 exec, exec, s[10:11]
	s_and_saveexec_b64 s[10:11], s[8:9]
; %bb.87:
	ds_write_b64 v20, v[6:7] offset:8
; %bb.88:
	s_or_b64 exec, exec, s[10:11]
	s_mov_b64 s[8:9], 0
                                        ; implicit-def: $vgpr19
	s_and_saveexec_b64 s[10:11], s[12:13]
	s_xor_b64 s[10:11], exec, s[10:11]
	s_cbranch_execnz .LBB30_112
; %bb.89:
	s_or_saveexec_b64 s[10:11], s[10:11]
	v_mov_b64_e32 v[6:7], 0
	s_xor_b64 exec, exec, s[10:11]
	s_cbranch_execnz .LBB30_115
.LBB30_90:
	s_or_b64 exec, exec, s[10:11]
	s_and_saveexec_b64 s[10:11], s[8:9]
.LBB30_91:
	ds_write_b64 v19, v[6:7] offset:8
.LBB30_92:
	s_or_b64 exec, exec, s[10:11]
	s_mov_b64 s[8:9], 0
                                        ; implicit-def: $vgpr17
	s_and_saveexec_b64 s[10:11], s[14:15]
	s_xor_b64 s[10:11], exec, s[10:11]
	s_cbranch_execnz .LBB30_116
; %bb.93:
	s_or_saveexec_b64 s[10:11], s[10:11]
	v_mov_b64_e32 v[6:7], 0
	s_xor_b64 exec, exec, s[10:11]
	s_cbranch_execnz .LBB30_119
.LBB30_94:
	s_or_b64 exec, exec, s[10:11]
	s_and_saveexec_b64 s[10:11], s[8:9]
.LBB30_95:
	ds_write_b64 v17, v[6:7] offset:8
.LBB30_96:
	s_or_b64 exec, exec, s[10:11]
	s_waitcnt lgkmcnt(0)
	s_barrier
	ds_read_b128 v[4:7], v9
	ds_read_b128 v[18:21], v45 offset:512
	ds_read_b128 v[22:25], v45 offset:528
	;; [unrolled: 1-line block ×5, first 2 shown]
	ds_read_b128 v[50:53], v16
	s_waitcnt lgkmcnt(5)
	v_mul_f64 v[34:35], v[20:21], v[6:7]
	v_mul_f64 v[6:7], v[18:19], v[6:7]
	v_fmac_f64_e32 v[6:7], v[20:21], v[4:5]
	v_fma_f64 v[34:35], v[18:19], v[4:5], -v[34:35]
	v_add_f64 v[20:21], v[6:7], 0
	ds_read_b128 v[4:7], v16 offset:528
	s_waitcnt lgkmcnt(1)
	v_mul_f64 v[16:17], v[24:25], v[52:53]
	v_fma_f64 v[16:17], v[22:23], v[50:51], -v[16:17]
	v_mul_f64 v[22:23], v[22:23], v[52:53]
	v_add_f64 v[18:19], v[34:35], 0
	v_fmac_f64_e32 v[22:23], v[24:25], v[50:51]
	v_add_f64 v[16:17], v[18:19], v[16:17]
	v_add_f64 v[18:19], v[20:21], v[22:23]
	s_waitcnt lgkmcnt(0)
	v_mul_f64 v[20:21], v[28:29], v[6:7]
	v_mul_f64 v[6:7], v[26:27], v[6:7]
	v_fma_f64 v[20:21], v[26:27], v[4:5], -v[20:21]
	v_fmac_f64_e32 v[6:7], v[28:29], v[4:5]
	v_add_f64 v[4:5], v[16:17], v[20:21]
	v_add_f64 v[6:7], v[18:19], v[6:7]
	v_mul_f64 v[16:17], v[32:33], v[48:49]
	v_mul_f64 v[18:19], v[30:31], v[48:49]
	v_fma_f64 v[16:17], v[30:31], v[46:47], -v[16:17]
	v_fmac_f64_e32 v[18:19], v[32:33], v[46:47]
	v_add_f64 v[4:5], v[4:5], v[16:17]
	v_add_f64 v[6:7], v[6:7], v[18:19]
	v_cmp_eq_u32_e64 s[8:9], 1, v11
	s_barrier
	ds_write_b128 v44, v[4:7]
	s_waitcnt lgkmcnt(0)
	s_barrier
	s_and_saveexec_b64 s[10:11], s[8:9]
	s_cbranch_execz .LBB30_98
; %bb.97:
	ds_read_b128 v[0:3], v43
	ds_read_b128 v[4:7], v43 offset:16
	ds_read_b128 v[16:19], v43 offset:32
	ds_read_b128 v[20:23], v43 offset:48
	s_waitcnt lgkmcnt(2)
	v_add_f64 v[0:1], v[4:5], v[0:1]
	v_add_f64 v[4:5], v[6:7], v[2:3]
	s_waitcnt lgkmcnt(1)
	v_add_f64 v[6:7], v[0:1], v[16:17]
	ds_read_b128 v[0:3], v43 offset:64
	v_add_f64 v[4:5], v[4:5], v[18:19]
	s_waitcnt lgkmcnt(1)
	v_add_f64 v[16:17], v[6:7], v[20:21]
	v_add_f64 v[20:21], v[4:5], v[22:23]
	ds_read_b128 v[4:7], v43 offset:80
	s_waitcnt lgkmcnt(1)
	v_add_f64 v[22:23], v[16:17], v[0:1]
	ds_read_b128 v[16:19], v43 offset:96
	v_add_f64 v[20:21], v[20:21], v[2:3]
	ds_read_b128 v[0:3], v43 offset:112
	s_waitcnt lgkmcnt(2)
	v_add_f64 v[4:5], v[22:23], v[4:5]
	v_add_f64 v[6:7], v[20:21], v[6:7]
	s_waitcnt lgkmcnt(1)
	v_add_f64 v[4:5], v[4:5], v[16:17]
	v_add_f64 v[6:7], v[6:7], v[18:19]
	;; [unrolled: 3-line block ×3, first 2 shown]
.LBB30_98:
	s_or_b64 exec, exec, s[10:11]
	s_lshl_b64 s[10:11], s[34:35], 4
	v_mov_b32_e32 v4, s11
	v_subrev_co_u32_e64 v40, s[10:11], s10, v12
	s_and_b64 vcc, exec, s[16:17]
	s_nop 0
	v_subb_co_u32_e64 v41, s[10:11], v13, v4, s[10:11]
	s_barrier
	s_cbranch_vccnz .LBB30_120
; %bb.99:
	s_lshl_b32 s10, s24, 3
	s_ashr_i32 s11, s10, 31
	s_ashr_i32 s25, s24, 31
	v_lshl_add_u64 v[4:5], s[10:11], 4, v[40:41]
	s_lshl_b64 s[10:11], s[24:25], 7
	global_load_dwordx4 v[16:19], v[40:41], off
	v_lshl_add_u64 v[6:7], v[4:5], 0, s[10:11]
	global_load_dwordx4 v[20:23], v[4:5], off
	global_load_dwordx4 v[24:27], v[6:7], off
	v_lshl_add_u64 v[4:5], v[6:7], 0, s[10:11]
	global_load_dwordx4 v[28:31], v[4:5], off
	s_movk_i32 s10, 0x210
	v_mov_b32_e32 v4, 0x1080
	v_mov_b32_e32 v9, 0x2100
	;; [unrolled: 1-line block ×3, first 2 shown]
	v_mul_u32_u24_e32 v7, 0x210, v11
	v_add_u32_e32 v6, 8, v11
	v_add_u32_e32 v12, 16, v11
	;; [unrolled: 1-line block ×3, first 2 shown]
	v_mad_u32_u24 v32, v11, s10, v8
	v_mad_u32_u24 v5, v11, s10, v4
	v_mad_u32_u24 v4, v11, s10, v9
	v_mad_u32_u24 v15, v11, s10, v15
	v_add_u32_e32 v9, v8, v5
	v_add_u32_e32 v33, v8, v4
	;; [unrolled: 1-line block ×3, first 2 shown]
	s_waitcnt vmcnt(3)
	ds_write2_b64 v32, v[16:17], v[18:19] offset1:1
	s_waitcnt vmcnt(2)
	ds_write2_b64 v9, v[20:21], v[22:23] offset1:1
	;; [unrolled: 2-line block ×4, first 2 shown]
	s_cbranch_execz .LBB30_121
	s_branch .LBB30_138
.LBB30_100:
	v_cmp_eq_u32_e32 vcc, v16, v10
                                        ; implicit-def: $vgpr7
	s_and_saveexec_b64 s[14:15], vcc
; %bb.101:
	s_mov_b64 s[6:7], exec
	v_add_u32_e32 v7, v8, v15
; %bb.102:
	s_or_b64 exec, exec, s[14:15]
	s_and_b64 s[6:7], s[6:7], exec
	s_or_saveexec_b64 s[12:13], s[12:13]
	v_mov_b64_e32 v[2:3], 0
	s_xor_b64 exec, exec, s[12:13]
	s_cbranch_execz .LBB30_40
.LBB30_103:
	s_movk_i32 s14, 0x210
	v_mad_u32_u24 v0, v16, s14, v8
	ds_read_b128 v[0:3], v0
	v_lshl_add_u32 v9, v14, 4, v6
	v_add_u32_e32 v7, 16, v9
	s_or_b64 s[6:7], s[6:7], exec
	s_waitcnt lgkmcnt(0)
	v_xor_b32_e32 v3, 0x80000000, v3
	ds_write_b64 v9, v[0:1] offset:16
	s_or_b64 exec, exec, s[12:13]
	s_and_saveexec_b64 s[12:13], s[6:7]
	s_cbranch_execnz .LBB30_41
	s_branch .LBB30_42
.LBB30_104:
	v_cmp_eq_u32_e32 vcc, v17, v10
                                        ; implicit-def: $vgpr7
	s_and_saveexec_b64 s[16:17], vcc
; %bb.105:
	s_mov_b64 s[6:7], exec
	v_add_u32_e32 v7, v8, v15
; %bb.106:
	s_or_b64 exec, exec, s[16:17]
	s_and_b64 s[6:7], s[6:7], exec
	s_or_saveexec_b64 s[14:15], s[14:15]
	v_mov_b64_e32 v[2:3], 0
	s_xor_b64 exec, exec, s[14:15]
	s_cbranch_execz .LBB30_44
.LBB30_107:
	s_movk_i32 s16, 0x210
	v_mad_u32_u24 v0, v17, s16, v8
	ds_read_b128 v[0:3], v0
	v_lshl_add_u32 v9, v14, 4, v6
	v_add_u32_e32 v7, 32, v9
	s_or_b64 s[6:7], s[6:7], exec
	s_waitcnt lgkmcnt(0)
	v_xor_b32_e32 v3, 0x80000000, v3
	ds_write_b64 v9, v[0:1] offset:32
	s_or_b64 exec, exec, s[14:15]
	s_and_saveexec_b64 s[14:15], s[6:7]
	s_cbranch_execnz .LBB30_45
	s_branch .LBB30_46
.LBB30_108:
	v_cmp_eq_u32_e32 vcc, v18, v10
                                        ; implicit-def: $vgpr7
	s_and_saveexec_b64 s[34:35], vcc
; %bb.109:
	s_mov_b64 s[6:7], exec
	v_add_u32_e32 v7, v8, v15
; %bb.110:
	s_or_b64 exec, exec, s[34:35]
	s_and_b64 s[6:7], s[6:7], exec
                                        ; implicit-def: $vgpr6
	s_or_saveexec_b64 s[16:17], s[16:17]
	v_mov_b64_e32 v[2:3], 0
	s_xor_b64 exec, exec, s[16:17]
	s_cbranch_execz .LBB30_48
.LBB30_111:
	s_movk_i32 s23, 0x210
	v_mad_u32_u24 v0, v18, s23, v8
	ds_read_b128 v[0:3], v0
	v_lshl_add_u32 v6, v14, 4, v6
	v_add_u32_e32 v7, 48, v6
	s_or_b64 s[6:7], s[6:7], exec
	s_waitcnt lgkmcnt(0)
	v_xor_b32_e32 v3, 0x80000000, v3
	ds_write_b64 v6, v[0:1] offset:48
	s_or_b64 exec, exec, s[16:17]
	s_and_saveexec_b64 s[16:17], s[6:7]
	s_cbranch_execnz .LBB30_49
	s_branch .LBB30_50
.LBB30_112:
	v_cmp_eq_u32_e32 vcc, v17, v10
                                        ; implicit-def: $vgpr19
	s_and_saveexec_b64 s[12:13], vcc
; %bb.113:
	s_mov_b64 s[8:9], exec
	v_add_u32_e32 v19, v8, v15
; %bb.114:
	s_or_b64 exec, exec, s[12:13]
	s_and_b64 s[8:9], s[8:9], exec
	s_or_saveexec_b64 s[10:11], s[10:11]
	v_mov_b64_e32 v[6:7], 0
	s_xor_b64 exec, exec, s[10:11]
	s_cbranch_execz .LBB30_90
.LBB30_115:
	ds_read_b128 v[4:7], v16 offset:528
	v_lshl_add_u32 v17, v14, 4, v43
	v_add_u32_e32 v19, 32, v17
	s_or_b64 s[8:9], s[8:9], exec
	s_waitcnt lgkmcnt(0)
	v_xor_b32_e32 v7, 0x80000000, v7
	ds_write_b64 v17, v[4:5] offset:32
	s_or_b64 exec, exec, s[10:11]
	s_and_saveexec_b64 s[10:11], s[8:9]
	s_cbranch_execnz .LBB30_91
	s_branch .LBB30_92
.LBB30_116:
	v_cmp_eq_u32_e32 vcc, v18, v10
                                        ; implicit-def: $vgpr17
	s_and_saveexec_b64 s[12:13], vcc
; %bb.117:
	s_mov_b64 s[8:9], exec
	v_add_u32_e32 v17, v8, v15
; %bb.118:
	s_or_b64 exec, exec, s[12:13]
	s_and_b64 s[8:9], s[8:9], exec
	s_or_saveexec_b64 s[10:11], s[10:11]
	v_mov_b64_e32 v[6:7], 0
	s_xor_b64 exec, exec, s[10:11]
	s_cbranch_execz .LBB30_94
.LBB30_119:
	ds_read_b128 v[4:7], v16 offset:1056
	v_lshl_add_u32 v15, v14, 4, v43
	v_add_u32_e32 v17, 48, v15
	s_or_b64 s[8:9], s[8:9], exec
	s_waitcnt lgkmcnt(0)
	v_xor_b32_e32 v7, 0x80000000, v7
	ds_write_b64 v15, v[4:5] offset:48
	s_or_b64 exec, exec, s[10:11]
	s_and_saveexec_b64 s[10:11], s[8:9]
	s_cbranch_execnz .LBB30_95
	s_branch .LBB30_96
.LBB30_120:
                                        ; implicit-def: $vgpr7
                                        ; implicit-def: $vgpr6
                                        ; implicit-def: $vgpr5
                                        ; implicit-def: $vgpr12
                                        ; implicit-def: $vgpr4
                                        ; implicit-def: $vgpr13
                                        ; implicit-def: $vgpr15
.LBB30_121:
	v_sub_co_u32_e32 v4, vcc, v40, v8
	s_ashr_i32 s23, s22, 31
	s_nop 0
	v_subbrev_co_u32_e32 v5, vcc, 0, v41, vcc
	s_movk_i32 s10, 0xfdf0
	v_or_b32_e32 v6, 32, v10
	v_lshl_add_u64 v[4:5], s[22:23], 4, v[4:5]
	s_mov_b32 s11, -1
	v_lshl_add_u64 v[4:5], v[4:5], 0, s[10:11]
	v_cmp_gt_i32_e32 vcc, s22, v6
	s_movk_i32 s12, 0x210
	v_cmp_le_i32_e64 s[10:11], s22, v11
	v_cndmask_b32_e32 v5, v5, v41, vcc
	v_cndmask_b32_e32 v4, v4, v40, vcc
	v_mad_u32_u24 v6, v11, s12, v8
	s_and_saveexec_b64 s[12:13], s[10:11]
	s_xor_b64 s[10:11], exec, s[12:13]
; %bb.122:
	v_mov_b32_e32 v16, 0
	v_mov_b32_e32 v17, v16
	;; [unrolled: 1-line block ×4, first 2 shown]
	ds_write_b128 v6, v[16:19]
                                        ; implicit-def: $vgpr6
; %bb.123:
	s_andn2_saveexec_b64 s[10:11], s[10:11]
	s_cbranch_execz .LBB30_125
; %bb.124:
	global_load_dwordx4 v[16:19], v[4:5], off
	s_waitcnt vmcnt(0)
	ds_write2_b64 v6, v[16:17], v[18:19] offset1:1
.LBB30_125:
	s_or_b64 exec, exec, s[10:11]
	v_add_u32_e32 v6, 8, v11
	v_mul_u32_u24_e32 v7, 0x210, v11
	v_cmp_le_i32_e64 s[10:11], s22, v6
	s_and_saveexec_b64 s[12:13], s[10:11]
	s_xor_b64 s[10:11], exec, s[12:13]
	s_cbranch_execz .LBB30_127
; %bb.126:
	v_mov_b32_e32 v16, 0
	v_add_u32_e32 v9, v7, v8
	v_mov_b32_e32 v17, v16
	v_mov_b32_e32 v18, v16
	v_mov_b32_e32 v19, v16
	ds_write_b128 v9, v[16:19] offset:4224
.LBB30_127:
	s_andn2_saveexec_b64 s[10:11], s[10:11]
	s_cbranch_execz .LBB30_129
; %bb.128:
	s_lshl_b32 s12, s24, 3
	s_ashr_i32 s13, s12, 31
	v_lshl_add_u64 v[12:13], s[12:13], 4, v[4:5]
	global_load_dwordx4 v[16:19], v[12:13], off
	s_movk_i32 s12, 0x1080
	v_add3_u32 v9, v7, v8, s12
	s_waitcnt vmcnt(0)
	ds_write2_b64 v9, v[16:17], v[18:19] offset1:1
.LBB30_129:
	s_or_b64 exec, exec, s[10:11]
	v_add_u32_e32 v12, 16, v11
	v_cmp_le_i32_e64 s[10:11], s22, v12
	s_and_saveexec_b64 s[12:13], s[10:11]
	s_xor_b64 s[10:11], exec, s[12:13]
	s_cbranch_execz .LBB30_131
; %bb.130:
	v_mov_b32_e32 v16, 0
	v_add_u32_e32 v9, v7, v8
	v_mov_b32_e32 v17, v16
	v_mov_b32_e32 v18, v16
	;; [unrolled: 1-line block ×3, first 2 shown]
	ds_write_b128 v9, v[16:19] offset:8448
.LBB30_131:
	s_andn2_saveexec_b64 s[10:11], s[10:11]
	s_cbranch_execz .LBB30_133
; %bb.132:
	s_lshl_b32 s12, s24, 4
	s_ashr_i32 s13, s12, 31
	v_lshl_add_u64 v[16:17], s[12:13], 4, v[4:5]
	global_load_dwordx4 v[16:19], v[16:17], off
	s_movk_i32 s12, 0x2100
	v_add3_u32 v9, v7, v8, s12
	s_waitcnt vmcnt(0)
	ds_write2_b64 v9, v[16:17], v[18:19] offset1:1
.LBB30_133:
	s_or_b64 exec, exec, s[10:11]
	v_add_u32_e32 v13, 24, v11
	v_cmp_le_i32_e64 s[10:11], s22, v13
                                        ; implicit-def: $vgpr15
	s_and_saveexec_b64 s[12:13], s[10:11]
	s_xor_b64 s[10:11], exec, s[12:13]
	s_cbranch_execz .LBB30_135
; %bb.134:
	v_add_u32_e32 v15, 0x3180, v7
	v_mov_b32_e32 v16, 0
	v_add_u32_e32 v9, v8, v15
	v_mov_b32_e32 v17, v16
	v_mov_b32_e32 v18, v16
	;; [unrolled: 1-line block ×3, first 2 shown]
	ds_write_b128 v9, v[16:19]
.LBB30_135:
	s_andn2_saveexec_b64 s[10:11], s[10:11]
	s_cbranch_execz .LBB30_137
; %bb.136:
	s_mul_i32 s12, s24, 24
	s_ashr_i32 s13, s12, 31
	v_lshl_add_u64 v[16:17], s[12:13], 4, v[4:5]
	global_load_dwordx4 v[16:19], v[16:17], off
	v_add_u32_e32 v15, 0x3180, v7
	v_add_u32_e32 v9, v8, v15
	s_waitcnt vmcnt(0)
	ds_write2_b64 v9, v[16:17], v[18:19] offset1:1
.LBB30_137:
	s_or_b64 exec, exec, s[10:11]
	v_mov_b32_e32 v9, 0
	v_lshl_add_u64 v[4:5], v[4:5], 0, v[8:9]
	s_lshl_b64 s[10:11], s[22:23], 4
	v_mov_b32_e32 v9, s11
	v_subrev_co_u32_e64 v4, s[10:11], s10, v4
	s_nop 1
	v_subb_co_u32_e64 v5, s[10:11], v5, v9, s[10:11]
	s_mov_b64 s[10:11], 0x210
	s_nop 0
	v_lshl_add_u64 v[4:5], v[4:5], 0, s[10:11]
	v_cndmask_b32_e32 v41, v5, v41, vcc
	v_cndmask_b32_e32 v40, v4, v40, vcc
	v_add_u32_e32 v5, 0x1080, v7
	v_add_u32_e32 v4, 0x2100, v7
.LBB30_138:
	v_lshlrev_b32_e32 v9, 4, v11
	s_waitcnt lgkmcnt(0)
	s_barrier
	v_add_u32_e32 v7, v8, v7
	ds_read_b128 v[20:23], v9 offset:18176
	ds_read_b128 v[24:27], v7
	v_lshlrev_b32_e32 v6, 4, v6
	v_add_u32_e32 v5, v8, v5
	ds_read_b128 v[46:49], v6 offset:18176
	ds_read_b128 v[50:53], v5
	v_lshlrev_b32_e32 v5, 4, v12
	;; [unrolled: 4-line block ×3, first 2 shown]
	s_waitcnt lgkmcnt(4)
	v_mul_f64 v[6:7], v[22:23], v[26:27]
	v_add_u32_e32 v4, v8, v15
	ds_read_b128 v[62:65], v5 offset:18176
	ds_read2_b64 v[66:69], v4 offset1:1
	v_fma_f64 v[6:7], v[20:21], v[24:25], -v[6:7]
	s_waitcnt lgkmcnt(4)
	v_mul_f64 v[10:11], v[48:49], v[52:53]
	v_add_f64 v[6:7], v[6:7], 0
	v_fma_f64 v[10:11], v[46:47], v[50:51], -v[10:11]
	v_add_f64 v[4:5], v[6:7], v[10:11]
	s_waitcnt lgkmcnt(2)
	v_mul_f64 v[6:7], v[56:57], v[60:61]
	v_fma_f64 v[6:7], v[54:55], v[58:59], -v[6:7]
	v_add_f64 v[4:5], v[4:5], v[6:7]
	s_waitcnt lgkmcnt(0)
	v_mul_f64 v[6:7], v[64:65], v[68:69]
	v_fma_f64 v[6:7], v[62:63], v[66:67], -v[6:7]
	v_add_f64 v[70:71], v[4:5], v[6:7]
	v_lshl_add_u32 v4, v14, 4, v43
	v_mul_f64 v[72:73], v[20:21], v[26:27]
	ds_read_b128 v[28:31], v4
	ds_read_b128 v[16:19], v4 offset:16
	ds_read_b128 v[8:11], v4 offset:32
	;; [unrolled: 1-line block ×3, first 2 shown]
	v_fmac_f64_e32 v[72:73], v[22:23], v[24:25]
	v_mul_f64 v[46:47], v[46:47], v[52:53]
	v_fmac_f64_e32 v[46:47], v[48:49], v[50:51]
	v_add_f64 v[48:49], v[72:73], 0
	ds_read_b128 v[32:35], v45 offset:512
	ds_read_b128 v[24:27], v45 offset:528
	;; [unrolled: 1-line block ×4, first 2 shown]
	v_add_f64 v[46:47], v[48:49], v[46:47]
	v_mul_f64 v[48:49], v[54:55], v[60:61]
	v_fmac_f64_e32 v[48:49], v[56:57], v[58:59]
	v_add_f64 v[46:47], v[46:47], v[48:49]
	v_mul_f64 v[48:49], v[62:63], v[68:69]
	v_fmac_f64_e32 v[48:49], v[64:65], v[66:67]
	v_add_f64 v[72:73], v[46:47], v[48:49]
	s_waitcnt lgkmcnt(0)
	s_barrier
	ds_write_b128 v44, v[70:73]
	s_waitcnt lgkmcnt(0)
	s_barrier
	s_and_saveexec_b64 s[10:11], s[8:9]
	s_cbranch_execz .LBB30_140
; %bb.139:
	ds_read_b128 v[46:49], v43
	ds_read_b128 v[50:53], v43 offset:16
	ds_read_b128 v[54:57], v43 offset:32
	;; [unrolled: 1-line block ×3, first 2 shown]
	s_waitcnt lgkmcnt(3)
	v_add_f64 v[0:1], v[0:1], v[46:47]
	v_add_f64 v[2:3], v[2:3], v[48:49]
	s_waitcnt lgkmcnt(2)
	v_add_f64 v[0:1], v[0:1], v[50:51]
	v_add_f64 v[46:47], v[2:3], v[52:53]
	s_waitcnt lgkmcnt(1)
	v_add_f64 v[48:49], v[0:1], v[54:55]
	ds_read_b128 v[0:3], v43 offset:64
	v_add_f64 v[46:47], v[46:47], v[56:57]
	s_waitcnt lgkmcnt(1)
	v_add_f64 v[50:51], v[48:49], v[58:59]
	v_add_f64 v[54:55], v[46:47], v[60:61]
	ds_read_b128 v[46:49], v43 offset:80
	s_waitcnt lgkmcnt(1)
	v_add_f64 v[56:57], v[50:51], v[0:1]
	ds_read_b128 v[50:53], v43 offset:96
	v_add_f64 v[54:55], v[54:55], v[2:3]
	ds_read_b128 v[0:3], v43 offset:112
	s_waitcnt lgkmcnt(2)
	v_add_f64 v[46:47], v[56:57], v[46:47]
	v_add_f64 v[48:49], v[54:55], v[48:49]
	s_waitcnt lgkmcnt(1)
	v_add_f64 v[46:47], v[46:47], v[50:51]
	v_add_f64 v[48:49], v[48:49], v[52:53]
	;; [unrolled: 3-line block ×3, first 2 shown]
.LBB30_140:
	s_or_b64 exec, exec, s[10:11]
	v_mul_f64 v[46:47], v[30:31], v[34:35]
	v_mul_f64 v[30:31], v[30:31], v[32:33]
	v_fmac_f64_e32 v[46:47], v[28:29], v[32:33]
	v_fma_f64 v[28:29], v[28:29], v[34:35], -v[30:31]
	v_mul_f64 v[32:33], v[18:19], v[26:27]
	v_mul_f64 v[18:19], v[18:19], v[24:25]
	v_add_f64 v[28:29], v[28:29], 0
	v_fmac_f64_e32 v[32:33], v[16:17], v[24:25]
	v_fma_f64 v[16:17], v[16:17], v[26:27], -v[18:19]
	v_mul_f64 v[24:25], v[10:11], v[22:23]
	v_mul_f64 v[10:11], v[10:11], v[20:21]
	v_add_f64 v[30:31], v[46:47], 0
	v_add_f64 v[16:17], v[28:29], v[16:17]
	v_fmac_f64_e32 v[24:25], v[8:9], v[20:21]
	v_fma_f64 v[8:9], v[8:9], v[22:23], -v[10:11]
	v_add_f64 v[18:19], v[30:31], v[32:33]
	v_add_f64 v[8:9], v[16:17], v[8:9]
	v_mul_f64 v[16:17], v[6:7], v[14:15]
	v_mul_f64 v[6:7], v[6:7], v[12:13]
	v_add_f64 v[10:11], v[18:19], v[24:25]
	v_fmac_f64_e32 v[16:17], v[4:5], v[12:13]
	v_fma_f64 v[6:7], v[4:5], v[14:15], -v[6:7]
	v_add_f64 v[4:5], v[10:11], v[16:17]
	v_add_f64 v[6:7], v[8:9], v[6:7]
	s_barrier
	ds_write_b128 v44, v[4:7]
	s_waitcnt lgkmcnt(0)
	s_barrier
	s_and_saveexec_b64 s[8:9], s[6:7]
	s_cbranch_execz .LBB30_142
; %bb.141:
	ds_read_b128 v[4:7], v43
	ds_read_b128 v[8:11], v43 offset:16
	ds_read_b128 v[12:15], v43 offset:32
	;; [unrolled: 1-line block ×3, first 2 shown]
	s_waitcnt lgkmcnt(3)
	v_add_f64 v[0:1], v[0:1], v[4:5]
	v_add_f64 v[2:3], v[2:3], v[6:7]
	s_waitcnt lgkmcnt(2)
	v_add_f64 v[0:1], v[0:1], v[8:9]
	v_add_f64 v[4:5], v[2:3], v[10:11]
	s_waitcnt lgkmcnt(1)
	v_add_f64 v[6:7], v[0:1], v[12:13]
	ds_read_b128 v[0:3], v43 offset:64
	v_add_f64 v[4:5], v[4:5], v[14:15]
	s_waitcnt lgkmcnt(1)
	v_add_f64 v[8:9], v[6:7], v[16:17]
	v_add_f64 v[12:13], v[4:5], v[18:19]
	ds_read_b128 v[4:7], v43 offset:80
	s_waitcnt lgkmcnt(1)
	v_add_f64 v[14:15], v[8:9], v[0:1]
	ds_read_b128 v[8:11], v43 offset:96
	v_add_f64 v[12:13], v[12:13], v[2:3]
	ds_read_b128 v[0:3], v43 offset:112
	s_waitcnt lgkmcnt(2)
	v_add_f64 v[4:5], v[14:15], v[4:5]
	v_add_f64 v[6:7], v[12:13], v[6:7]
	s_waitcnt lgkmcnt(1)
	v_add_f64 v[4:5], v[4:5], v[8:9]
	v_add_f64 v[6:7], v[6:7], v[10:11]
	;; [unrolled: 3-line block ×3, first 2 shown]
.LBB30_142:
	s_or_b64 exec, exec, s[8:9]
	s_load_dwordx2 s[0:1], s[0:1], 0x78
	s_mul_hi_u32 s6, s38, s3
	s_mul_i32 s40, s40, s3
	s_add_i32 s6, s6, s40
	s_mul_i32 s3, s38, s3
	s_mul_i32 s6, s6, s39
	s_mul_hi_u32 s7, s3, s39
	s_add_i32 s7, s7, s6
	s_mul_i32 s6, s3, s39
	s_lshl_b64 s[6:7], s[6:7], 4
	s_waitcnt lgkmcnt(0)
	s_add_u32 s3, s0, s6
	s_mul_i32 s0, s38, s2
	s_addc_u32 s7, s1, s7
	s_ashr_i32 s1, s0, 31
	s_lshl_b64 s[0:1], s[0:1], 4
	s_add_u32 s6, s3, s0
	v_cmp_le_i32_e32 vcc, s22, v150
	s_addc_u32 s7, s7, s1
	s_and_b64 vcc, s[30:31], vcc
	s_cmp_lt_i32 s2, 1
	v_lshlrev_b32_e32 v156, 4, v150
	s_barrier
	s_cbranch_scc1 .LBB30_149
; %bb.143:
	s_mul_i32 s0, s33, s26
	s_ashr_i32 s1, s0, 31
	s_lshl_b64 s[0:1], s[0:1], 4
	v_mov_b32_e32 v4, s1
	v_subrev_co_u32_e64 v152, s[0:1], s0, v36
	s_ashr_i32 s23, s22, 31
	s_nop 0
	v_subb_co_u32_e64 v153, s[0:1], v37, v4, s[0:1]
	s_lshl_b64 s[0:1], s[28:29], 4
	s_nop 0
	v_mov_b32_e32 v4, s1
	v_subrev_co_u32_e64 v6, s[0:1], s0, v40
	v_lshrrev_b32_e32 v10, 4, v42
	s_nop 0
	v_subb_co_u32_e64 v7, s[0:1], v41, v4, s[0:1]
	v_lshlrev_b64 v[4:5], 4, v[38:39]
	v_sub_co_u32_e64 v4, s[0:1], v6, v4
	v_mul_lo_u32 v6, v149, s24
	s_nop 0
	v_subb_co_u32_e64 v5, s[0:1], v7, v5, s[0:1]
	v_lshl_add_u32 v6, v6, 2, v150
	v_ashrrev_i32_e32 v7, 31, v6
	s_movk_i32 s0, 0xfe00
	v_lshl_add_u64 v[4:5], v[6:7], 4, v[4:5]
	s_mov_b32 s1, -1
	v_lshl_add_u64 v[6:7], v[4:5], 0, s[0:1]
	v_sub_co_u32_e64 v4, s[0:1], v4, v156
	v_and_b32_e32 v11, 15, v150
	s_nop 0
	v_subbrev_co_u32_e64 v5, s[0:1], 0, v5, s[0:1]
	s_movk_i32 s0, 0xfdf0
	v_lshl_add_u64 v[4:5], s[22:23], 4, v[4:5]
	s_mov_b32 s1, -1
	v_lshl_add_u64 v[4:5], v[4:5], 0, s[0:1]
	v_cndmask_b32_e32 v9, v7, v5, vcc
	v_cndmask_b32_e32 v8, v6, v4, vcc
	v_mov_b32_e32 v4, 0x4300
	v_and_b32_e32 v5, 48, v150
	v_lshl_add_u32 v158, v149, 6, v4
	v_lshlrev_b32_e32 v4, 6, v10
	s_movk_i32 s8, 0x430
	v_lshlrev_b32_e32 v5, 4, v5
	s_movk_i32 s0, 0x10c0
	v_mad_u32_u24 v161, v11, s8, v4
	v_mul_i32_i24_e32 v4, 0xffffffd0, v10
	v_mad_u32_u24 v162, v11, s8, v5
	v_or_b32_e32 v5, 0xf0, v156
	s_ashr_i32 s25, s24, 31
	v_mov_b32_e32 v151, 0
	s_lshl_b32 s3, s33, 6
	v_add_u32_e32 v157, 0x4300, v156
	v_add_u32_e32 v159, 0x4700, v156
	v_mad_u32_u24 v160, v149, s0, v156
	v_cmp_gt_u32_e64 s[0:1], 64, v42
	v_mad_u32_u24 v163, v11, s8, v5
	s_lshl_b64 s[8:9], s[24:25], 4
	s_mul_hi_i32 s11, s24, 0xd0
	s_mul_i32 s10, s24, 0xd0
	s_mov_b32 s12, 0
	v_add_u32_e32 v164, v161, v4
	s_branch .LBB30_145
.LBB30_144:                             ;   in Loop: Header=BB30_145 Depth=1
	s_or_b64 exec, exec, s[14:15]
	v_mul_f64 v[132:133], v[6:7], v[34:35]
	v_fma_f64 v[132:133], v[4:5], v[32:33], -v[132:133]
	v_mul_f64 v[4:5], v[4:5], v[34:35]
	v_mul_f64 v[34:35], v[10:11], v[30:31]
	v_add_f64 v[0:1], v[0:1], v[132:133]
	v_fma_f64 v[34:35], v[8:9], v[28:29], -v[34:35]
	v_mul_f64 v[8:9], v[8:9], v[30:31]
	v_mul_f64 v[30:31], v[14:15], v[26:27]
	v_add_f64 v[0:1], v[0:1], v[34:35]
	v_fma_f64 v[30:31], v[12:13], v[24:25], -v[30:31]
	v_mul_f64 v[12:13], v[12:13], v[26:27]
	v_mul_f64 v[26:27], v[18:19], v[22:23]
	v_fmac_f64_e32 v[4:5], v[6:7], v[32:33]
	v_add_f64 v[0:1], v[0:1], v[30:31]
	v_fma_f64 v[26:27], v[16:17], v[20:21], -v[26:27]
	v_add_f64 v[2:3], v[2:3], v[4:5]
	v_mul_f64 v[4:5], v[38:39], v[70:71]
	v_add_f64 v[0:1], v[0:1], v[26:27]
	v_fma_f64 v[4:5], v[36:37], v[68:69], -v[4:5]
	v_add_f64 v[0:1], v[0:1], v[4:5]
	v_mul_f64 v[4:5], v[42:43], v[66:67]
	v_fma_f64 v[4:5], v[40:41], v[64:65], -v[4:5]
	v_add_f64 v[0:1], v[0:1], v[4:5]
	v_mul_f64 v[4:5], v[46:47], v[58:59]
	;; [unrolled: 3-line block ×4, first 2 shown]
	v_fmac_f64_e32 v[8:9], v[10:11], v[28:29]
	v_fma_f64 v[4:5], v[60:61], v[108:109], -v[4:5]
	v_mul_f64 v[16:17], v[16:17], v[22:23]
	v_add_f64 v[2:3], v[2:3], v[8:9]
	v_fmac_f64_e32 v[12:13], v[14:15], v[24:25]
	v_add_f64 v[0:1], v[0:1], v[4:5]
	v_mul_f64 v[4:5], v[74:75], v[106:107]
	v_add_f64 v[2:3], v[2:3], v[12:13]
	v_fmac_f64_e32 v[16:17], v[18:19], v[20:21]
	v_mul_f64 v[6:7], v[36:37], v[70:71]
	v_fma_f64 v[4:5], v[72:73], v[104:105], -v[4:5]
	v_add_f64 v[2:3], v[2:3], v[16:17]
	v_mul_f64 v[8:9], v[40:41], v[66:67]
	v_fmac_f64_e32 v[6:7], v[38:39], v[68:69]
	v_add_f64 v[0:1], v[0:1], v[4:5]
	v_mul_f64 v[4:5], v[78:79], v[98:99]
	v_mul_f64 v[10:11], v[44:45], v[58:59]
	v_add_f64 v[2:3], v[2:3], v[6:7]
	v_fmac_f64_e32 v[8:9], v[42:43], v[64:65]
	v_fma_f64 v[4:5], v[76:77], v[96:97], -v[4:5]
	v_mul_f64 v[12:13], v[48:49], v[54:55]
	v_add_f64 v[2:3], v[2:3], v[8:9]
	v_fmac_f64_e32 v[10:11], v[46:47], v[56:57]
	v_add_f64 v[0:1], v[0:1], v[4:5]
	v_mul_f64 v[4:5], v[82:83], v[86:87]
	v_add_f64 v[2:3], v[2:3], v[10:11]
	v_fmac_f64_e32 v[12:13], v[50:51], v[52:53]
	v_mul_f64 v[6:7], v[60:61], v[110:111]
	v_fma_f64 v[4:5], v[80:81], v[84:85], -v[4:5]
	v_add_f64 v[2:3], v[2:3], v[12:13]
	v_mul_f64 v[8:9], v[72:73], v[106:107]
	v_add_f64 v[0:1], v[0:1], v[4:5]
	v_fmac_f64_e32 v[6:7], v[62:63], v[108:109]
	v_mul_f64 v[4:5], v[90:91], v[118:119]
	v_mul_f64 v[10:11], v[76:77], v[98:99]
	v_add_f64 v[2:3], v[2:3], v[6:7]
	v_fmac_f64_e32 v[8:9], v[74:75], v[104:105]
	v_fma_f64 v[4:5], v[88:89], v[116:117], -v[4:5]
	v_mul_f64 v[12:13], v[80:81], v[86:87]
	v_add_f64 v[2:3], v[2:3], v[8:9]
	v_fmac_f64_e32 v[10:11], v[78:79], v[96:97]
	v_add_f64 v[0:1], v[0:1], v[4:5]
	v_mul_f64 v[4:5], v[94:95], v[122:123]
	v_add_f64 v[2:3], v[2:3], v[10:11]
	v_fmac_f64_e32 v[12:13], v[82:83], v[84:85]
	v_mul_f64 v[6:7], v[88:89], v[118:119]
	v_fma_f64 v[4:5], v[92:93], v[120:121], -v[4:5]
	v_add_f64 v[2:3], v[2:3], v[12:13]
	v_mul_f64 v[8:9], v[92:93], v[122:123]
	v_add_f64 v[0:1], v[0:1], v[4:5]
	v_mul_f64 v[4:5], v[102:103], v[126:127]
	v_fmac_f64_e32 v[6:7], v[90:91], v[116:117]
	v_fma_f64 v[4:5], v[100:101], v[124:125], -v[4:5]
	v_mul_f64 v[10:11], v[100:101], v[126:127]
	v_fmac_f64_e32 v[8:9], v[94:95], v[120:121]
	v_add_f64 v[2:3], v[2:3], v[6:7]
	v_add_f64 v[0:1], v[0:1], v[4:5]
	v_mul_f64 v[4:5], v[114:115], v[130:131]
	v_mul_f64 v[12:13], v[112:113], v[130:131]
	v_fmac_f64_e32 v[10:11], v[102:103], v[124:125]
	v_add_f64 v[2:3], v[2:3], v[8:9]
	v_fma_f64 v[4:5], v[112:113], v[128:129], -v[4:5]
	v_fmac_f64_e32 v[12:13], v[114:115], v[128:129]
	v_add_f64 v[2:3], v[2:3], v[10:11]
	s_add_i32 s2, s2, -1
	s_add_i32 s12, s12, s3
	v_add_f64 v[0:1], v[0:1], v[4:5]
	v_add_f64 v[2:3], v[2:3], v[12:13]
	v_add_u32_e32 v150, 64, v150
	s_cmp_eq_u32 s2, 0
	v_lshl_add_u64 v[8:9], v[154:155], 0, s[10:11]
	s_barrier
	s_cbranch_scc1 .LBB30_149
.LBB30_145:                             ; =>This Inner Loop Header: Depth=1
	s_and_saveexec_b64 s[14:15], s[18:19]
	s_cbranch_execz .LBB30_147
; %bb.146:                              ;   in Loop: Header=BB30_145 Depth=1
	s_ashr_i32 s13, s12, 31
	v_lshl_add_u64 v[4:5], s[12:13], 4, v[152:153]
	global_load_dwordx4 v[4:7], v[4:5], off
	s_waitcnt vmcnt(0)
	ds_write2_b64 v157, v[4:5], v[6:7] offset1:1
.LBB30_147:                             ;   in Loop: Header=BB30_145 Depth=1
	s_or_b64 exec, exec, s[14:15]
	v_lshl_add_u64 v[12:13], v[8:9], 0, s[8:9]
	s_waitcnt lgkmcnt(0)
	s_barrier
	global_load_dwordx4 v[4:7], v[8:9], off
	v_lshl_add_u64 v[16:17], v[12:13], 0, s[8:9]
	global_load_dwordx4 v[8:11], v[12:13], off
	v_lshl_add_u64 v[40:41], v[16:17], 0, s[8:9]
	;; [unrolled: 2-line block ×3, first 2 shown]
	global_load_dwordx4 v[16:19], v[40:41], off
	ds_read_b128 v[36:39], v159
	ds_read_b128 v[32:35], v158
	ds_read_b128 v[28:31], v158 offset:16
	ds_read_b128 v[24:27], v158 offset:32
	;; [unrolled: 1-line block ×3, first 2 shown]
	s_waitcnt vmcnt(3) lgkmcnt(4)
	v_mul_f64 v[40:41], v[6:7], v[38:39]
	v_mul_f64 v[42:43], v[6:7], v[36:37]
	s_waitcnt vmcnt(2)
	v_mul_f64 v[44:45], v[10:11], v[38:39]
	v_mul_f64 v[46:47], v[10:11], v[36:37]
	v_fmac_f64_e32 v[44:45], v[8:9], v[36:37]
	v_fma_f64 v[46:47], v[8:9], v[38:39], -v[46:47]
	v_fmac_f64_e32 v[40:41], v[4:5], v[36:37]
	v_fma_f64 v[42:43], v[4:5], v[38:39], -v[42:43]
	ds_write_b128 v160, v[44:47] offset:1072
	s_waitcnt vmcnt(0)
	v_mul_f64 v[44:45], v[18:19], v[38:39]
	v_mul_f64 v[46:47], v[18:19], v[36:37]
	ds_write_b128 v160, v[40:43]
	v_mul_f64 v[40:41], v[14:15], v[38:39]
	v_mul_f64 v[42:43], v[14:15], v[36:37]
	v_fmac_f64_e32 v[44:45], v[16:17], v[36:37]
	v_fma_f64 v[46:47], v[16:17], v[38:39], -v[46:47]
	v_fmac_f64_e32 v[40:41], v[12:13], v[36:37]
	v_fma_f64 v[42:43], v[12:13], v[38:39], -v[42:43]
	ds_write_b128 v160, v[44:47] offset:3216
	v_lshl_add_u64 v[44:45], v[48:49], 0, s[8:9]
	ds_write_b128 v160, v[40:43] offset:2144
	s_waitcnt lgkmcnt(0)
	s_barrier
	ds_read_b128 v[128:131], v161
	ds_read_b128 v[124:127], v161 offset:16
	ds_read_b128 v[120:123], v161 offset:32
	;; [unrolled: 1-line block ×3, first 2 shown]
	s_waitcnt lgkmcnt(0)
	s_barrier
	global_load_dwordx4 v[36:39], v[48:49], off
	global_load_dwordx4 v[40:43], v[44:45], off
	v_lshl_add_u64 v[48:49], v[44:45], 0, s[8:9]
	v_lshl_add_u64 v[52:53], v[48:49], 0, s[8:9]
	global_load_dwordx4 v[44:47], v[48:49], off
	v_lshl_add_u64 v[88:89], v[52:53], 0, s[10:11]
	global_load_dwordx4 v[48:51], v[52:53], off
	ds_read_b128 v[60:63], v159
	ds_read_b128 v[68:71], v158 offset:256
	ds_read_b128 v[64:67], v158 offset:272
	;; [unrolled: 1-line block ×4, first 2 shown]
	v_add_f64 v[128:129], v[128:129], 0
	v_add_f64 v[130:131], v[130:131], 0
	;; [unrolled: 1-line block ×8, first 2 shown]
	s_waitcnt vmcnt(3) lgkmcnt(4)
	v_mul_f64 v[72:73], v[38:39], v[62:63]
	v_mul_f64 v[74:75], v[38:39], v[60:61]
	s_waitcnt vmcnt(2)
	v_mul_f64 v[76:77], v[42:43], v[62:63]
	v_mul_f64 v[78:79], v[42:43], v[60:61]
	s_waitcnt vmcnt(1)
	;; [unrolled: 3-line block ×3, first 2 shown]
	v_mul_f64 v[86:87], v[50:51], v[60:61]
	v_mul_f64 v[84:85], v[50:51], v[62:63]
	v_fma_f64 v[74:75], v[36:37], v[62:63], -v[74:75]
	v_fmac_f64_e32 v[72:73], v[36:37], v[60:61]
	v_fmac_f64_e32 v[76:77], v[40:41], v[60:61]
	v_fma_f64 v[78:79], v[40:41], v[62:63], -v[78:79]
	v_fma_f64 v[82:83], v[44:45], v[62:63], -v[82:83]
	;; [unrolled: 1-line block ×3, first 2 shown]
	v_fmac_f64_e32 v[80:81], v[44:45], v[60:61]
	v_fmac_f64_e32 v[84:85], v[48:49], v[60:61]
	ds_write_b128 v160, v[72:75]
	ds_write_b128 v160, v[76:79] offset:1072
	ds_write_b128 v160, v[80:83] offset:2144
	;; [unrolled: 1-line block ×3, first 2 shown]
	v_lshl_add_u64 v[76:77], v[88:89], 0, s[8:9]
	v_lshl_add_u64 v[80:81], v[76:77], 0, s[8:9]
	s_waitcnt lgkmcnt(0)
	s_barrier
	ds_read_b128 v[144:147], v161
	ds_read_b128 v[140:143], v161 offset:16
	ds_read_b128 v[136:139], v161 offset:32
	;; [unrolled: 1-line block ×3, first 2 shown]
	s_waitcnt lgkmcnt(0)
	s_barrier
	global_load_dwordx4 v[60:63], v[88:89], off
	global_load_dwordx4 v[72:75], v[76:77], off
	v_lshl_add_u64 v[84:85], v[80:81], 0, s[8:9]
	global_load_dwordx4 v[76:79], v[80:81], off
	v_lshl_add_u64 v[154:155], v[84:85], 0, s[10:11]
	global_load_dwordx4 v[80:83], v[84:85], off
	ds_read_b128 v[88:91], v159
	ds_read_b128 v[108:111], v158 offset:512
	ds_read_b128 v[104:107], v158 offset:528
	;; [unrolled: 1-line block ×4, first 2 shown]
	v_add_f64 v[116:117], v[144:145], 0
	v_add_f64 v[118:119], v[146:147], 0
	;; [unrolled: 1-line block ×8, first 2 shown]
	s_waitcnt vmcnt(3) lgkmcnt(4)
	v_mul_f64 v[94:95], v[62:63], v[88:89]
	v_mul_f64 v[92:93], v[62:63], v[90:91]
	s_waitcnt vmcnt(2)
	v_mul_f64 v[100:101], v[74:75], v[90:91]
	v_mul_f64 v[102:103], v[74:75], v[88:89]
	s_waitcnt vmcnt(1)
	v_mul_f64 v[114:115], v[78:79], v[88:89]
	v_mul_f64 v[112:113], v[78:79], v[90:91]
	s_waitcnt vmcnt(0)
	v_mul_f64 v[168:169], v[82:83], v[88:89]
	v_mul_f64 v[166:167], v[82:83], v[90:91]
	v_fma_f64 v[94:95], v[60:61], v[90:91], -v[94:95]
	v_fmac_f64_e32 v[92:93], v[60:61], v[88:89]
	v_fmac_f64_e32 v[100:101], v[72:73], v[88:89]
	v_fma_f64 v[102:103], v[72:73], v[90:91], -v[102:103]
	v_fma_f64 v[114:115], v[76:77], v[90:91], -v[114:115]
	;; [unrolled: 1-line block ×3, first 2 shown]
	v_fmac_f64_e32 v[112:113], v[76:77], v[88:89]
	v_fmac_f64_e32 v[166:167], v[80:81], v[88:89]
	ds_write_b128 v160, v[92:95]
	ds_write_b128 v160, v[100:103] offset:1072
	ds_write_b128 v160, v[112:115] offset:2144
	;; [unrolled: 1-line block ×3, first 2 shown]
	v_lshl_add_u64 v[100:101], v[154:155], 0, s[8:9]
	v_lshl_add_u64 v[112:113], v[100:101], 0, s[8:9]
	s_waitcnt lgkmcnt(0)
	s_barrier
	ds_read_b128 v[166:169], v161
	ds_read_b128 v[170:173], v161 offset:16
	ds_read_b128 v[174:177], v161 offset:32
	;; [unrolled: 1-line block ×3, first 2 shown]
	s_waitcnt lgkmcnt(0)
	s_barrier
	global_load_dwordx4 v[88:91], v[154:155], off
	global_load_dwordx4 v[92:95], v[100:101], off
	v_lshl_add_u64 v[154:155], v[112:113], 0, s[8:9]
	global_load_dwordx4 v[100:103], v[112:113], off
	v_add_f64 v[140:141], v[166:167], 0
	global_load_dwordx4 v[112:115], v[154:155], off
	ds_read_b128 v[136:139], v159
	ds_read_b128 v[116:119], v158 offset:768
	ds_read_b128 v[120:123], v158 offset:784
	;; [unrolled: 1-line block ×4, first 2 shown]
	v_add_f64 v[142:143], v[168:169], 0
	v_add_f64 v[140:141], v[140:141], v[170:171]
	;; [unrolled: 1-line block ×7, first 2 shown]
	s_waitcnt vmcnt(3) lgkmcnt(4)
	v_mul_f64 v[146:147], v[90:91], v[136:137]
	v_mul_f64 v[144:145], v[90:91], v[138:139]
	s_waitcnt vmcnt(2)
	v_mul_f64 v[168:169], v[94:95], v[136:137]
	v_mul_f64 v[166:167], v[94:95], v[138:139]
	s_waitcnt vmcnt(1)
	;; [unrolled: 3-line block ×3, first 2 shown]
	v_mul_f64 v[176:177], v[114:115], v[136:137]
	v_mul_f64 v[174:175], v[114:115], v[138:139]
	v_fma_f64 v[146:147], v[88:89], v[138:139], -v[146:147]
	v_fma_f64 v[168:169], v[92:93], v[138:139], -v[168:169]
	;; [unrolled: 1-line block ×3, first 2 shown]
	v_fmac_f64_e32 v[144:145], v[88:89], v[136:137]
	v_fmac_f64_e32 v[166:167], v[92:93], v[136:137]
	v_fmac_f64_e32 v[170:171], v[100:101], v[136:137]
	v_fma_f64 v[176:177], v[112:113], v[138:139], -v[176:177]
	v_fmac_f64_e32 v[174:175], v[112:113], v[136:137]
	ds_write_b128 v160, v[144:147]
	ds_write_b128 v160, v[166:169] offset:1072
	ds_write_b128 v160, v[170:173] offset:2144
	;; [unrolled: 1-line block ×3, first 2 shown]
	s_waitcnt lgkmcnt(0)
	s_barrier
	ds_read_b128 v[136:139], v161
	ds_read_b128 v[144:147], v161 offset:16
	ds_read_b128 v[166:169], v161 offset:32
	;; [unrolled: 1-line block ×3, first 2 shown]
	s_waitcnt lgkmcnt(0)
	s_barrier
	ds_write_b128 v164, v[182:185]
	ds_write_b128 v164, v[132:135] offset:256
	ds_write_b128 v164, v[140:143] offset:512
	v_add_f64 v[132:133], v[136:137], 0
	v_add_f64 v[134:135], v[138:139], 0
	;; [unrolled: 1-line block ×8, first 2 shown]
	ds_write_b128 v164, v[132:135] offset:768
	s_waitcnt lgkmcnt(0)
	s_barrier
	s_and_saveexec_b64 s[14:15], s[0:1]
	s_cbranch_execz .LBB30_144
; %bb.148:                              ;   in Loop: Header=BB30_145 Depth=1
	ds_read_b128 v[132:135], v162
	ds_read_b128 v[136:139], v162 offset:16
	ds_read_b128 v[140:143], v162 offset:32
	;; [unrolled: 1-line block ×3, first 2 shown]
	s_waitcnt lgkmcnt(2)
	v_add_f64 v[132:133], v[136:137], v[132:133]
	v_add_f64 v[136:137], v[138:139], v[134:135]
	s_waitcnt lgkmcnt(1)
	v_add_f64 v[138:139], v[132:133], v[140:141]
	ds_read_b128 v[132:135], v162 offset:64
	v_add_f64 v[140:141], v[136:137], v[142:143]
	s_waitcnt lgkmcnt(1)
	v_add_f64 v[142:143], v[138:139], v[144:145]
	ds_read_b128 v[136:139], v162 offset:80
	;; [unrolled: 4-line block ×9, first 2 shown]
	v_add_f64 v[134:135], v[144:145], v[134:135]
	s_waitcnt lgkmcnt(1)
	v_add_f64 v[136:137], v[132:133], v[136:137]
	v_add_f64 v[144:145], v[134:135], v[138:139]
	ds_read_b128 v[132:135], v162 offset:208
	s_waitcnt lgkmcnt(1)
	v_add_f64 v[146:147], v[136:137], v[140:141]
	ds_read_b128 v[136:139], v162 offset:224
	v_add_f64 v[144:145], v[144:145], v[142:143]
	ds_read_b128 v[140:143], v163
	s_waitcnt lgkmcnt(2)
	v_add_f64 v[132:133], v[146:147], v[132:133]
	v_add_f64 v[134:135], v[144:145], v[134:135]
	s_waitcnt lgkmcnt(1)
	v_add_f64 v[132:133], v[132:133], v[136:137]
	v_add_f64 v[134:135], v[134:135], v[138:139]
	;; [unrolled: 3-line block ×3, first 2 shown]
	v_lshl_add_u64 v[136:137], v[150:151], 4, s[6:7]
	global_store_dwordx4 v[136:137], v[132:135], off
	s_branch .LBB30_144
.LBB30_149:
	s_movk_i32 s0, 0x430
	v_mad_u32_u24 v4, v149, s0, v156
	s_nor_b64 s[0:1], s[4:5], vcc
	ds_write_b128 v4, v[0:3]
	s_waitcnt lgkmcnt(0)
	s_barrier
	s_and_saveexec_b64 s[2:3], s[0:1]
	s_cbranch_execz .LBB30_151
; %bb.150:
	ds_read_b128 v[0:3], v156 offset:1072
	ds_read_b128 v[4:7], v156
	ds_read_b128 v[8:11], v156 offset:2144
	ds_read_b128 v[12:15], v156 offset:3216
	v_ashrrev_i32_e32 v149, 31, v148
	s_waitcnt lgkmcnt(2)
	v_add_f64 v[0:1], v[0:1], v[4:5]
	v_add_f64 v[2:3], v[2:3], v[6:7]
	s_waitcnt lgkmcnt(1)
	v_add_f64 v[0:1], v[0:1], v[8:9]
	v_add_f64 v[2:3], v[2:3], v[10:11]
	;; [unrolled: 3-line block ×3, first 2 shown]
	v_lshl_add_u64 v[4:5], v[148:149], 4, s[6:7]
	global_store_dwordx4 v[4:5], v[0:3], off
.LBB30_151:
	s_endpgm
	.section	.rodata,"a",@progbits
	.p2align	6, 0x0
	.amdhsa_kernel _ZL26rocblas_hemvn_kernel_lowerILb1ELi64ELi4ELi33ELi32ELi16Ei19rocblas_complex_numIdEPKS1_PS1_EviT6_lT7_lT5_lS6_lS7_lS5_lT8_i
		.amdhsa_group_segment_fixed_size 19200
		.amdhsa_private_segment_fixed_size 0
		.amdhsa_kernarg_size 392
		.amdhsa_user_sgpr_count 2
		.amdhsa_user_sgpr_dispatch_ptr 0
		.amdhsa_user_sgpr_queue_ptr 0
		.amdhsa_user_sgpr_kernarg_segment_ptr 1
		.amdhsa_user_sgpr_dispatch_id 0
		.amdhsa_user_sgpr_kernarg_preload_length 0
		.amdhsa_user_sgpr_kernarg_preload_offset 0
		.amdhsa_user_sgpr_private_segment_size 0
		.amdhsa_uses_dynamic_stack 0
		.amdhsa_enable_private_segment 0
		.amdhsa_system_sgpr_workgroup_id_x 1
		.amdhsa_system_sgpr_workgroup_id_y 0
		.amdhsa_system_sgpr_workgroup_id_z 1
		.amdhsa_system_sgpr_workgroup_info 0
		.amdhsa_system_vgpr_workitem_id 1
		.amdhsa_next_free_vgpr 186
		.amdhsa_next_free_sgpr 41
		.amdhsa_accum_offset 188
		.amdhsa_reserve_vcc 1
		.amdhsa_float_round_mode_32 0
		.amdhsa_float_round_mode_16_64 0
		.amdhsa_float_denorm_mode_32 3
		.amdhsa_float_denorm_mode_16_64 3
		.amdhsa_dx10_clamp 1
		.amdhsa_ieee_mode 1
		.amdhsa_fp16_overflow 0
		.amdhsa_tg_split 0
		.amdhsa_exception_fp_ieee_invalid_op 0
		.amdhsa_exception_fp_denorm_src 0
		.amdhsa_exception_fp_ieee_div_zero 0
		.amdhsa_exception_fp_ieee_overflow 0
		.amdhsa_exception_fp_ieee_underflow 0
		.amdhsa_exception_fp_ieee_inexact 0
		.amdhsa_exception_int_div_zero 0
	.end_amdhsa_kernel
	.section	.text._ZL26rocblas_hemvn_kernel_lowerILb1ELi64ELi4ELi33ELi32ELi16Ei19rocblas_complex_numIdEPKS1_PS1_EviT6_lT7_lT5_lS6_lS7_lS5_lT8_i,"axG",@progbits,_ZL26rocblas_hemvn_kernel_lowerILb1ELi64ELi4ELi33ELi32ELi16Ei19rocblas_complex_numIdEPKS1_PS1_EviT6_lT7_lT5_lS6_lS7_lS5_lT8_i,comdat
.Lfunc_end30:
	.size	_ZL26rocblas_hemvn_kernel_lowerILb1ELi64ELi4ELi33ELi32ELi16Ei19rocblas_complex_numIdEPKS1_PS1_EviT6_lT7_lT5_lS6_lS7_lS5_lT8_i, .Lfunc_end30-_ZL26rocblas_hemvn_kernel_lowerILb1ELi64ELi4ELi33ELi32ELi16Ei19rocblas_complex_numIdEPKS1_PS1_EviT6_lT7_lT5_lS6_lS7_lS5_lT8_i
                                        ; -- End function
	.set _ZL26rocblas_hemvn_kernel_lowerILb1ELi64ELi4ELi33ELi32ELi16Ei19rocblas_complex_numIdEPKS1_PS1_EviT6_lT7_lT5_lS6_lS7_lS5_lT8_i.num_vgpr, 186
	.set _ZL26rocblas_hemvn_kernel_lowerILb1ELi64ELi4ELi33ELi32ELi16Ei19rocblas_complex_numIdEPKS1_PS1_EviT6_lT7_lT5_lS6_lS7_lS5_lT8_i.num_agpr, 0
	.set _ZL26rocblas_hemvn_kernel_lowerILb1ELi64ELi4ELi33ELi32ELi16Ei19rocblas_complex_numIdEPKS1_PS1_EviT6_lT7_lT5_lS6_lS7_lS5_lT8_i.numbered_sgpr, 41
	.set _ZL26rocblas_hemvn_kernel_lowerILb1ELi64ELi4ELi33ELi32ELi16Ei19rocblas_complex_numIdEPKS1_PS1_EviT6_lT7_lT5_lS6_lS7_lS5_lT8_i.num_named_barrier, 0
	.set _ZL26rocblas_hemvn_kernel_lowerILb1ELi64ELi4ELi33ELi32ELi16Ei19rocblas_complex_numIdEPKS1_PS1_EviT6_lT7_lT5_lS6_lS7_lS5_lT8_i.private_seg_size, 0
	.set _ZL26rocblas_hemvn_kernel_lowerILb1ELi64ELi4ELi33ELi32ELi16Ei19rocblas_complex_numIdEPKS1_PS1_EviT6_lT7_lT5_lS6_lS7_lS5_lT8_i.uses_vcc, 1
	.set _ZL26rocblas_hemvn_kernel_lowerILb1ELi64ELi4ELi33ELi32ELi16Ei19rocblas_complex_numIdEPKS1_PS1_EviT6_lT7_lT5_lS6_lS7_lS5_lT8_i.uses_flat_scratch, 0
	.set _ZL26rocblas_hemvn_kernel_lowerILb1ELi64ELi4ELi33ELi32ELi16Ei19rocblas_complex_numIdEPKS1_PS1_EviT6_lT7_lT5_lS6_lS7_lS5_lT8_i.has_dyn_sized_stack, 0
	.set _ZL26rocblas_hemvn_kernel_lowerILb1ELi64ELi4ELi33ELi32ELi16Ei19rocblas_complex_numIdEPKS1_PS1_EviT6_lT7_lT5_lS6_lS7_lS5_lT8_i.has_recursion, 0
	.set _ZL26rocblas_hemvn_kernel_lowerILb1ELi64ELi4ELi33ELi32ELi16Ei19rocblas_complex_numIdEPKS1_PS1_EviT6_lT7_lT5_lS6_lS7_lS5_lT8_i.has_indirect_call, 0
	.section	.AMDGPU.csdata,"",@progbits
; Kernel info:
; codeLenInByte = 9708
; TotalNumSgprs: 47
; NumVgprs: 186
; NumAgprs: 0
; TotalNumVgprs: 186
; ScratchSize: 0
; MemoryBound: 0
; FloatMode: 240
; IeeeMode: 1
; LDSByteSize: 19200 bytes/workgroup (compile time only)
; SGPRBlocks: 5
; VGPRBlocks: 23
; NumSGPRsForWavesPerEU: 47
; NumVGPRsForWavesPerEU: 186
; AccumOffset: 188
; Occupancy: 2
; WaveLimiterHint : 1
; COMPUTE_PGM_RSRC2:SCRATCH_EN: 0
; COMPUTE_PGM_RSRC2:USER_SGPR: 2
; COMPUTE_PGM_RSRC2:TRAP_HANDLER: 0
; COMPUTE_PGM_RSRC2:TGID_X_EN: 1
; COMPUTE_PGM_RSRC2:TGID_Y_EN: 0
; COMPUTE_PGM_RSRC2:TGID_Z_EN: 1
; COMPUTE_PGM_RSRC2:TIDIG_COMP_CNT: 1
; COMPUTE_PGM_RSRC3_GFX90A:ACCUM_OFFSET: 46
; COMPUTE_PGM_RSRC3_GFX90A:TG_SPLIT: 0
	.section	.text._ZL36rocblas_hemvn_kernel_lower_block_sumILi64Ei19rocblas_complex_numIdEPS1_S1_EviT1_lS3_lT2_lT0_lPT3_i,"axG",@progbits,_ZL36rocblas_hemvn_kernel_lower_block_sumILi64Ei19rocblas_complex_numIdEPS1_S1_EviT1_lS3_lT2_lT0_lPT3_i,comdat
	.globl	_ZL36rocblas_hemvn_kernel_lower_block_sumILi64Ei19rocblas_complex_numIdEPS1_S1_EviT1_lS3_lT2_lT0_lPT3_i ; -- Begin function _ZL36rocblas_hemvn_kernel_lower_block_sumILi64Ei19rocblas_complex_numIdEPS1_S1_EviT1_lS3_lT2_lT0_lPT3_i
	.p2align	8
	.type	_ZL36rocblas_hemvn_kernel_lower_block_sumILi64Ei19rocblas_complex_numIdEPS1_S1_EviT1_lS3_lT2_lT0_lPT3_i,@function
_ZL36rocblas_hemvn_kernel_lower_block_sumILi64Ei19rocblas_complex_numIdEPS1_S1_EviT1_lS3_lT2_lT0_lPT3_i: ; @_ZL36rocblas_hemvn_kernel_lower_block_sumILi64Ei19rocblas_complex_numIdEPS1_S1_EviT1_lS3_lT2_lT0_lPT3_i
; %bb.0:
	s_load_dwordx4 s[12:15], s[0:1], 0x8
	s_load_dwordx4 s[8:11], s[0:1], 0x20
	s_waitcnt lgkmcnt(0)
	v_cmp_neq_f64_e64 s[4:5], s[12:13], 0
	v_cmp_neq_f64_e64 s[6:7], s[14:15], 0
	s_or_b64 s[4:5], s[4:5], s[6:7]
	s_mov_b64 s[6:7], -1
	s_and_b64 vcc, exec, s[4:5]
	s_cbranch_vccnz .LBB31_2
; %bb.1:
	v_cmp_neq_f64_e64 s[6:7], s[8:9], 1.0
	v_cmp_neq_f64_e64 s[16:17], s[10:11], 0
	s_or_b64 s[6:7], s[6:7], s[16:17]
.LBB31_2:
	s_andn2_b64 vcc, exec, s[6:7]
	s_cbranch_vccnz .LBB31_22
; %bb.3:
	s_load_dwordx2 s[16:17], s[0:1], 0x50
	s_xor_b64 s[20:21], s[4:5], -1
	s_load_dwordx4 s[4:7], s[0:1], 0x38
	s_load_dword s24, s[0:1], 0x48
	s_load_dword s18, s[0:1], 0x0
	v_lshl_or_b32 v8, s2, 6, v0
	s_waitcnt lgkmcnt(0)
	s_mul_i32 s17, s17, s3
	s_mul_hi_u32 s19, s16, s3
	s_add_i32 s17, s19, s17
	s_mul_i32 s16, s16, s3
	s_lshl_b64 s[16:17], s[16:17], 4
	s_add_u32 s16, s4, s16
	s_addc_u32 s17, s5, s17
	s_lshl_b64 s[4:5], s[6:7], 4
	s_add_u32 s6, s16, s4
	s_addc_u32 s7, s17, s5
	s_andn2_b64 vcc, exec, s[20:21]
	v_cmp_gt_i32_e64 s[4:5], s18, v8
	s_cbranch_vccnz .LBB31_8
; %bb.4:
	s_mov_b64 s[20:21], 0
	s_mov_b64 s[16:17], 0
                                        ; implicit-def: $vgpr2_vgpr3
                                        ; implicit-def: $vgpr4_vgpr5
	s_and_saveexec_b64 s[22:23], s[4:5]
	s_cbranch_execz .LBB31_9
; %bb.5:
	v_cmp_neq_f64_e64 s[4:5], s[8:9], 0
	v_cmp_neq_f64_e64 s[16:17], s[10:11], 0
	v_mul_lo_u32 v4, s24, v8
	s_or_b64 s[4:5], s[4:5], s[16:17]
	v_mov_b64_e32 v[2:3], 0
	v_ashrrev_i32_e32 v5, 31, v4
	s_andn2_b64 vcc, exec, s[4:5]
	v_mov_b64_e32 v[0:1], 0
	s_cbranch_vccnz .LBB31_7
; %bb.6:
	v_lshl_add_u64 v[0:1], v[4:5], 4, s[6:7]
	global_load_dwordx4 v[10:13], v[0:1], off
	s_waitcnt vmcnt(0)
	v_mul_f64 v[0:1], s[10:11], v[12:13]
	v_mul_f64 v[2:3], s[8:9], v[12:13]
	v_fma_f64 v[0:1], s[8:9], v[10:11], -v[0:1]
	v_fmac_f64_e32 v[2:3], s[10:11], v[10:11]
.LBB31_7:
	s_mov_b64 s[16:17], exec
	s_or_b64 exec, exec, s[22:23]
	s_and_b64 vcc, exec, s[20:21]
	s_cbranch_vccnz .LBB31_10
	s_branch .LBB31_20
.LBB31_8:
	s_mov_b64 s[16:17], 0
                                        ; implicit-def: $vgpr2_vgpr3
                                        ; implicit-def: $vgpr4_vgpr5
	s_cbranch_execnz .LBB31_10
	s_branch .LBB31_20
.LBB31_9:
	s_or_b64 exec, exec, s[22:23]
	s_and_b64 vcc, exec, s[20:21]
	s_cbranch_vccz .LBB31_20
.LBB31_10:
	v_cmp_gt_i32_e32 vcc, s18, v8
                                        ; implicit-def: $vgpr2_vgpr3
                                        ; implicit-def: $vgpr4_vgpr5
	s_and_saveexec_b64 s[4:5], vcc
	s_cbranch_execz .LBB31_19
; %bb.11:
	s_load_dword s20, s[0:1], 0x68
	v_mov_b64_e32 v[0:1], 0
	v_mov_b64_e32 v[6:7], 0
	s_waitcnt lgkmcnt(0)
	s_cmp_ge_i32 s2, s20
	s_cbranch_scc1 .LBB31_14
; %bb.12:
	s_ashr_i32 s19, s18, 31
	s_mul_i32 s21, s18, s2
	s_load_dwordx2 s[0:1], s[0:1], 0x58
	v_add_u32_e32 v0, s21, v8
	s_mul_hi_u32 s21, s18, s3
	s_mul_i32 s22, s19, s3
	s_add_i32 s21, s21, s22
	s_mul_i32 s3, s18, s3
	s_mul_i32 s21, s21, s20
	s_mul_hi_u32 s22, s3, s20
	s_add_i32 s23, s22, s21
	s_mul_i32 s22, s3, s20
	s_lshl_b64 s[22:23], s[22:23], 4
	s_waitcnt lgkmcnt(0)
	s_add_u32 s0, s0, s22
	v_ashrrev_i32_e32 v1, 31, v0
	s_addc_u32 s1, s1, s23
	v_lshl_add_u64 v[0:1], v[0:1], 4, s[0:1]
	v_lshl_add_u64 v[2:3], v[0:1], 0, 8
	s_lshl_b64 s[0:1], s[18:19], 4
	v_mov_b64_e32 v[0:1], 0
	v_mov_b64_e32 v[6:7], 0
.LBB31_13:                              ; =>This Inner Loop Header: Depth=1
	global_load_dwordx4 v[10:13], v[2:3], off offset:-8
	s_add_i32 s2, s2, 1
	v_lshl_add_u64 v[2:3], v[2:3], 0, s[0:1]
	s_cmp_ge_i32 s2, s20
	s_waitcnt vmcnt(0)
	v_add_f64 v[6:7], v[6:7], v[10:11]
	v_add_f64 v[0:1], v[0:1], v[12:13]
	s_cbranch_scc0 .LBB31_13
.LBB31_14:
	v_cmp_neq_f64_e64 s[2:3], s[8:9], 0
	v_cmp_neq_f64_e64 s[18:19], s[10:11], 0
	s_or_b64 s[2:3], s[2:3], s[18:19]
	v_mul_f64 v[10:11], s[14:15], v[0:1]
	v_mul_f64 v[2:3], s[12:13], v[0:1]
	v_mul_lo_u32 v4, s24, v8
	s_mov_b64 s[0:1], 0
	s_andn2_b64 vcc, exec, s[2:3]
	v_fma_f64 v[0:1], s[12:13], v[6:7], -v[10:11]
	v_fmac_f64_e32 v[2:3], s[14:15], v[6:7]
	v_ashrrev_i32_e32 v5, 31, v4
	s_cbranch_vccnz .LBB31_16
; %bb.15:
	s_mov_b64 s[0:1], -1
.LBB31_16:
	s_andn2_b64 vcc, exec, s[0:1]
	s_cbranch_vccnz .LBB31_18
; %bb.17:
	v_lshl_add_u64 v[6:7], v[4:5], 4, s[6:7]
	global_load_dwordx4 v[6:9], v[6:7], off
	s_waitcnt vmcnt(0)
	v_mul_f64 v[10:11], s[10:11], v[8:9]
	v_mul_f64 v[8:9], s[8:9], v[8:9]
	v_fma_f64 v[10:11], s[8:9], v[6:7], -v[10:11]
	v_fmac_f64_e32 v[8:9], s[10:11], v[6:7]
	v_add_f64 v[0:1], v[0:1], v[10:11]
	v_add_f64 v[2:3], v[2:3], v[8:9]
.LBB31_18:
	s_or_b64 s[16:17], s[16:17], exec
.LBB31_19:
	s_or_b64 exec, exec, s[4:5]
.LBB31_20:
	s_and_saveexec_b64 s[0:1], s[16:17]
	s_cbranch_execz .LBB31_22
; %bb.21:
	v_lshl_add_u64 v[4:5], v[4:5], 4, s[6:7]
	global_store_dwordx4 v[4:5], v[0:3], off
.LBB31_22:
	s_endpgm
	.section	.rodata,"a",@progbits
	.p2align	6, 0x0
	.amdhsa_kernel _ZL36rocblas_hemvn_kernel_lower_block_sumILi64Ei19rocblas_complex_numIdEPS1_S1_EviT1_lS3_lT2_lT0_lPT3_i
		.amdhsa_group_segment_fixed_size 0
		.amdhsa_private_segment_fixed_size 0
		.amdhsa_kernarg_size 360
		.amdhsa_user_sgpr_count 2
		.amdhsa_user_sgpr_dispatch_ptr 0
		.amdhsa_user_sgpr_queue_ptr 0
		.amdhsa_user_sgpr_kernarg_segment_ptr 1
		.amdhsa_user_sgpr_dispatch_id 0
		.amdhsa_user_sgpr_kernarg_preload_length 0
		.amdhsa_user_sgpr_kernarg_preload_offset 0
		.amdhsa_user_sgpr_private_segment_size 0
		.amdhsa_uses_dynamic_stack 0
		.amdhsa_enable_private_segment 0
		.amdhsa_system_sgpr_workgroup_id_x 1
		.amdhsa_system_sgpr_workgroup_id_y 0
		.amdhsa_system_sgpr_workgroup_id_z 1
		.amdhsa_system_sgpr_workgroup_info 0
		.amdhsa_system_vgpr_workitem_id 0
		.amdhsa_next_free_vgpr 14
		.amdhsa_next_free_sgpr 25
		.amdhsa_accum_offset 16
		.amdhsa_reserve_vcc 1
		.amdhsa_float_round_mode_32 0
		.amdhsa_float_round_mode_16_64 0
		.amdhsa_float_denorm_mode_32 3
		.amdhsa_float_denorm_mode_16_64 3
		.amdhsa_dx10_clamp 1
		.amdhsa_ieee_mode 1
		.amdhsa_fp16_overflow 0
		.amdhsa_tg_split 0
		.amdhsa_exception_fp_ieee_invalid_op 0
		.amdhsa_exception_fp_denorm_src 0
		.amdhsa_exception_fp_ieee_div_zero 0
		.amdhsa_exception_fp_ieee_overflow 0
		.amdhsa_exception_fp_ieee_underflow 0
		.amdhsa_exception_fp_ieee_inexact 0
		.amdhsa_exception_int_div_zero 0
	.end_amdhsa_kernel
	.section	.text._ZL36rocblas_hemvn_kernel_lower_block_sumILi64Ei19rocblas_complex_numIdEPS1_S1_EviT1_lS3_lT2_lT0_lPT3_i,"axG",@progbits,_ZL36rocblas_hemvn_kernel_lower_block_sumILi64Ei19rocblas_complex_numIdEPS1_S1_EviT1_lS3_lT2_lT0_lPT3_i,comdat
.Lfunc_end31:
	.size	_ZL36rocblas_hemvn_kernel_lower_block_sumILi64Ei19rocblas_complex_numIdEPS1_S1_EviT1_lS3_lT2_lT0_lPT3_i, .Lfunc_end31-_ZL36rocblas_hemvn_kernel_lower_block_sumILi64Ei19rocblas_complex_numIdEPS1_S1_EviT1_lS3_lT2_lT0_lPT3_i
                                        ; -- End function
	.set _ZL36rocblas_hemvn_kernel_lower_block_sumILi64Ei19rocblas_complex_numIdEPS1_S1_EviT1_lS3_lT2_lT0_lPT3_i.num_vgpr, 14
	.set _ZL36rocblas_hemvn_kernel_lower_block_sumILi64Ei19rocblas_complex_numIdEPS1_S1_EviT1_lS3_lT2_lT0_lPT3_i.num_agpr, 0
	.set _ZL36rocblas_hemvn_kernel_lower_block_sumILi64Ei19rocblas_complex_numIdEPS1_S1_EviT1_lS3_lT2_lT0_lPT3_i.numbered_sgpr, 25
	.set _ZL36rocblas_hemvn_kernel_lower_block_sumILi64Ei19rocblas_complex_numIdEPS1_S1_EviT1_lS3_lT2_lT0_lPT3_i.num_named_barrier, 0
	.set _ZL36rocblas_hemvn_kernel_lower_block_sumILi64Ei19rocblas_complex_numIdEPS1_S1_EviT1_lS3_lT2_lT0_lPT3_i.private_seg_size, 0
	.set _ZL36rocblas_hemvn_kernel_lower_block_sumILi64Ei19rocblas_complex_numIdEPS1_S1_EviT1_lS3_lT2_lT0_lPT3_i.uses_vcc, 1
	.set _ZL36rocblas_hemvn_kernel_lower_block_sumILi64Ei19rocblas_complex_numIdEPS1_S1_EviT1_lS3_lT2_lT0_lPT3_i.uses_flat_scratch, 0
	.set _ZL36rocblas_hemvn_kernel_lower_block_sumILi64Ei19rocblas_complex_numIdEPS1_S1_EviT1_lS3_lT2_lT0_lPT3_i.has_dyn_sized_stack, 0
	.set _ZL36rocblas_hemvn_kernel_lower_block_sumILi64Ei19rocblas_complex_numIdEPS1_S1_EviT1_lS3_lT2_lT0_lPT3_i.has_recursion, 0
	.set _ZL36rocblas_hemvn_kernel_lower_block_sumILi64Ei19rocblas_complex_numIdEPS1_S1_EviT1_lS3_lT2_lT0_lPT3_i.has_indirect_call, 0
	.section	.AMDGPU.csdata,"",@progbits
; Kernel info:
; codeLenInByte = 712
; TotalNumSgprs: 31
; NumVgprs: 14
; NumAgprs: 0
; TotalNumVgprs: 14
; ScratchSize: 0
; MemoryBound: 0
; FloatMode: 240
; IeeeMode: 1
; LDSByteSize: 0 bytes/workgroup (compile time only)
; SGPRBlocks: 3
; VGPRBlocks: 1
; NumSGPRsForWavesPerEU: 31
; NumVGPRsForWavesPerEU: 14
; AccumOffset: 16
; Occupancy: 8
; WaveLimiterHint : 0
; COMPUTE_PGM_RSRC2:SCRATCH_EN: 0
; COMPUTE_PGM_RSRC2:USER_SGPR: 2
; COMPUTE_PGM_RSRC2:TRAP_HANDLER: 0
; COMPUTE_PGM_RSRC2:TGID_X_EN: 1
; COMPUTE_PGM_RSRC2:TGID_Y_EN: 0
; COMPUTE_PGM_RSRC2:TGID_Z_EN: 1
; COMPUTE_PGM_RSRC2:TIDIG_COMP_CNT: 0
; COMPUTE_PGM_RSRC3_GFX90A:ACCUM_OFFSET: 3
; COMPUTE_PGM_RSRC3_GFX90A:TG_SPLIT: 0
	.section	.text._ZL26rocblas_hemvn_kernel_upperILb1ELi64ELi4ELi33ELi32ELi16ElPK19rocblas_complex_numIfEPKS3_PS1_EviT6_lT7_lT5_lS8_lS9_lS7_lT8_i,"axG",@progbits,_ZL26rocblas_hemvn_kernel_upperILb1ELi64ELi4ELi33ELi32ELi16ElPK19rocblas_complex_numIfEPKS3_PS1_EviT6_lT7_lT5_lS8_lS9_lS7_lT8_i,comdat
	.globl	_ZL26rocblas_hemvn_kernel_upperILb1ELi64ELi4ELi33ELi32ELi16ElPK19rocblas_complex_numIfEPKS3_PS1_EviT6_lT7_lT5_lS8_lS9_lS7_lT8_i ; -- Begin function _ZL26rocblas_hemvn_kernel_upperILb1ELi64ELi4ELi33ELi32ELi16ElPK19rocblas_complex_numIfEPKS3_PS1_EviT6_lT7_lT5_lS8_lS9_lS7_lT8_i
	.p2align	8
	.type	_ZL26rocblas_hemvn_kernel_upperILb1ELi64ELi4ELi33ELi32ELi16ElPK19rocblas_complex_numIfEPKS3_PS1_EviT6_lT7_lT5_lS8_lS9_lS7_lT8_i,@function
_ZL26rocblas_hemvn_kernel_upperILb1ELi64ELi4ELi33ELi32ELi16ElPK19rocblas_complex_numIfEPKS3_PS1_EviT6_lT7_lT5_lS8_lS9_lS7_lT8_i: ; @_ZL26rocblas_hemvn_kernel_upperILb1ELi64ELi4ELi33ELi32ELi16ElPK19rocblas_complex_numIfEPKS3_PS1_EviT6_lT7_lT5_lS8_lS9_lS7_lT8_i
; %bb.0:
	s_load_dwordx2 s[4:5], s[0:1], 0x84
	s_add_u32 s12, s0, 0x78
	s_mov_b32 s26, s3
	s_addc_u32 s13, s1, 0
	s_waitcnt lgkmcnt(0)
	s_and_b32 s3, s5, 0xffff
	s_lshr_b32 s5, s4, 16
	s_and_b32 s4, s4, 0xffff
	s_mul_i32 s4, s5, s4
	s_mul_i32 s4, s4, s3
	s_cmpk_lg_i32 s4, 0x100
	s_cbranch_scc1 .LBB32_195
; %bb.1:
	s_load_dwordx8 s[4:11], s[0:1], 0x8
	s_mov_b32 s27, 0
	s_waitcnt lgkmcnt(0)
	s_mul_i32 s3, s7, s26
	s_mul_hi_u32 s7, s6, s26
	s_add_i32 s7, s7, s3
	s_mul_i32 s6, s6, s26
	s_lshl_b64 s[6:7], s[6:7], 3
	s_add_u32 s14, s4, s6
	s_addc_u32 s15, s5, s7
	s_load_dwordx2 s[16:17], s[14:15], 0x0
	s_load_dwordx2 s[28:29], s[0:1], 0x68
	s_load_dwordx4 s[4:7], s[0:1], 0x58
	s_mov_b64 s[14:15], -1
	s_waitcnt lgkmcnt(0)
	s_or_b32 s3, s16, s17
	s_bitset0_b32 s3, 31
	s_cmp_lg_u32 s3, 0
	s_cbranch_scc1 .LBB32_3
; %bb.2:
	s_mul_i32 s3, s7, s26
	s_mul_hi_u32 s7, s6, s26
	s_add_i32 s7, s7, s3
	s_mul_i32 s6, s6, s26
	s_lshl_b64 s[6:7], s[6:7], 3
	s_add_u32 s4, s4, s6
	s_addc_u32 s5, s5, s7
	s_load_dwordx2 s[6:7], s[4:5], 0x0
	s_mov_b64 s[14:15], 0
	s_waitcnt lgkmcnt(0)
	v_cmp_eq_f32_e64 s[4:5], s6, 1.0
	v_cmp_eq_f32_e64 s[6:7], s7, 0
	s_and_b64 s[4:5], s[4:5], s[6:7]
	s_andn2_b64 vcc, exec, s[4:5]
.LBB32_3:
	s_andn2_b64 vcc, exec, s[14:15]
	s_cbranch_vccnz .LBB32_195
; %bb.4:
	s_load_dword s3, s[12:13], 0x0
	s_load_dwordx4 s[4:7], s[0:1], 0x38
	s_load_dwordx2 s[16:17], s[0:1], 0x48
	s_lshl_b64 s[12:13], s[26:27], 3
	s_add_u32 s8, s8, s12
	s_addc_u32 s9, s9, s13
	s_waitcnt lgkmcnt(0)
	s_add_u32 s12, s4, s12
	s_addc_u32 s13, s5, s13
	s_load_dwordx2 s[14:15], s[12:13], 0x0
	s_load_dwordx2 s[22:23], s[0:1], 0x28
	s_load_dword s33, s[0:1], 0x0
	s_load_dwordx2 s[4:5], s[8:9], 0x0
	s_lshl_b64 s[0:1], s[6:7], 3
	s_waitcnt lgkmcnt(0)
	s_add_u32 s0, s14, s0
	s_addc_u32 s1, s15, s1
	s_ashr_i32 s36, s33, 31
	s_lshr_b32 s7, s36, 26
	v_and_b32_e32 v122, 0x3ff, v0
	s_lshl_b32 s24, s2, 6
	s_add_i32 s7, s33, s7
	s_andn2_b32 s7, s7, 63
	v_add_u32_e32 v48, s24, v122
	s_add_i32 s6, s3, -1
	s_sub_i32 s27, s33, s7
	v_ashrrev_i32_e32 v49, 31, v48
	v_bfe_u32 v123, v0, 10, 10
	s_cmp_eq_u32 s2, s6
	v_mul_lo_u32 v2, s16, v49
	v_mul_lo_u32 v3, s17, v48
	v_mad_u64_u32 v[0:1], s[6:7], s16, v48, 0
	v_add3_u32 v1, v1, v2, v3
	s_cselect_b32 s18, s27, 0
	v_lshl_add_u64 v[12:13], v[0:1], 3, s[0:1]
	v_cmp_eq_u32_e64 s[0:1], 0, v123
	s_and_saveexec_b64 s[6:7], s[0:1]
	s_cbranch_execz .LBB32_9
; %bb.5:
	s_cmp_lg_u32 s18, 0
	s_cselect_b64 s[8:9], -1, 0
	v_cmp_le_i32_e32 vcc, s18, v122
	v_mov_b32_e32 v0, 0x2380
	s_and_b64 s[8:9], s[8:9], vcc
	v_lshl_add_u32 v0, v122, 3, v0
	s_and_saveexec_b64 s[12:13], s[8:9]
	s_xor_b64 s[8:9], exec, s[12:13]
; %bb.6:
	v_mov_b32_e32 v2, 0
	v_mov_b32_e32 v3, v2
	ds_write_b64 v0, v[2:3]
                                        ; implicit-def: $vgpr0
; %bb.7:
	s_andn2_saveexec_b64 s[8:9], s[8:9]
	s_cbranch_execz .LBB32_9
; %bb.8:
	flat_load_dwordx2 v[2:3], v[12:13]
	s_waitcnt vmcnt(0) lgkmcnt(0)
	ds_write_b64 v0, v[2:3]
.LBB32_9:
	s_or_b64 exec, exec, s[6:7]
	s_lshl_b64 s[6:7], s[10:11], 3
	s_add_u32 s6, s4, s6
	s_addc_u32 s7, s5, s7
	s_ashr_i32 s25, s24, 31
	v_lshl_add_u32 v22, v123, 6, v122
	s_lshl_b64 s[4:5], s[24:25], 3
	v_and_b32_e32 v2, 31, v122
	v_lshrrev_b32_e32 v10, 5, v22
	s_add_u32 s4, s6, s4
	v_mov_b32_e32 v3, 0
	s_addc_u32 s5, s7, s5
	v_mad_u64_u32 v[14:15], s[6:7], s22, v10, v[2:3]
	v_mov_b32_e32 v0, v15
	v_mad_u64_u32 v[0:1], s[6:7], s23, v10, v[0:1]
	v_mov_b32_e32 v15, v0
	v_lshl_add_u64 v[0:1], v[14:15], 3, s[4:5]
	s_mul_hi_u32 s4, s22, s24
	s_mul_i32 s5, s22, s25
	s_add_i32 s4, s4, s5
	s_mul_i32 s5, s23, s24
	s_add_i32 s5, s4, s5
	s_cmp_eq_u32 s18, 0
	s_cselect_b64 s[20:21], -1, 0
	s_cmp_lg_u32 s18, 0
	s_mul_i32 s4, s22, s24
	s_cselect_b64 s[30:31], -1, 0
	v_lshl_add_u64 v[6:7], s[4:5], 3, v[0:1]
	s_and_b64 vcc, exec, s[30:31]
	v_cmp_gt_i32_e64 s[4:5], s18, v2
	v_lshlrev_b32_e32 v0, 3, v2
	s_cbranch_vccz .LBB32_25
; %bb.10:
	v_sub_co_u32_e32 v4, vcc, v6, v0
	s_ashr_i32 s19, s18, 31
	s_nop 0
	v_subbrev_co_u32_e32 v5, vcc, 0, v7, vcc
	v_lshl_add_u64 v[4:5], s[18:19], 3, v[4:5]
	v_lshl_add_u64 v[4:5], v[4:5], 0, -8
	v_cndmask_b32_e64 v5, v5, v7, s[4:5]
	v_cndmask_b32_e64 v4, v4, v6, s[4:5]
	v_cmp_gt_i32_e32 vcc, s18, v10
	v_mov_b32_e32 v9, 0
	s_and_saveexec_b64 s[6:7], vcc
	s_cbranch_execz .LBB32_12
; %bb.11:
	flat_load_dwordx2 v[8:9], v[4:5]
	s_waitcnt vmcnt(0) lgkmcnt(0)
	v_mov_b32_e32 v3, v8
.LBB32_12:
	s_or_b64 exec, exec, s[6:7]
	v_lshlrev_b32_e32 v1, 3, v2
	s_movk_i32 s6, 0x108
	v_mov_b32_e32 v8, v3
	v_mad_u32_u24 v3, v10, s6, v1
	v_mul_u32_u24_e32 v11, 0x108, v10
	ds_write_b64 v3, v[8:9]
	v_add_u32_e32 v3, 8, v10
	v_cmp_le_i32_e32 vcc, s18, v3
	v_add_u32_e32 v1, v11, v1
	s_and_saveexec_b64 s[6:7], vcc
	s_xor_b64 s[6:7], exec, s[6:7]
; %bb.13:
	v_mov_b32_e32 v8, 0
	v_mov_b32_e32 v9, v8
	ds_write_b64 v1, v[8:9] offset:2112
; %bb.14:
	s_andn2_saveexec_b64 s[6:7], s[6:7]
	s_cbranch_execz .LBB32_16
; %bb.15:
	s_lshl_b64 s[8:9], s[22:23], 6
	v_lshl_add_u64 v[8:9], v[4:5], 0, s[8:9]
	flat_load_dwordx2 v[8:9], v[8:9]
	s_waitcnt vmcnt(0) lgkmcnt(0)
	ds_write_b64 v1, v[8:9] offset:2112
.LBB32_16:
	s_or_b64 exec, exec, s[6:7]
	v_add_u32_e32 v3, 16, v10
	v_cmp_le_i32_e32 vcc, s18, v3
	s_and_saveexec_b64 s[6:7], vcc
	s_xor_b64 s[6:7], exec, s[6:7]
; %bb.17:
	v_mov_b32_e32 v8, 0
	v_mov_b32_e32 v9, v8
	ds_write_b64 v1, v[8:9] offset:4224
; %bb.18:
	s_andn2_saveexec_b64 s[6:7], s[6:7]
	s_cbranch_execz .LBB32_20
; %bb.19:
	s_lshl_b64 s[8:9], s[22:23], 7
	v_lshl_add_u64 v[8:9], v[4:5], 0, s[8:9]
	flat_load_dwordx2 v[8:9], v[8:9]
	s_waitcnt vmcnt(0) lgkmcnt(0)
	ds_write_b64 v1, v[8:9] offset:4224
.LBB32_20:
	s_or_b64 exec, exec, s[6:7]
	v_add_u32_e32 v3, 24, v10
	v_cmp_le_i32_e32 vcc, s18, v3
	s_and_saveexec_b64 s[6:7], vcc
	s_xor_b64 s[6:7], exec, s[6:7]
; %bb.21:
	v_mov_b32_e32 v8, 0
	v_mov_b32_e32 v9, v8
	ds_write_b64 v1, v[8:9] offset:6336
                                        ; implicit-def: $vgpr1
; %bb.22:
	s_andn2_saveexec_b64 s[6:7], s[6:7]
	s_cbranch_execz .LBB32_24
; %bb.23:
	v_mov_b32_e32 v3, 0xc0
	v_mad_u64_u32 v[8:9], s[8:9], s22, v3, v[4:5]
	s_mul_i32 s8, s23, 0xc0
	s_nop 0
	v_add_u32_e32 v9, s8, v9
	flat_load_dwordx2 v[8:9], v[8:9]
	s_waitcnt vmcnt(0) lgkmcnt(0)
	ds_write_b64 v1, v[8:9] offset:6336
.LBB32_24:
	s_or_b64 exec, exec, s[6:7]
	v_mov_b32_e32 v1, 0
	v_lshl_add_u64 v[4:5], v[4:5], 0, v[0:1]
	s_lshl_b64 s[6:7], s[18:19], 3
	v_mov_b32_e32 v1, s7
	v_subrev_co_u32_e32 v4, vcc, s6, v4
	s_nop 1
	v_subb_co_u32_e32 v5, vcc, v5, v1, vcc
	v_lshl_add_u64 v[4:5], v[4:5], 0, 8
	v_cndmask_b32_e64 v5, v5, v7, s[4:5]
	v_cndmask_b32_e64 v4, v4, v6, s[4:5]
	s_branch .LBB32_27
.LBB32_25:
                                        ; implicit-def: $vgpr4_vgpr5
	s_cbranch_execz .LBB32_27
; %bb.26:
	s_lshl_b64 s[4:5], s[22:23], 6
	v_lshl_add_u64 v[4:5], v[6:7], 0, s[4:5]
	v_lshl_add_u64 v[8:9], v[4:5], 0, s[4:5]
	v_lshl_add_u64 v[16:17], v[8:9], 0, s[4:5]
	flat_load_dwordx2 v[18:19], v[6:7]
	flat_load_dwordx2 v[20:21], v[4:5]
	;; [unrolled: 1-line block ×4, first 2 shown]
	v_mul_u32_u24_e32 v1, 0x108, v10
	v_lshl_add_u32 v1, v2, 3, v1
	v_mov_b64_e32 v[4:5], v[6:7]
	s_waitcnt vmcnt(0) lgkmcnt(0)
	ds_write_b64 v1, v[18:19]
	ds_write_b64 v1, v[20:21] offset:2112
	ds_write_b64 v1, v[24:25] offset:4224
	;; [unrolled: 1-line block ×3, first 2 shown]
.LBB32_27:
	v_lshlrev_b32_e32 v16, 2, v10
	v_lshlrev_b32_e32 v11, 3, v2
	v_mul_u32_u24_e32 v3, 0x108, v2
	v_cmp_le_u32_e64 s[4:5], v16, v2
	s_mov_b64 s[6:7], 0
	s_waitcnt lgkmcnt(0)
	s_barrier
                                        ; implicit-def: $vgpr6
	s_and_saveexec_b64 s[8:9], s[4:5]
	s_xor_b64 s[8:9], exec, s[8:9]
	s_cbranch_execz .LBB32_31
; %bb.28:
	v_cmp_eq_u32_e32 vcc, v16, v2
                                        ; implicit-def: $vgpr6
	s_and_saveexec_b64 s[10:11], vcc
	s_xor_b64 s[10:11], exec, s[10:11]
; %bb.29:
	s_mov_b64 s[6:7], exec
	v_add_u32_e32 v6, v11, v3
; %bb.30:
	s_or_b64 exec, exec, s[10:11]
	s_and_b64 s[6:7], s[6:7], exec
.LBB32_31:
	s_or_saveexec_b64 s[8:9], s[8:9]
	v_lshl_or_b32 v1, v2, 8, v11
	v_mov_b32_e32 v7, 0
	v_lshl_add_u32 v1, v16, 3, v1
	s_xor_b64 exec, exec, s[8:9]
	s_cbranch_execz .LBB32_33
; %bb.32:
	s_movk_i32 s10, 0x420
	v_mad_u32_u24 v6, v10, s10, v11
	ds_read_b64 v[6:7], v6
	s_or_b64 s[6:7], s[6:7], exec
	s_waitcnt lgkmcnt(0)
	v_xor_b32_e32 v7, 0x80000000, v7
	ds_write_b32 v1, v6
	v_mov_b32_e32 v6, v1
.LBB32_33:
	s_or_b64 exec, exec, s[8:9]
	s_and_saveexec_b64 s[8:9], s[6:7]
; %bb.34:
	ds_write_b32 v6, v7 offset:4
; %bb.35:
	s_or_b64 exec, exec, s[8:9]
	v_or_b32_e32 v17, 1, v16
	v_cmp_ge_u32_e64 s[6:7], v16, v2
	s_mov_b64 s[8:9], 0
                                        ; implicit-def: $vgpr7
                                        ; implicit-def: $vgpr6
	s_and_saveexec_b64 s[10:11], s[6:7]
	s_xor_b64 s[10:11], exec, s[10:11]
	s_cbranch_execz .LBB32_69
; %bb.36:
	s_movk_i32 s12, 0x108
	v_mad_u32_u24 v6, v17, s12, v11
	ds_read_b64 v[8:9], v6
	s_mov_b64 s[8:9], exec
	v_add_u32_e32 v6, 8, v1
	s_waitcnt lgkmcnt(0)
	v_xor_b32_e32 v7, 0x80000000, v9
	ds_write_b32 v1, v8 offset:8
	s_andn2_saveexec_b64 s[10:11], s[10:11]
	s_cbranch_execnz .LBB32_70
.LBB32_37:
	s_or_b64 exec, exec, s[10:11]
	s_and_saveexec_b64 s[10:11], s[8:9]
.LBB32_38:
	ds_write_b32 v6, v7 offset:4
.LBB32_39:
	s_or_b64 exec, exec, s[10:11]
	v_or_b32_e32 v18, 2, v16
	v_cmp_le_u32_e64 s[8:9], v18, v2
	s_mov_b64 s[10:11], 0
                                        ; implicit-def: $vgpr6
	s_and_saveexec_b64 s[12:13], s[8:9]
	s_xor_b64 s[12:13], exec, s[12:13]
	s_cbranch_execz .LBB32_73
; %bb.40:
	v_cmp_eq_u32_e32 vcc, v18, v2
                                        ; implicit-def: $vgpr6
	s_and_saveexec_b64 s[14:15], vcc
; %bb.41:
	s_mov_b64 s[10:11], exec
	v_add_u32_e32 v6, v11, v3
; %bb.42:
	s_or_b64 exec, exec, s[14:15]
	s_and_b64 s[10:11], s[10:11], exec
	s_or_saveexec_b64 s[12:13], s[12:13]
	v_mov_b32_e32 v7, 0
	s_xor_b64 exec, exec, s[12:13]
	s_cbranch_execnz .LBB32_74
.LBB32_43:
	s_or_b64 exec, exec, s[12:13]
	s_and_saveexec_b64 s[12:13], s[10:11]
.LBB32_44:
	ds_write_b32 v6, v7 offset:4
.LBB32_45:
	s_or_b64 exec, exec, s[12:13]
	v_or_b32_e32 v19, 3, v16
	v_cmp_le_u32_e64 s[10:11], v19, v2
	s_mov_b64 s[12:13], 0
                                        ; implicit-def: $vgpr6
	s_and_saveexec_b64 s[14:15], s[10:11]
	s_xor_b64 s[14:15], exec, s[14:15]
	s_cbranch_execz .LBB32_75
; %bb.46:
	v_cmp_eq_u32_e32 vcc, v19, v2
                                        ; implicit-def: $vgpr6
	s_and_saveexec_b64 s[34:35], vcc
; %bb.47:
	s_mov_b64 s[12:13], exec
	v_add_u32_e32 v6, v11, v3
; %bb.48:
	s_or_b64 exec, exec, s[34:35]
	s_and_b64 s[12:13], s[12:13], exec
                                        ; implicit-def: $vgpr1
	s_or_saveexec_b64 s[14:15], s[14:15]
	v_mov_b32_e32 v7, 0
	s_xor_b64 exec, exec, s[14:15]
	s_cbranch_execnz .LBB32_76
.LBB32_49:
	s_or_b64 exec, exec, s[14:15]
	s_and_saveexec_b64 s[14:15], s[12:13]
.LBB32_50:
	ds_write_b32 v6, v7 offset:4
.LBB32_51:
	s_or_b64 exec, exec, s[14:15]
	s_movk_i32 s12, 0x420
	v_mad_u32_u24 v1, v10, s12, v11
	s_movk_i32 s12, 0x108
	v_mad_u32_u24 v21, v17, s12, v11
	s_waitcnt lgkmcnt(0)
	s_barrier
	v_lshlrev_b32_e32 v20, 3, v16
	ds_read2_b64 v[6:9], v21 offset1:33
	ds_read_b64 v[34:35], v1
	ds_read_b128 v[26:29], v20 offset:9088
	ds_read_b64 v[36:37], v21 offset:528
	ds_read_b128 v[30:33], v20 offset:9104
	v_mul_u32_u24_e32 v23, 33, v2
	v_lshlrev_b32_e32 v23, 3, v23
	v_mov_b32_e32 v50, 0
	s_waitcnt lgkmcnt(2)
	v_pk_mul_f32 v[38:39], v[26:27], v[34:35] op_sel:[1,1] op_sel_hi:[0,1]
	v_pk_fma_f32 v[40:41], v[26:27], v[34:35], v[38:39] neg_lo:[0,0,1] neg_hi:[0,0,1]
	v_pk_fma_f32 v[26:27], v[26:27], v[34:35], v[38:39] op_sel_hi:[1,0,1]
	v_pk_mul_f32 v[34:35], v[28:29], v[6:7] op_sel:[1,1] op_sel_hi:[0,1]
	v_mov_b32_e32 v41, v27
	v_pk_fma_f32 v[38:39], v[28:29], v[6:7], v[34:35] neg_lo:[0,0,1] neg_hi:[0,0,1]
	v_pk_fma_f32 v[6:7], v[28:29], v[6:7], v[34:35] op_sel_hi:[1,0,1]
	v_pk_add_f32 v[26:27], v[40:41], 0 op_sel_hi:[1,0]
	v_mov_b32_e32 v39, v7
	v_pk_add_f32 v[6:7], v[26:27], v[38:39]
	s_waitcnt lgkmcnt(0)
	v_pk_mul_f32 v[26:27], v[30:31], v[8:9] op_sel:[1,1] op_sel_hi:[0,1]
	v_pk_fma_f32 v[28:29], v[30:31], v[8:9], v[26:27] neg_lo:[0,0,1] neg_hi:[0,0,1]
	v_pk_fma_f32 v[8:9], v[30:31], v[8:9], v[26:27] op_sel_hi:[1,0,1]
	v_lshl_add_u32 v24, v10, 3, v23
	v_mov_b32_e32 v29, v9
	v_pk_mul_f32 v[8:9], v[32:33], v[36:37] op_sel:[1,1] op_sel_hi:[0,1]
	v_pk_fma_f32 v[26:27], v[32:33], v[36:37], v[8:9] neg_lo:[0,0,1] neg_hi:[0,0,1]
	v_pk_fma_f32 v[8:9], v[32:33], v[36:37], v[8:9] op_sel_hi:[1,0,1]
	v_pk_add_f32 v[6:7], v[6:7], v[28:29]
	v_mov_b32_e32 v27, v9
	v_mov_b32_e32 v51, v50
	v_pk_add_f32 v[6:7], v[6:7], v[26:27]
	v_cmp_gt_u32_e64 s[12:13], 32, v22
	s_barrier
	ds_write_b64 v24, v[6:7]
	s_waitcnt lgkmcnt(0)
	s_barrier
	s_and_saveexec_b64 s[14:15], s[12:13]
	s_cbranch_execz .LBB32_53
; %bb.52:
	ds_read2_b64 v[6:9], v23 offset1:7
	ds_read2_b64 v[26:29], v23 offset0:1 offset1:2
	ds_read2_b64 v[30:33], v23 offset0:3 offset1:4
	s_waitcnt lgkmcnt(1)
	v_add_f32_e32 v1, v26, v6
	v_add_f32_e32 v6, v27, v7
	;; [unrolled: 1-line block ×4, first 2 shown]
	ds_read2_b64 v[26:29], v23 offset0:5 offset1:6
	s_waitcnt lgkmcnt(1)
	v_add_f32_e32 v1, v1, v30
	v_add_f32_e32 v6, v6, v31
	;; [unrolled: 1-line block ×4, first 2 shown]
	s_waitcnt lgkmcnt(0)
	v_add_f32_e32 v1, v1, v26
	v_add_f32_e32 v7, v6, v27
	;; [unrolled: 1-line block ×4, first 2 shown]
	v_pk_add_f32 v[50:51], v[6:7], v[8:9]
.LBB32_53:
	s_or_b64 exec, exec, s[14:15]
	s_lshl_b64 s[14:15], s[22:23], 8
	v_lshl_add_u64 v[8:9], v[4:5], 0, s[14:15]
	s_mov_b64 s[14:15], 0x100
	v_lshl_add_u64 v[6:7], v[8:9], 0, s[14:15]
	s_and_b64 vcc, exec, s[30:31]
	s_barrier
	s_cbranch_vccz .LBB32_77
; %bb.54:
	v_sub_co_u32_e32 v4, vcc, v8, v0
	s_ashr_i32 s19, s18, 31
	s_nop 0
	v_subbrev_co_u32_e32 v5, vcc, 0, v9, vcc
	v_or_b32_e32 v1, 32, v2
	v_lshl_add_u64 v[4:5], s[18:19], 3, v[4:5]
	v_mov_b32_e32 v26, 0
	v_lshl_add_u64 v[4:5], v[4:5], 0, -8
	v_cmp_gt_i32_e32 vcc, s18, v1
	s_sub_i32 s37, s18, 32
	v_cmp_gt_i32_e64 s[14:15], s37, v10
	v_cndmask_b32_e32 v5, v5, v7, vcc
	v_cndmask_b32_e32 v4, v4, v6, vcc
	v_mov_b32_e32 v27, v26
	s_and_saveexec_b64 s[34:35], s[14:15]
	s_cbranch_execz .LBB32_56
; %bb.55:
	flat_load_dwordx2 v[26:27], v[4:5]
.LBB32_56:
	s_or_b64 exec, exec, s[34:35]
	s_movk_i32 s14, 0x108
	v_mad_u32_u24 v21, v10, s14, v11
	v_mul_u32_u24_e32 v1, 0x108, v10
	s_waitcnt vmcnt(0) lgkmcnt(0)
	ds_write_b64 v21, v[26:27]
	v_add_u32_e32 v21, 8, v10
	v_cmp_le_i32_e64 s[14:15], s37, v21
	v_add_u32_e32 v1, v1, v11
	s_and_saveexec_b64 s[34:35], s[14:15]
	s_xor_b64 s[14:15], exec, s[34:35]
; %bb.57:
	v_mov_b32_e32 v26, 0
	v_mov_b32_e32 v27, v26
	ds_write_b64 v1, v[26:27] offset:2112
; %bb.58:
	s_andn2_saveexec_b64 s[14:15], s[14:15]
	s_cbranch_execz .LBB32_60
; %bb.59:
	s_lshl_b64 s[34:35], s[22:23], 6
	v_lshl_add_u64 v[26:27], v[4:5], 0, s[34:35]
	flat_load_dwordx2 v[26:27], v[26:27]
	s_waitcnt vmcnt(0) lgkmcnt(0)
	ds_write_b64 v1, v[26:27] offset:2112
.LBB32_60:
	s_or_b64 exec, exec, s[14:15]
	v_add_u32_e32 v21, 16, v10
	v_cmp_le_i32_e64 s[14:15], s37, v21
	s_and_saveexec_b64 s[34:35], s[14:15]
	s_xor_b64 s[14:15], exec, s[34:35]
; %bb.61:
	v_mov_b32_e32 v26, 0
	v_mov_b32_e32 v27, v26
	ds_write_b64 v1, v[26:27] offset:4224
; %bb.62:
	s_andn2_saveexec_b64 s[14:15], s[14:15]
	s_cbranch_execz .LBB32_64
; %bb.63:
	s_lshl_b64 s[34:35], s[22:23], 7
	v_lshl_add_u64 v[26:27], v[4:5], 0, s[34:35]
	flat_load_dwordx2 v[26:27], v[26:27]
	s_waitcnt vmcnt(0) lgkmcnt(0)
	ds_write_b64 v1, v[26:27] offset:4224
.LBB32_64:
	s_or_b64 exec, exec, s[14:15]
	v_add_u32_e32 v21, 24, v10
	v_cmp_le_i32_e64 s[14:15], s37, v21
	s_and_saveexec_b64 s[34:35], s[14:15]
	s_xor_b64 s[14:15], exec, s[34:35]
; %bb.65:
	v_mov_b32_e32 v26, 0
	v_mov_b32_e32 v27, v26
	ds_write_b64 v1, v[26:27] offset:6336
                                        ; implicit-def: $vgpr1
; %bb.66:
	s_andn2_saveexec_b64 s[14:15], s[14:15]
	s_cbranch_execz .LBB32_68
; %bb.67:
	v_mov_b32_e32 v21, 0xc0
	v_mad_u64_u32 v[26:27], s[34:35], s22, v21, v[4:5]
	s_mul_i32 s34, s23, 0xc0
	s_nop 0
	v_add_u32_e32 v27, s34, v27
	flat_load_dwordx2 v[26:27], v[26:27]
	s_waitcnt vmcnt(0) lgkmcnt(0)
	ds_write_b64 v1, v[26:27] offset:6336
.LBB32_68:
	s_or_b64 exec, exec, s[14:15]
	v_mov_b32_e32 v1, 0
	v_lshl_add_u64 v[4:5], v[4:5], 0, v[0:1]
	s_lshl_b64 s[14:15], s[18:19], 3
	v_mov_b32_e32 v1, s15
	v_subrev_co_u32_e64 v4, s[14:15], s14, v4
	s_nop 1
	v_subb_co_u32_e64 v5, s[14:15], v5, v1, s[14:15]
	s_mov_b64 s[14:15], 0x108
	s_nop 0
	v_lshl_add_u64 v[4:5], v[4:5], 0, s[14:15]
	v_cndmask_b32_e32 v5, v5, v7, vcc
	v_cndmask_b32_e32 v4, v4, v6, vcc
	s_branch .LBB32_79
.LBB32_69:
	s_andn2_saveexec_b64 s[10:11], s[10:11]
	s_cbranch_execz .LBB32_37
.LBB32_70:
	v_cmp_eq_u32_e32 vcc, v17, v2
	s_mov_b64 s[12:13], s[8:9]
                                        ; implicit-def: $vgpr6
	s_and_saveexec_b64 s[14:15], vcc
; %bb.71:
	v_add_u32_e32 v6, v11, v3
	s_or_b64 s[12:13], s[8:9], exec
; %bb.72:
	s_or_b64 exec, exec, s[14:15]
	s_andn2_b64 s[8:9], s[8:9], exec
	s_and_b64 s[12:13], s[12:13], exec
	v_mov_b32_e32 v7, 0
	s_or_b64 s[8:9], s[8:9], s[12:13]
	s_or_b64 exec, exec, s[10:11]
	s_and_saveexec_b64 s[10:11], s[8:9]
	s_cbranch_execnz .LBB32_38
	s_branch .LBB32_39
.LBB32_73:
	s_or_saveexec_b64 s[12:13], s[12:13]
	v_mov_b32_e32 v7, 0
	s_xor_b64 exec, exec, s[12:13]
	s_cbranch_execz .LBB32_43
.LBB32_74:
	s_movk_i32 s14, 0x108
	v_mad_u32_u24 v6, v18, s14, v11
	ds_read_b64 v[8:9], v6
	v_add_u32_e32 v6, 16, v1
	s_or_b64 s[10:11], s[10:11], exec
	s_waitcnt lgkmcnt(0)
	v_xor_b32_e32 v7, 0x80000000, v9
	ds_write_b32 v1, v8 offset:16
	s_or_b64 exec, exec, s[12:13]
	s_and_saveexec_b64 s[12:13], s[10:11]
	s_cbranch_execnz .LBB32_44
	s_branch .LBB32_45
.LBB32_75:
	s_or_saveexec_b64 s[14:15], s[14:15]
	v_mov_b32_e32 v7, 0
	s_xor_b64 exec, exec, s[14:15]
	s_cbranch_execz .LBB32_49
.LBB32_76:
	s_movk_i32 s19, 0x108
	v_mad_u32_u24 v6, v19, s19, v11
	ds_read_b64 v[8:9], v6
	v_add_u32_e32 v6, 24, v1
	s_or_b64 s[12:13], s[12:13], exec
	s_waitcnt lgkmcnt(0)
	v_xor_b32_e32 v7, 0x80000000, v9
	ds_write_b32 v1, v8 offset:24
	s_or_b64 exec, exec, s[14:15]
	s_and_saveexec_b64 s[14:15], s[12:13]
	s_cbranch_execnz .LBB32_50
	s_branch .LBB32_51
.LBB32_77:
                                        ; implicit-def: $vgpr4_vgpr5
	s_cbranch_execz .LBB32_79
; %bb.78:
	s_lshl_b64 s[14:15], s[22:23], 6
	v_lshl_add_u64 v[4:5], v[8:9], 0, s[14:15]
	v_lshl_add_u64 v[26:27], v[4:5], 0, s[14:15]
	;; [unrolled: 1-line block ×3, first 2 shown]
	flat_load_dwordx2 v[30:31], v[8:9] offset:256
	flat_load_dwordx2 v[32:33], v[4:5] offset:256
	;; [unrolled: 1-line block ×4, first 2 shown]
	s_movk_i32 s14, 0x108
	v_mad_u32_u24 v1, v10, s14, v11
	v_mov_b64_e32 v[4:5], v[6:7]
	s_waitcnt vmcnt(0) lgkmcnt(0)
	ds_write_b64 v1, v[30:31]
	ds_write_b64 v1, v[32:33] offset:2112
	ds_write_b64 v1, v[34:35] offset:4224
	;; [unrolled: 1-line block ×3, first 2 shown]
.LBB32_79:
	v_mul_u32_u24_e32 v1, 0x420, v10
	s_mov_b64 s[14:15], 0
	s_waitcnt lgkmcnt(0)
	s_barrier
                                        ; implicit-def: $vgpr7
	s_and_saveexec_b64 s[34:35], s[4:5]
	s_xor_b64 s[4:5], exec, s[34:35]
	s_cbranch_execz .LBB32_83
; %bb.80:
	v_cmp_eq_u32_e32 vcc, v16, v2
                                        ; implicit-def: $vgpr7
	s_and_saveexec_b64 s[34:35], vcc
	s_xor_b64 s[34:35], exec, s[34:35]
; %bb.81:
	s_mov_b64 s[14:15], exec
	v_add_u32_e32 v7, v11, v3
; %bb.82:
	s_or_b64 exec, exec, s[34:35]
	s_and_b64 s[14:15], s[14:15], exec
.LBB32_83:
	s_or_saveexec_b64 s[4:5], s[4:5]
	v_mov_b32_e32 v8, 0
	v_add_u32_e32 v6, v11, v1
	v_lshl_add_u32 v1, v16, 3, v23
	s_xor_b64 exec, exec, s[4:5]
	s_cbranch_execz .LBB32_85
; %bb.84:
	ds_read_b64 v[26:27], v6
	s_or_b64 s[14:15], s[14:15], exec
	v_mov_b32_e32 v7, v1
	s_waitcnt lgkmcnt(0)
	v_xor_b32_e32 v8, 0x80000000, v27
	ds_write_b32 v1, v26
.LBB32_85:
	s_or_b64 exec, exec, s[4:5]
	v_mul_u32_u24_e32 v9, 0x108, v17
	s_and_saveexec_b64 s[4:5], s[14:15]
; %bb.86:
	ds_write_b32 v7, v8 offset:4
; %bb.87:
	s_or_b64 exec, exec, s[4:5]
	s_mov_b64 s[4:5], 0
	v_add_u32_e32 v7, v11, v9
                                        ; implicit-def: $vgpr9
                                        ; implicit-def: $vgpr8
	s_and_saveexec_b64 s[14:15], s[6:7]
	s_xor_b64 s[6:7], exec, s[14:15]
	s_cbranch_execz .LBB32_121
; %bb.88:
	ds_read_b64 v[16:17], v7
	s_mov_b64 s[4:5], exec
	v_add_u32_e32 v8, 8, v1
	s_waitcnt lgkmcnt(0)
	v_xor_b32_e32 v9, 0x80000000, v17
	ds_write_b32 v1, v16 offset:8
                                        ; implicit-def: $vgpr17
	s_andn2_saveexec_b64 s[6:7], s[6:7]
	s_cbranch_execnz .LBB32_122
.LBB32_89:
	s_or_b64 exec, exec, s[6:7]
	s_and_saveexec_b64 s[6:7], s[4:5]
.LBB32_90:
	ds_write_b32 v8, v9 offset:4
.LBB32_91:
	s_or_b64 exec, exec, s[6:7]
	s_mov_b64 s[4:5], 0
                                        ; implicit-def: $vgpr8
	s_and_saveexec_b64 s[6:7], s[8:9]
	s_xor_b64 s[6:7], exec, s[6:7]
	s_cbranch_execz .LBB32_125
; %bb.92:
	v_cmp_eq_u32_e32 vcc, v18, v2
                                        ; implicit-def: $vgpr8
	s_and_saveexec_b64 s[8:9], vcc
; %bb.93:
	s_mov_b64 s[4:5], exec
	v_add_u32_e32 v8, v11, v3
; %bb.94:
	s_or_b64 exec, exec, s[8:9]
	s_and_b64 s[4:5], s[4:5], exec
	s_or_saveexec_b64 s[6:7], s[6:7]
	v_mov_b32_e32 v9, 0
	s_xor_b64 exec, exec, s[6:7]
	s_cbranch_execnz .LBB32_126
.LBB32_95:
	s_or_b64 exec, exec, s[6:7]
	s_and_saveexec_b64 s[6:7], s[4:5]
.LBB32_96:
	ds_write_b32 v8, v9 offset:4
.LBB32_97:
	s_or_b64 exec, exec, s[6:7]
	s_mov_b64 s[4:5], 0
                                        ; implicit-def: $vgpr8
	s_and_saveexec_b64 s[6:7], s[10:11]
	s_xor_b64 s[6:7], exec, s[6:7]
	s_cbranch_execz .LBB32_127
; %bb.98:
	v_cmp_eq_u32_e32 vcc, v19, v2
                                        ; implicit-def: $vgpr8
	s_and_saveexec_b64 s[8:9], vcc
; %bb.99:
	s_mov_b64 s[4:5], exec
	v_add_u32_e32 v8, v11, v3
; %bb.100:
	s_or_b64 exec, exec, s[8:9]
	s_and_b64 s[4:5], s[4:5], exec
                                        ; implicit-def: $vgpr1
	s_or_saveexec_b64 s[6:7], s[6:7]
	v_mov_b32_e32 v3, 0
	s_xor_b64 exec, exec, s[6:7]
	s_cbranch_execnz .LBB32_128
.LBB32_101:
	s_or_b64 exec, exec, s[6:7]
	v_add_u32_e32 v25, 0x2380, v20
	s_and_saveexec_b64 s[6:7], s[4:5]
.LBB32_102:
	ds_write_b32 v8, v3 offset:4
.LBB32_103:
	s_or_b64 exec, exec, s[6:7]
	s_waitcnt lgkmcnt(0)
	s_barrier
	ds_read_b64 v[8:9], v6
	ds_read_b128 v[16:19], v25 offset:256
	ds_read2_b64 v[26:29], v7 offset1:33
	ds_read_b64 v[20:21], v7 offset:528
	ds_read_b128 v[30:33], v25 offset:272
	v_cmp_eq_u32_e64 s[4:5], 1, v10
	s_waitcnt lgkmcnt(3)
	v_pk_mul_f32 v[34:35], v[16:17], v[8:9] op_sel:[1,1] op_sel_hi:[0,1]
	v_pk_fma_f32 v[36:37], v[16:17], v[8:9], v[34:35] neg_lo:[0,0,1] neg_hi:[0,0,1]
	v_pk_fma_f32 v[8:9], v[16:17], v[8:9], v[34:35] op_sel_hi:[1,0,1]
	s_waitcnt lgkmcnt(2)
	v_pk_mul_f32 v[16:17], v[18:19], v[26:27] op_sel:[1,1] op_sel_hi:[0,1]
	v_pk_fma_f32 v[34:35], v[18:19], v[26:27], v[16:17] neg_lo:[0,0,1] neg_hi:[0,0,1]
	v_pk_fma_f32 v[16:17], v[18:19], v[26:27], v[16:17] op_sel_hi:[1,0,1]
	v_mov_b32_e32 v37, v9
	v_mov_b32_e32 v35, v17
	s_waitcnt lgkmcnt(0)
	v_pk_mul_f32 v[16:17], v[30:31], v[28:29] op_sel:[1,1] op_sel_hi:[0,1]
	v_pk_add_f32 v[8:9], v[36:37], 0 op_sel_hi:[1,0]
	v_pk_fma_f32 v[18:19], v[30:31], v[28:29], v[16:17] neg_lo:[0,0,1] neg_hi:[0,0,1]
	v_pk_fma_f32 v[16:17], v[30:31], v[28:29], v[16:17] op_sel_hi:[1,0,1]
	v_pk_add_f32 v[8:9], v[8:9], v[34:35]
	v_mov_b32_e32 v19, v17
	v_pk_mul_f32 v[16:17], v[32:33], v[20:21] op_sel:[1,1] op_sel_hi:[0,1]
	v_pk_add_f32 v[8:9], v[8:9], v[18:19]
	v_pk_fma_f32 v[18:19], v[32:33], v[20:21], v[16:17] neg_lo:[0,0,1] neg_hi:[0,0,1]
	v_pk_fma_f32 v[16:17], v[32:33], v[20:21], v[16:17] op_sel_hi:[1,0,1]
	s_nop 0
	v_mov_b32_e32 v19, v17
	v_pk_add_f32 v[8:9], v[8:9], v[18:19]
	s_barrier
	ds_write_b64 v24, v[8:9]
	s_waitcnt lgkmcnt(0)
	s_barrier
	s_and_saveexec_b64 s[6:7], s[4:5]
	s_cbranch_execz .LBB32_105
; %bb.104:
	ds_read2_b64 v[16:19], v23 offset1:7
	ds_read2_b64 v[26:29], v23 offset0:1 offset1:2
	ds_read2_b64 v[30:33], v23 offset0:3 offset1:4
	s_waitcnt lgkmcnt(1)
	v_add_f32_e32 v1, v26, v16
	v_add_f32_e32 v3, v27, v17
	;; [unrolled: 1-line block ×4, first 2 shown]
	ds_read2_b64 v[26:29], v23 offset0:5 offset1:6
	s_waitcnt lgkmcnt(1)
	v_add_f32_e32 v1, v1, v30
	v_add_f32_e32 v3, v3, v31
	;; [unrolled: 1-line block ×4, first 2 shown]
	s_waitcnt lgkmcnt(0)
	v_add_f32_e32 v8, v1, v26
	v_add_f32_e32 v9, v3, v27
	v_pk_add_f32 v[8:9], v[8:9], v[28:29]
	s_nop 0
	v_pk_add_f32 v[50:51], v[8:9], v[18:19]
.LBB32_105:
	s_or_b64 exec, exec, s[6:7]
	s_movk_i32 s6, 0xff00
	s_mov_b32 s7, -1
	v_lshl_add_u64 v[4:5], v[4:5], 0, s[6:7]
	s_and_b64 vcc, exec, s[30:31]
	s_barrier
	s_cbranch_vccz .LBB32_129
; %bb.106:
	v_sub_co_u32_e32 v16, vcc, v4, v0
	s_ashr_i32 s19, s18, 31
	s_nop 0
	v_subbrev_co_u32_e32 v17, vcc, 0, v5, vcc
	v_lshl_add_u64 v[16:17], s[18:19], 3, v[16:17]
	v_mov_b32_e32 v8, 0
	v_lshl_add_u64 v[16:17], v[16:17], 0, -8
	v_cmp_gt_i32_e32 vcc, s18, v2
	s_sub_i32 s10, s18, 32
	v_cmp_gt_i32_e64 s[6:7], s10, v10
	v_cndmask_b32_e32 v3, v17, v5, vcc
	v_cndmask_b32_e32 v2, v16, v4, vcc
	v_mov_b32_e32 v9, v8
	s_and_saveexec_b64 s[8:9], s[6:7]
	s_cbranch_execz .LBB32_108
; %bb.107:
	flat_load_dwordx2 v[8:9], v[2:3]
.LBB32_108:
	s_or_b64 exec, exec, s[8:9]
	s_movk_i32 s6, 0x108
	v_mad_u32_u24 v16, v10, s6, v11
	v_mul_u32_u24_e32 v1, 0x108, v10
	s_waitcnt vmcnt(0) lgkmcnt(0)
	ds_write_b64 v16, v[8:9]
	v_add_u32_e32 v8, 8, v10
	v_cmp_le_i32_e64 s[6:7], s10, v8
	v_add_u32_e32 v1, v1, v11
	s_and_saveexec_b64 s[8:9], s[6:7]
	s_xor_b64 s[6:7], exec, s[8:9]
; %bb.109:
	v_mov_b32_e32 v16, 0
	v_mov_b32_e32 v17, v16
	ds_write_b64 v1, v[16:17] offset:2112
; %bb.110:
	s_andn2_saveexec_b64 s[6:7], s[6:7]
	s_cbranch_execz .LBB32_112
; %bb.111:
	s_lshl_b64 s[8:9], s[22:23], 6
	v_lshl_add_u64 v[16:17], v[2:3], 0, s[8:9]
	flat_load_dwordx2 v[16:17], v[16:17]
	s_waitcnt vmcnt(0) lgkmcnt(0)
	ds_write_b64 v1, v[16:17] offset:2112
.LBB32_112:
	s_or_b64 exec, exec, s[6:7]
	v_add_u32_e32 v9, 16, v10
	v_cmp_le_i32_e64 s[6:7], s10, v9
	s_and_saveexec_b64 s[8:9], s[6:7]
	s_xor_b64 s[6:7], exec, s[8:9]
; %bb.113:
	v_mov_b32_e32 v16, 0
	v_mov_b32_e32 v17, v16
	ds_write_b64 v1, v[16:17] offset:4224
; %bb.114:
	s_andn2_saveexec_b64 s[6:7], s[6:7]
	s_cbranch_execz .LBB32_116
; %bb.115:
	s_lshl_b64 s[8:9], s[22:23], 7
	v_lshl_add_u64 v[16:17], v[2:3], 0, s[8:9]
	flat_load_dwordx2 v[16:17], v[16:17]
	s_waitcnt vmcnt(0) lgkmcnt(0)
	ds_write_b64 v1, v[16:17] offset:4224
.LBB32_116:
	s_or_b64 exec, exec, s[6:7]
	v_add_u32_e32 v18, 24, v10
	v_cmp_le_i32_e64 s[6:7], s10, v18
	s_and_saveexec_b64 s[8:9], s[6:7]
	s_xor_b64 s[6:7], exec, s[8:9]
; %bb.117:
	v_mov_b32_e32 v16, 0
	v_mov_b32_e32 v17, v16
	ds_write_b64 v1, v[16:17] offset:6336
                                        ; implicit-def: $vgpr1
; %bb.118:
	s_andn2_saveexec_b64 s[6:7], s[6:7]
	s_cbranch_execz .LBB32_120
; %bb.119:
	v_mov_b32_e32 v16, 0xc0
	v_mad_u64_u32 v[16:17], s[8:9], s22, v16, v[2:3]
	s_mul_i32 s8, s23, 0xc0
	s_nop 0
	v_add_u32_e32 v17, s8, v17
	flat_load_dwordx2 v[16:17], v[16:17]
	s_waitcnt vmcnt(0) lgkmcnt(0)
	ds_write_b64 v1, v[16:17] offset:6336
.LBB32_120:
	s_or_b64 exec, exec, s[6:7]
	v_mov_b32_e32 v1, 0
	v_lshl_add_u64 v[0:1], v[2:3], 0, v[0:1]
	s_lshl_b64 s[6:7], s[18:19], 3
	v_mov_b32_e32 v2, s7
	v_subrev_co_u32_e64 v0, s[6:7], s6, v0
	s_nop 1
	v_subb_co_u32_e64 v1, s[6:7], v1, v2, s[6:7]
	v_lshl_add_u64 v[0:1], v[0:1], 0, 8
	v_cndmask_b32_e32 v17, v1, v5, vcc
	v_cndmask_b32_e32 v16, v0, v4, vcc
	s_branch .LBB32_131
.LBB32_121:
	s_andn2_saveexec_b64 s[6:7], s[6:7]
	s_cbranch_execz .LBB32_89
.LBB32_122:
	v_cmp_eq_u32_e32 vcc, v17, v2
	s_mov_b64 s[14:15], s[4:5]
                                        ; implicit-def: $vgpr8
	s_and_saveexec_b64 s[34:35], vcc
; %bb.123:
	v_add_u32_e32 v8, v11, v3
	s_or_b64 s[14:15], s[4:5], exec
; %bb.124:
	s_or_b64 exec, exec, s[34:35]
	s_andn2_b64 s[4:5], s[4:5], exec
	s_and_b64 s[14:15], s[14:15], exec
	v_mov_b32_e32 v9, 0
	s_or_b64 s[4:5], s[4:5], s[14:15]
	s_or_b64 exec, exec, s[6:7]
	s_and_saveexec_b64 s[6:7], s[4:5]
	s_cbranch_execnz .LBB32_90
	s_branch .LBB32_91
.LBB32_125:
	s_or_saveexec_b64 s[6:7], s[6:7]
	v_mov_b32_e32 v9, 0
	s_xor_b64 exec, exec, s[6:7]
	s_cbranch_execz .LBB32_95
.LBB32_126:
	ds_read_b64 v[16:17], v7 offset:264
	v_add_u32_e32 v8, 16, v1
	s_or_b64 s[4:5], s[4:5], exec
	s_waitcnt lgkmcnt(0)
	v_xor_b32_e32 v9, 0x80000000, v17
	ds_write_b32 v1, v16 offset:16
	s_or_b64 exec, exec, s[6:7]
	s_and_saveexec_b64 s[6:7], s[4:5]
	s_cbranch_execnz .LBB32_96
	s_branch .LBB32_97
.LBB32_127:
	s_or_saveexec_b64 s[6:7], s[6:7]
	v_mov_b32_e32 v3, 0
	s_xor_b64 exec, exec, s[6:7]
	s_cbranch_execz .LBB32_101
.LBB32_128:
	ds_read_b64 v[16:17], v7 offset:528
	v_add_u32_e32 v8, 24, v1
	s_or_b64 s[4:5], s[4:5], exec
	s_waitcnt lgkmcnt(0)
	v_xor_b32_e32 v3, 0x80000000, v17
	ds_write_b32 v1, v16 offset:24
	s_or_b64 exec, exec, s[6:7]
	v_add_u32_e32 v25, 0x2380, v20
	s_and_saveexec_b64 s[6:7], s[4:5]
	s_cbranch_execnz .LBB32_102
	s_branch .LBB32_103
.LBB32_129:
                                        ; implicit-def: $vgpr16_vgpr17
                                        ; implicit-def: $vgpr8
                                        ; implicit-def: $vgpr9
                                        ; implicit-def: $vgpr18
	s_cbranch_execz .LBB32_131
; %bb.130:
	s_lshl_b64 s[6:7], s[22:23], 6
	v_lshl_add_u64 v[0:1], v[4:5], 0, s[6:7]
	v_lshl_add_u64 v[2:3], v[0:1], 0, s[6:7]
	v_lshl_add_u64 v[8:9], v[2:3], 0, s[6:7]
	flat_load_dwordx2 v[16:17], v[4:5]
	flat_load_dwordx2 v[20:21], v[0:1]
	;; [unrolled: 1-line block ×4, first 2 shown]
	s_movk_i32 s6, 0x108
	v_mad_u32_u24 v0, v10, s6, v11
	v_add_u32_e32 v8, 8, v10
	v_add_u32_e32 v9, 16, v10
	;; [unrolled: 1-line block ×3, first 2 shown]
	s_waitcnt vmcnt(0) lgkmcnt(0)
	ds_write_b64 v0, v[16:17]
	ds_write_b64 v0, v[20:21] offset:2112
	ds_write_b64 v0, v[26:27] offset:4224
	;; [unrolled: 1-line block ×3, first 2 shown]
	v_mov_b64_e32 v[16:17], v[4:5]
.LBB32_131:
	v_lshlrev_b32_e32 v4, 3, v10
	v_lshlrev_b32_e32 v8, 3, v8
	;; [unrolled: 1-line block ×4, first 2 shown]
	v_add_u32_e32 v5, v23, v4
	v_add_u32_e32 v10, v23, v8
	;; [unrolled: 1-line block ×4, first 2 shown]
	s_waitcnt lgkmcnt(0)
	s_barrier
	ds_read2_b64 v[0:3], v7 offset1:33
	ds_read_b64 v[20:21], v6
	ds_read_b64 v[18:19], v7 offset:528
	ds_read_b64 v[26:27], v5
	ds_read_b64 v[28:29], v10
	ds_read_b64 v[30:31], v8 offset:9088
	ds_read_b64 v[32:33], v4 offset:9088
	ds_read_b64 v[34:35], v11
	ds_read_b64 v[36:37], v36
	ds_read_b64 v[38:39], v38 offset:9088
	ds_read_b64 v[40:41], v9 offset:9088
	ds_read_b128 v[8:11], v25 offset:256
	ds_read_b128 v[4:7], v25 offset:272
	s_waitcnt lgkmcnt(6)
	v_pk_mul_f32 v[42:43], v[26:27], v[32:33] op_sel:[1,1] op_sel_hi:[1,0]
	v_pk_mul_f32 v[44:45], v[28:29], v[30:31] op_sel:[1,1] op_sel_hi:[1,0]
	v_pk_fma_f32 v[54:55], v[26:27], v[32:33], v[42:43]
	v_pk_fma_f32 v[26:27], v[26:27], v[32:33], v[42:43] op_sel_hi:[0,1,1] neg_lo:[0,0,1] neg_hi:[0,0,1]
	s_waitcnt lgkmcnt(2)
	v_pk_mul_f32 v[46:47], v[34:35], v[40:41] op_sel:[1,1] op_sel_hi:[1,0]
	v_mov_b32_e32 v55, v27
	v_pk_fma_f32 v[32:33], v[28:29], v[30:31], v[44:45]
	v_pk_fma_f32 v[28:29], v[28:29], v[30:31], v[44:45] op_sel_hi:[0,1,1] neg_lo:[0,0,1] neg_hi:[0,0,1]
	v_pk_add_f32 v[26:27], v[54:55], 0 op_sel_hi:[1,0]
	v_mov_b32_e32 v33, v29
	v_pk_fma_f32 v[28:29], v[34:35], v[40:41], v[46:47]
	v_pk_fma_f32 v[30:31], v[34:35], v[40:41], v[46:47] op_sel_hi:[0,1,1] neg_lo:[0,0,1] neg_hi:[0,0,1]
	v_pk_mul_f32 v[52:53], v[36:37], v[38:39] op_sel:[1,1] op_sel_hi:[1,0]
	v_pk_add_f32 v[26:27], v[26:27], v[32:33]
	v_mov_b32_e32 v29, v31
	v_pk_add_f32 v[26:27], v[26:27], v[28:29]
	v_pk_fma_f32 v[28:29], v[36:37], v[38:39], v[52:53]
	v_pk_fma_f32 v[30:31], v[36:37], v[38:39], v[52:53] op_sel_hi:[0,1,1] neg_lo:[0,0,1] neg_hi:[0,0,1]
	v_mov_b32_e32 v29, v31
	v_pk_add_f32 v[26:27], v[26:27], v[28:29]
	s_waitcnt lgkmcnt(0)
	s_barrier
	ds_write_b64 v24, v[26:27]
	s_waitcnt lgkmcnt(0)
	s_barrier
	s_and_saveexec_b64 s[6:7], s[4:5]
	s_cbranch_execz .LBB32_133
; %bb.132:
	ds_read2_b64 v[26:29], v23 offset1:1
	ds_read2_b64 v[30:33], v23 offset0:2 offset1:3
	ds_read2_b64 v[34:37], v23 offset0:4 offset1:5
	s_waitcnt lgkmcnt(2)
	v_pk_add_f32 v[26:27], v[50:51], v[26:27]
	s_nop 0
	v_pk_add_f32 v[38:39], v[26:27], v[28:29]
	ds_read2_b64 v[26:29], v23 offset0:6 offset1:7
	s_waitcnt lgkmcnt(2)
	v_pk_add_f32 v[30:31], v[38:39], v[30:31]
	s_nop 0
	v_pk_add_f32 v[30:31], v[30:31], v[32:33]
	s_waitcnt lgkmcnt(1)
	v_pk_add_f32 v[30:31], v[30:31], v[34:35]
	s_nop 0
	v_pk_add_f32 v[30:31], v[30:31], v[36:37]
	;; [unrolled: 4-line block ×3, first 2 shown]
.LBB32_133:
	s_or_b64 exec, exec, s[6:7]
	v_pk_mul_f32 v[26:27], v[8:9], v[20:21] op_sel:[1,1] op_sel_hi:[0,1]
	v_pk_fma_f32 v[28:29], v[8:9], v[20:21], v[26:27] neg_lo:[0,0,1] neg_hi:[0,0,1]
	v_pk_fma_f32 v[8:9], v[8:9], v[20:21], v[26:27] op_sel_hi:[1,0,1]
	v_pk_mul_f32 v[20:21], v[10:11], v[0:1] op_sel:[1,1] op_sel_hi:[0,1]
	v_mov_b32_e32 v29, v9
	v_pk_fma_f32 v[26:27], v[10:11], v[0:1], v[20:21] neg_lo:[0,0,1] neg_hi:[0,0,1]
	v_pk_fma_f32 v[0:1], v[10:11], v[0:1], v[20:21] op_sel_hi:[1,0,1]
	v_pk_add_f32 v[8:9], v[28:29], 0 op_sel_hi:[1,0]
	v_mov_b32_e32 v27, v1
	v_pk_add_f32 v[0:1], v[8:9], v[26:27]
	v_pk_mul_f32 v[8:9], v[4:5], v[2:3] op_sel:[1,1] op_sel_hi:[0,1]
	v_pk_fma_f32 v[10:11], v[4:5], v[2:3], v[8:9] neg_lo:[0,0,1] neg_hi:[0,0,1]
	v_pk_fma_f32 v[2:3], v[4:5], v[2:3], v[8:9] op_sel_hi:[1,0,1]
	s_nop 0
	v_mov_b32_e32 v11, v3
	v_pk_mul_f32 v[2:3], v[6:7], v[18:19] op_sel:[1,1] op_sel_hi:[0,1]
	v_pk_fma_f32 v[4:5], v[6:7], v[18:19], v[2:3] neg_lo:[0,0,1] neg_hi:[0,0,1]
	v_pk_fma_f32 v[2:3], v[6:7], v[18:19], v[2:3] op_sel_hi:[1,0,1]
	v_pk_add_f32 v[0:1], v[0:1], v[10:11]
	v_mov_b32_e32 v5, v3
	v_pk_add_f32 v[0:1], v[0:1], v[4:5]
	s_barrier
	ds_write_b64 v24, v[0:1]
	s_waitcnt lgkmcnt(0)
	s_barrier
	s_and_saveexec_b64 s[4:5], s[12:13]
	s_cbranch_execz .LBB32_135
; %bb.134:
	ds_read2_b64 v[0:3], v23 offset1:1
	ds_read2_b64 v[4:7], v23 offset0:2 offset1:3
	ds_read2_b64 v[8:11], v23 offset0:4 offset1:5
	s_waitcnt lgkmcnt(2)
	v_pk_add_f32 v[0:1], v[50:51], v[0:1]
	s_nop 0
	v_pk_add_f32 v[18:19], v[0:1], v[2:3]
	ds_read2_b64 v[0:3], v23 offset0:6 offset1:7
	s_waitcnt lgkmcnt(2)
	v_pk_add_f32 v[4:5], v[18:19], v[4:5]
	s_nop 0
	v_pk_add_f32 v[4:5], v[4:5], v[6:7]
	s_waitcnt lgkmcnt(1)
	v_pk_add_f32 v[4:5], v[4:5], v[8:9]
	s_nop 0
	v_pk_add_f32 v[4:5], v[4:5], v[10:11]
	;; [unrolled: 4-line block ×3, first 2 shown]
.LBB32_135:
	s_or_b64 exec, exec, s[4:5]
	s_mul_hi_u32 s4, s33, s26
	s_mul_i32 s36, s36, s26
	s_add_i32 s4, s4, s36
	s_mul_i32 s6, s33, s26
	s_mul_i32 s4, s4, s3
	s_mul_hi_u32 s5, s6, s3
	s_add_i32 s5, s5, s4
	s_mul_i32 s4, s6, s3
	s_lshl_b64 s[4:5], s[4:5], 3
	s_add_u32 s6, s28, s4
	s_addc_u32 s7, s29, s5
	s_mul_hi_i32 s5, s33, s2
	s_mul_i32 s4, s33, s2
	s_lshl_b64 s[4:5], s[4:5], 3
	s_add_u32 s8, s6, s4
	s_addc_u32 s9, s7, s5
	s_add_i32 s4, s2, 1
	s_cmp_ge_u32 s4, s3
	v_lshlrev_b32_e32 v52, 3, v122
	s_barrier
	s_cbranch_scc1 .LBB32_193
; %bb.136:
	s_mul_i32 s4, s16, s25
	s_mul_hi_u32 s5, s16, s24
	s_add_i32 s4, s5, s4
	s_mul_i32 s5, s17, s24
	s_add_i32 s5, s4, s5
	s_mul_i32 s4, s16, s24
	s_lshl_b64 s[4:5], s[4:5], 3
	v_mov_b32_e32 v0, s5
	v_subrev_co_u32_e32 v54, vcc, s4, v12
	s_movk_i32 s4, 0x860
	s_nop 0
	v_subb_co_u32_e32 v55, vcc, v13, v0, vcc
	v_lshrrev_b32_e32 v0, 4, v22
	v_lshlrev_b32_e32 v2, 5, v0
	v_mul_i32_i24_e32 v38, 0xffffffe8, v0
	v_and_b32_e32 v0, 48, v122
	v_and_b32_e32 v1, 15, v122
	v_lshlrev_b32_e32 v36, 5, v123
	v_mad_u32_u24 v128, v123, s4, v52
	s_movk_i32 s4, 0x218
	v_lshlrev_b32_e32 v0, 3, v0
	v_mad_u32_u24 v130, v1, s4, v0
	v_or_b32_e32 v0, 0x78, v52
	v_add_u32_e32 v3, 0x100, v36
	v_mad_u32_u24 v129, v1, s4, v2
	v_mad_u32_u24 v131, v1, s4, v0
	v_mad_u64_u32 v[0:1], s[4:5], s22, v3, 0
	v_mov_b32_e32 v2, v1
	v_lshlrev_b64 v[4:5], 3, v[14:15]
	v_mad_u64_u32 v[2:3], s[4:5], s23, v3, v[2:3]
	v_sub_co_u32_e32 v0, vcc, v0, v4
	v_add_u32_e32 v7, 0x110, v36
	s_nop 0
	v_subb_co_u32_e32 v1, vcc, v2, v5, vcc
	v_mad_u64_u32 v[2:3], s[4:5], s22, v7, 0
	v_mov_b32_e32 v6, v3
	v_mad_u64_u32 v[6:7], s[4:5], s23, v7, v[6:7]
	v_sub_co_u32_e32 v2, vcc, v2, v4
	v_add_u32_e32 v9, 0x108, v36
	s_nop 0
	v_subb_co_u32_e32 v3, vcc, v6, v5, vcc
	v_mad_u64_u32 v[6:7], s[4:5], s22, v9, 0
	v_mov_b32_e32 v8, v7
	;; [unrolled: 7-line block ×7, first 2 shown]
	v_mad_u64_u32 v[20:21], s[4:5], s23, v21, v[20:21]
	v_sub_co_u32_e32 v18, vcc, v18, v4
	v_add_u32_e32 v23, 0x200, v36
	s_nop 0
	v_subb_co_u32_e32 v19, vcc, v20, v5, vcc
	v_mad_u64_u32 v[20:21], s[4:5], s22, v23, 0
	v_cmp_gt_u32_e64 s[6:7], 64, v22
	v_mov_b32_e32 v22, v21
	v_mad_u64_u32 v[22:23], s[4:5], s23, v23, v[22:23]
	v_sub_co_u32_e32 v20, vcc, v20, v4
	v_add_u32_e32 v25, 0x210, v36
	s_nop 0
	v_subb_co_u32_e32 v21, vcc, v22, v5, vcc
	v_mad_u64_u32 v[22:23], s[4:5], s22, v25, 0
	v_mov_b32_e32 v24, v23
	v_mad_u64_u32 v[24:25], s[4:5], s23, v25, v[24:25]
	v_sub_co_u32_e32 v22, vcc, v22, v4
	v_add_u32_e32 v27, 0x208, v36
	s_nop 0
	v_subb_co_u32_e32 v23, vcc, v24, v5, vcc
	v_mad_u64_u32 v[24:25], s[4:5], s22, v27, 0
	v_mov_b32_e32 v26, v25
	v_mad_u64_u32 v[26:27], s[4:5], s23, v27, v[26:27]
	v_sub_co_u32_e32 v24, vcc, v24, v4
	v_add_u32_e32 v29, 0x218, v36
	s_nop 0
	v_subb_co_u32_e32 v25, vcc, v26, v5, vcc
	v_mad_u64_u32 v[26:27], s[4:5], s22, v29, 0
	v_mov_b32_e32 v28, v27
	v_mad_u64_u32 v[28:29], s[4:5], s23, v29, v[28:29]
	v_sub_co_u32_e32 v26, vcc, v26, v4
	v_add_u32_e32 v31, 0x280, v36
	s_nop 0
	v_subb_co_u32_e32 v27, vcc, v28, v5, vcc
	v_mad_u64_u32 v[28:29], s[4:5], s22, v31, 0
	v_mov_b32_e32 v30, v29
	v_mad_u64_u32 v[30:31], s[4:5], s23, v31, v[30:31]
	v_sub_co_u32_e32 v28, vcc, v28, v4
	v_add_u32_e32 v33, 0x290, v36
	s_nop 0
	v_subb_co_u32_e32 v29, vcc, v30, v5, vcc
	v_mad_u64_u32 v[30:31], s[4:5], s22, v33, 0
	v_mov_b32_e32 v32, v31
	v_mad_u64_u32 v[32:33], s[4:5], s23, v33, v[32:33]
	v_sub_co_u32_e32 v30, vcc, v30, v4
	v_add_u32_e32 v35, 0x288, v36
	s_nop 0
	v_subb_co_u32_e32 v31, vcc, v32, v5, vcc
	v_mad_u64_u32 v[32:33], s[4:5], s22, v35, 0
	v_mov_b32_e32 v34, v33
	v_mad_u64_u32 v[34:35], s[4:5], s23, v35, v[34:35]
	v_sub_co_u32_e32 v32, vcc, v32, v4
	v_add_u32_e32 v37, 0x298, v36
	s_nop 0
	v_subb_co_u32_e32 v33, vcc, v34, v5, vcc
	v_mad_u64_u32 v[34:35], s[4:5], s22, v37, 0
	v_add_u32_e32 v126, 0x2180, v36
	v_mov_b32_e32 v36, v35
	v_mad_u64_u32 v[36:37], s[4:5], s23, v37, v[36:37]
	v_sub_co_u32_e32 v4, vcc, v34, v4
	v_lshlrev_b32_e32 v124, 2, v123
	s_nop 0
	v_subb_co_u32_e32 v5, vcc, v36, v5, vcc
	v_mov_b32_e32 v148, 0
	s_add_i32 s19, s3, -2
	v_add_u32_e32 v125, 0x2180, v52
	v_add_u32_e32 v127, 0x2380, v52
	v_or_b32_e32 v132, 1, v124
	v_or_b32_e32 v133, 2, v124
	;; [unrolled: 1-line block ×3, first 2 shown]
	v_add_u32_e32 v135, 16, v124
	v_add_u32_e32 v136, 17, v124
	;; [unrolled: 1-line block ×8, first 2 shown]
	s_add_i32 s24, s24, 64
	v_mov_b32_e32 v53, v148
	v_lshl_add_u64 v[56:57], v[16:17], 0, v[0:1]
	s_lshl_b64 s[10:11], s[22:23], 9
	v_lshl_add_u64 v[58:59], v[16:17], 0, v[2:3]
	v_lshl_add_u64 v[60:61], v[16:17], 0, v[6:7]
	;; [unrolled: 1-line block ×15, first 2 shown]
	v_add_u32_e32 v143, v129, v38
	v_mov_b32_e32 v88, 0
	v_mov_b32_e32 v89, v148
	v_add_u32_e32 v144, 48, v124
	v_add_u32_e32 v145, 49, v124
	;; [unrolled: 1-line block ×4, first 2 shown]
	s_cmp_eq_u32 s19, s2
	s_cselect_b32 s25, s27, 0
	s_and_saveexec_b64 s[4:5], s[0:1]
	s_cbranch_execz .LBB32_142
	s_branch .LBB32_138
.LBB32_137:                             ;   in Loop: Header=BB32_142 Depth=1
	s_mov_b32 s2, s4
	s_cmp_eq_u32 s19, s2
	s_cselect_b32 s25, s27, 0
	s_and_saveexec_b64 s[4:5], s[0:1]
	s_cbranch_execz .LBB32_142
.LBB32_138:
	s_cmp_lg_u32 s25, 0
	s_cselect_b64 s[12:13], -1, 0
	v_cmp_le_i32_e32 vcc, s25, v122
	s_and_b64 s[12:13], s[12:13], vcc
	s_and_saveexec_b64 s[14:15], s[12:13]
	s_xor_b64 s[12:13], exec, s[14:15]
; %bb.139:
	ds_write_b64 v125, v[88:89]
; %bb.140:
	s_andn2_saveexec_b64 s[12:13], s[12:13]
	s_cbranch_execz .LBB32_142
; %bb.141:
	s_ashr_i32 s12, s24, 31
	s_mul_hi_u32 s13, s16, s24
	s_mul_i32 s12, s16, s12
	s_add_i32 s12, s13, s12
	s_mul_i32 s13, s17, s24
	s_add_i32 s13, s12, s13
	s_mul_i32 s12, s16, s24
	v_lshl_add_u64 v[0:1], s[12:13], 3, v[54:55]
	flat_load_dwordx2 v[0:1], v[0:1]
	s_waitcnt vmcnt(0) lgkmcnt(0)
	ds_write_b64 v125, v[0:1]
.LBB32_142:                             ; =>This Inner Loop Header: Depth=1
	s_or_b64 exec, exec, s[4:5]
	s_cmp_eq_u32 s25, 0
	s_cselect_b64 s[12:13], -1, 0
	s_cmp_lg_u32 s25, 0
	s_cselect_b64 s[14:15], -1, 0
	v_lshl_add_u64 v[0:1], v[56:57], 0, v[52:53]
	s_and_b64 vcc, exec, s[14:15]
	s_waitcnt lgkmcnt(0)
	s_barrier
	s_cbranch_vccz .LBB32_150
; %bb.143:                              ;   in Loop: Header=BB32_142 Depth=1
	v_mov_b32_e32 v90, 0
	v_mov_b32_e32 v91, v148
	v_cmp_gt_i32_e32 vcc, s25, v124
	v_mov_b64_e32 v[92:93], v[90:91]
	s_and_saveexec_b64 s[4:5], vcc
	s_cbranch_execz .LBB32_145
; %bb.144:                              ;   in Loop: Header=BB32_142 Depth=1
	flat_load_dwordx2 v[92:93], v[0:1]
.LBB32_145:                             ;   in Loop: Header=BB32_142 Depth=1
	s_or_b64 exec, exec, s[4:5]
	v_cmp_gt_i32_e32 vcc, s25, v132
	s_and_saveexec_b64 s[4:5], vcc
	s_cbranch_execz .LBB32_147
; %bb.146:                              ;   in Loop: Header=BB32_142 Depth=1
	v_lshl_add_u64 v[2:3], v[60:61], 0, v[52:53]
	flat_load_dwordx2 v[90:91], v[2:3]
.LBB32_147:                             ;   in Loop: Header=BB32_142 Depth=1
	s_or_b64 exec, exec, s[4:5]
	v_mov_b32_e32 v149, v148
	v_cmp_gt_i32_e32 vcc, s25, v133
	v_mov_b64_e32 v[94:95], v[148:149]
	s_and_saveexec_b64 s[4:5], vcc
	s_cbranch_execz .LBB32_149
; %bb.148:                              ;   in Loop: Header=BB32_142 Depth=1
	v_lshl_add_u64 v[2:3], v[58:59], 0, v[52:53]
	flat_load_dwordx2 v[94:95], v[2:3]
.LBB32_149:                             ;   in Loop: Header=BB32_142 Depth=1
	s_or_b64 exec, exec, s[4:5]
	v_cmp_gt_i32_e64 s[4:5], s25, v134
	s_branch .LBB32_152
.LBB32_150:                             ;   in Loop: Header=BB32_142 Depth=1
	s_mov_b64 s[4:5], 0
                                        ; implicit-def: $vgpr94_vgpr95
                                        ; implicit-def: $vgpr90_vgpr91
                                        ; implicit-def: $vgpr92_vgpr93
	s_cbranch_execz .LBB32_152
; %bb.151:                              ;   in Loop: Header=BB32_142 Depth=1
	s_waitcnt vmcnt(0) lgkmcnt(0)
	flat_load_dwordx2 v[92:93], v[0:1]
	v_lshl_add_u64 v[0:1], v[60:61], 0, v[52:53]
	flat_load_dwordx2 v[90:91], v[0:1]
	v_lshl_add_u64 v[0:1], v[58:59], 0, v[52:53]
	flat_load_dwordx2 v[94:95], v[0:1]
	s_or_b64 s[4:5], s[4:5], exec
.LBB32_152:                             ;   in Loop: Header=BB32_142 Depth=1
	v_mov_b32_e32 v96, 0
	v_mov_b32_e32 v97, 0
	s_and_saveexec_b64 s[22:23], s[4:5]
	s_cbranch_execz .LBB32_154
; %bb.153:                              ;   in Loop: Header=BB32_142 Depth=1
	v_lshl_add_u64 v[0:1], v[62:63], 0, v[52:53]
	flat_load_dwordx2 v[96:97], v[0:1]
.LBB32_154:                             ;   in Loop: Header=BB32_142 Depth=1
	s_or_b64 exec, exec, s[22:23]
	ds_read_b64 v[0:1], v127
	s_andn2_b64 vcc, exec, s[14:15]
	s_waitcnt vmcnt(0) lgkmcnt(0)
	v_pk_mul_f32 v[2:3], v[92:93], v[0:1] op_sel:[1,0]
	v_pk_mul_f32 v[4:5], v[90:91], v[0:1] op_sel:[1,0]
	v_pk_fma_f32 v[6:7], v[92:93], v[0:1], v[2:3] op_sel:[0,0,1] op_sel_hi:[1,1,0]
	v_pk_fma_f32 v[2:3], v[92:93], v[0:1], v[2:3] op_sel:[0,0,1] op_sel_hi:[0,1,0] neg_lo:[0,0,1] neg_hi:[0,0,1]
	v_pk_fma_f32 v[8:9], v[90:91], v[0:1], v[4:5] op_sel:[0,0,1] op_sel_hi:[1,1,0]
	v_pk_fma_f32 v[4:5], v[90:91], v[0:1], v[4:5] op_sel:[0,0,1] op_sel_hi:[0,1,0] neg_lo:[0,0,1] neg_hi:[0,0,1]
	v_mov_b32_e32 v7, v3
	v_pk_mul_f32 v[2:3], v[94:95], v[0:1] op_sel:[1,0]
	v_mov_b32_e32 v9, v5
	v_pk_fma_f32 v[4:5], v[94:95], v[0:1], v[2:3] op_sel:[0,0,1] op_sel_hi:[1,1,0]
	v_pk_fma_f32 v[2:3], v[94:95], v[0:1], v[2:3] op_sel:[0,0,1] op_sel_hi:[0,1,0] neg_lo:[0,0,1] neg_hi:[0,0,1]
	v_mov_b32_e32 v5, v3
	v_pk_mul_f32 v[2:3], v[96:97], v[0:1] op_sel:[1,0]
	ds_write2_b64 v128, v[6:7], v[8:9] offset1:67
	v_pk_fma_f32 v[6:7], v[96:97], v[0:1], v[2:3] op_sel:[0,0,1] op_sel_hi:[1,1,0]
	v_pk_fma_f32 v[0:1], v[96:97], v[0:1], v[2:3] op_sel:[0,0,1] op_sel_hi:[0,1,0] neg_lo:[0,0,1] neg_hi:[0,0,1]
	v_mov_b32_e32 v7, v1
	ds_write2_b64 v128, v[4:5], v[6:7] offset0:134 offset1:201
	ds_read_b128 v[4:7], v126
	ds_read_b128 v[0:3], v126 offset:16
	s_waitcnt lgkmcnt(0)
	s_barrier
	ds_read2_b64 v[20:23], v129 offset1:1
	ds_read2_b64 v[16:19], v129 offset0:2 offset1:3
	v_cndmask_b32_e64 v8, 0, 1, s[14:15]
	v_cmp_ne_u32_e64 s[4:5], 1, v8
	v_lshl_add_u64 v[8:9], v[64:65], 0, v[52:53]
	s_waitcnt lgkmcnt(0)
	s_barrier
	s_cbranch_vccnz .LBB32_162
; %bb.155:                              ;   in Loop: Header=BB32_142 Depth=1
	v_mov_b32_e32 v98, 0
	v_mov_b32_e32 v99, v148
	v_cmp_gt_i32_e32 vcc, s25, v135
	v_mov_b64_e32 v[100:101], v[98:99]
	s_and_saveexec_b64 s[14:15], vcc
	s_cbranch_execz .LBB32_157
; %bb.156:                              ;   in Loop: Header=BB32_142 Depth=1
	flat_load_dwordx2 v[100:101], v[8:9]
.LBB32_157:                             ;   in Loop: Header=BB32_142 Depth=1
	s_or_b64 exec, exec, s[14:15]
	v_cmp_gt_i32_e32 vcc, s25, v136
	s_and_saveexec_b64 s[14:15], vcc
	s_cbranch_execz .LBB32_159
; %bb.158:                              ;   in Loop: Header=BB32_142 Depth=1
	v_lshl_add_u64 v[10:11], v[68:69], 0, v[52:53]
	flat_load_dwordx2 v[98:99], v[10:11]
.LBB32_159:                             ;   in Loop: Header=BB32_142 Depth=1
	s_or_b64 exec, exec, s[14:15]
	v_mov_b32_e32 v149, v148
	v_cmp_gt_i32_e32 vcc, s25, v137
	v_mov_b64_e32 v[102:103], v[148:149]
	s_and_saveexec_b64 s[14:15], vcc
	s_cbranch_execz .LBB32_161
; %bb.160:                              ;   in Loop: Header=BB32_142 Depth=1
	v_lshl_add_u64 v[10:11], v[66:67], 0, v[52:53]
	flat_load_dwordx2 v[102:103], v[10:11]
.LBB32_161:                             ;   in Loop: Header=BB32_142 Depth=1
	s_or_b64 exec, exec, s[14:15]
	v_cmp_gt_i32_e64 s[14:15], s25, v138
	s_branch .LBB32_164
.LBB32_162:                             ;   in Loop: Header=BB32_142 Depth=1
	s_mov_b64 s[14:15], 0
                                        ; implicit-def: $vgpr102_vgpr103
                                        ; implicit-def: $vgpr98_vgpr99
                                        ; implicit-def: $vgpr100_vgpr101
	s_cbranch_execz .LBB32_164
; %bb.163:                              ;   in Loop: Header=BB32_142 Depth=1
	s_waitcnt vmcnt(0) lgkmcnt(0)
	flat_load_dwordx2 v[100:101], v[8:9]
	v_lshl_add_u64 v[8:9], v[68:69], 0, v[52:53]
	flat_load_dwordx2 v[98:99], v[8:9]
	v_lshl_add_u64 v[8:9], v[66:67], 0, v[52:53]
	flat_load_dwordx2 v[102:103], v[8:9]
	s_or_b64 s[14:15], s[14:15], exec
.LBB32_164:                             ;   in Loop: Header=BB32_142 Depth=1
	v_mov_b32_e32 v104, 0
	v_mov_b32_e32 v105, 0
	s_and_saveexec_b64 s[22:23], s[14:15]
	s_cbranch_execz .LBB32_166
; %bb.165:                              ;   in Loop: Header=BB32_142 Depth=1
	v_lshl_add_u64 v[8:9], v[70:71], 0, v[52:53]
	flat_load_dwordx2 v[104:105], v[8:9]
.LBB32_166:                             ;   in Loop: Header=BB32_142 Depth=1
	s_or_b64 exec, exec, s[22:23]
	ds_read_b64 v[24:25], v127
	ds_read_b128 v[12:15], v126 offset:128
	ds_read_b128 v[8:11], v126 offset:144
	s_and_b64 vcc, exec, s[4:5]
	s_waitcnt vmcnt(0) lgkmcnt(0)
	v_pk_mul_f32 v[26:27], v[100:101], v[24:25] op_sel:[1,1] op_sel_hi:[1,0]
	v_pk_mul_f32 v[28:29], v[98:99], v[24:25] op_sel:[1,1] op_sel_hi:[1,0]
	v_pk_fma_f32 v[30:31], v[100:101], v[24:25], v[26:27]
	v_pk_fma_f32 v[26:27], v[100:101], v[24:25], v[26:27] op_sel_hi:[0,1,1] neg_lo:[0,0,1] neg_hi:[0,0,1]
	v_mov_b32_e32 v31, v27
	v_pk_fma_f32 v[26:27], v[98:99], v[24:25], v[28:29]
	v_pk_fma_f32 v[28:29], v[98:99], v[24:25], v[28:29] op_sel_hi:[0,1,1] neg_lo:[0,0,1] neg_hi:[0,0,1]
	v_mov_b32_e32 v27, v29
	ds_write2_b64 v128, v[30:31], v[26:27] offset1:67
	v_pk_mul_f32 v[26:27], v[102:103], v[24:25] op_sel:[1,1] op_sel_hi:[1,0]
	s_nop 0
	v_pk_fma_f32 v[28:29], v[102:103], v[24:25], v[26:27]
	v_pk_fma_f32 v[26:27], v[102:103], v[24:25], v[26:27] op_sel_hi:[0,1,1] neg_lo:[0,0,1] neg_hi:[0,0,1]
	v_mov_b32_e32 v29, v27
	v_pk_mul_f32 v[26:27], v[104:105], v[24:25] op_sel:[1,1] op_sel_hi:[1,0]
	s_nop 0
	v_pk_fma_f32 v[30:31], v[104:105], v[24:25], v[26:27]
	v_pk_fma_f32 v[24:25], v[104:105], v[24:25], v[26:27] op_sel_hi:[0,1,1] neg_lo:[0,0,1] neg_hi:[0,0,1]
	v_mov_b32_e32 v31, v25
	ds_write2_b64 v128, v[28:29], v[30:31] offset0:134 offset1:201
	s_waitcnt lgkmcnt(0)
	s_barrier
	ds_read2_b64 v[36:39], v129 offset1:1
	ds_read2_b64 v[32:35], v129 offset0:2 offset1:3
	v_lshl_add_u64 v[24:25], v[72:73], 0, v[52:53]
	s_waitcnt lgkmcnt(0)
	s_barrier
	s_cbranch_vccnz .LBB32_174
; %bb.167:                              ;   in Loop: Header=BB32_142 Depth=1
	v_mov_b32_e32 v106, 0
	v_mov_b32_e32 v107, v148
	v_cmp_gt_i32_e32 vcc, s25, v139
	v_mov_b64_e32 v[108:109], v[106:107]
	s_and_saveexec_b64 s[14:15], vcc
	s_cbranch_execz .LBB32_169
; %bb.168:                              ;   in Loop: Header=BB32_142 Depth=1
	flat_load_dwordx2 v[108:109], v[24:25]
.LBB32_169:                             ;   in Loop: Header=BB32_142 Depth=1
	s_or_b64 exec, exec, s[14:15]
	v_cmp_gt_i32_e32 vcc, s25, v140
	s_and_saveexec_b64 s[14:15], vcc
	s_cbranch_execz .LBB32_171
; %bb.170:                              ;   in Loop: Header=BB32_142 Depth=1
	v_lshl_add_u64 v[26:27], v[76:77], 0, v[52:53]
	flat_load_dwordx2 v[106:107], v[26:27]
.LBB32_171:                             ;   in Loop: Header=BB32_142 Depth=1
	s_or_b64 exec, exec, s[14:15]
	v_mov_b32_e32 v149, v148
	v_cmp_gt_i32_e32 vcc, s25, v141
	v_mov_b64_e32 v[110:111], v[148:149]
	s_and_saveexec_b64 s[14:15], vcc
	s_cbranch_execz .LBB32_173
; %bb.172:                              ;   in Loop: Header=BB32_142 Depth=1
	v_lshl_add_u64 v[26:27], v[74:75], 0, v[52:53]
	flat_load_dwordx2 v[110:111], v[26:27]
.LBB32_173:                             ;   in Loop: Header=BB32_142 Depth=1
	s_or_b64 exec, exec, s[14:15]
	v_cmp_gt_i32_e64 s[14:15], s25, v142
	s_branch .LBB32_176
.LBB32_174:                             ;   in Loop: Header=BB32_142 Depth=1
	s_mov_b64 s[14:15], 0
                                        ; implicit-def: $vgpr110_vgpr111
                                        ; implicit-def: $vgpr106_vgpr107
                                        ; implicit-def: $vgpr108_vgpr109
	s_cbranch_execz .LBB32_176
; %bb.175:                              ;   in Loop: Header=BB32_142 Depth=1
	s_waitcnt vmcnt(0) lgkmcnt(0)
	flat_load_dwordx2 v[108:109], v[24:25]
	v_lshl_add_u64 v[24:25], v[76:77], 0, v[52:53]
	flat_load_dwordx2 v[106:107], v[24:25]
	v_lshl_add_u64 v[24:25], v[74:75], 0, v[52:53]
	flat_load_dwordx2 v[110:111], v[24:25]
	s_or_b64 s[14:15], s[14:15], exec
.LBB32_176:                             ;   in Loop: Header=BB32_142 Depth=1
	v_mov_b32_e32 v112, 0
	v_mov_b32_e32 v113, 0
	s_and_saveexec_b64 s[22:23], s[14:15]
	s_cbranch_execz .LBB32_178
; %bb.177:                              ;   in Loop: Header=BB32_142 Depth=1
	v_lshl_add_u64 v[24:25], v[78:79], 0, v[52:53]
	flat_load_dwordx2 v[112:113], v[24:25]
.LBB32_178:                             ;   in Loop: Header=BB32_142 Depth=1
	s_or_b64 exec, exec, s[22:23]
	ds_read_b64 v[24:25], v127
	s_and_b64 vcc, exec, s[4:5]
	v_lshl_add_u64 v[120:121], v[80:81], 0, v[52:53]
	s_waitcnt vmcnt(0) lgkmcnt(0)
	v_pk_mul_f32 v[26:27], v[108:109], v[24:25] op_sel:[1,0]
	v_pk_mul_f32 v[28:29], v[106:107], v[24:25] op_sel:[1,0]
	v_pk_fma_f32 v[30:31], v[108:109], v[24:25], v[26:27] op_sel:[0,0,1] op_sel_hi:[1,1,0]
	v_pk_fma_f32 v[26:27], v[108:109], v[24:25], v[26:27] op_sel:[0,0,1] op_sel_hi:[0,1,0] neg_lo:[0,0,1] neg_hi:[0,0,1]
	v_pk_fma_f32 v[40:41], v[106:107], v[24:25], v[28:29] op_sel:[0,0,1] op_sel_hi:[1,1,0]
	v_pk_fma_f32 v[28:29], v[106:107], v[24:25], v[28:29] op_sel:[0,0,1] op_sel_hi:[0,1,0] neg_lo:[0,0,1] neg_hi:[0,0,1]
	v_mov_b32_e32 v31, v27
	v_pk_mul_f32 v[26:27], v[110:111], v[24:25] op_sel:[1,0]
	v_mov_b32_e32 v41, v29
	v_pk_fma_f32 v[28:29], v[110:111], v[24:25], v[26:27] op_sel:[0,0,1] op_sel_hi:[1,1,0]
	v_pk_fma_f32 v[26:27], v[110:111], v[24:25], v[26:27] op_sel:[0,0,1] op_sel_hi:[0,1,0] neg_lo:[0,0,1] neg_hi:[0,0,1]
	v_mov_b32_e32 v29, v27
	v_pk_mul_f32 v[26:27], v[112:113], v[24:25] op_sel:[1,0]
	ds_write2_b64 v128, v[30:31], v[40:41] offset1:67
	v_pk_fma_f32 v[30:31], v[112:113], v[24:25], v[26:27] op_sel:[0,0,1] op_sel_hi:[1,1,0]
	v_pk_fma_f32 v[24:25], v[112:113], v[24:25], v[26:27] op_sel:[0,0,1] op_sel_hi:[0,1,0] neg_lo:[0,0,1] neg_hi:[0,0,1]
	v_mov_b32_e32 v31, v25
	ds_write2_b64 v128, v[28:29], v[30:31] offset0:134 offset1:201
	ds_read_b128 v[28:31], v126 offset:256
	ds_read_b128 v[24:27], v126 offset:272
	s_waitcnt lgkmcnt(0)
	s_barrier
	ds_read2_b64 v[44:47], v129 offset1:1
	ds_read2_b64 v[40:43], v129 offset0:2 offset1:3
	s_waitcnt lgkmcnt(0)
	s_barrier
	s_cbranch_vccnz .LBB32_186
; %bb.179:                              ;   in Loop: Header=BB32_142 Depth=1
	v_mov_b32_e32 v114, 0
	v_mov_b32_e32 v115, v148
	v_cmp_gt_i32_e32 vcc, s25, v144
	v_mov_b64_e32 v[116:117], v[114:115]
	s_and_saveexec_b64 s[4:5], vcc
	s_cbranch_execz .LBB32_181
; %bb.180:                              ;   in Loop: Header=BB32_142 Depth=1
	flat_load_dwordx2 v[116:117], v[120:121]
.LBB32_181:                             ;   in Loop: Header=BB32_142 Depth=1
	s_or_b64 exec, exec, s[4:5]
	v_cmp_gt_i32_e32 vcc, s25, v145
	s_and_saveexec_b64 s[4:5], vcc
	s_cbranch_execz .LBB32_183
; %bb.182:                              ;   in Loop: Header=BB32_142 Depth=1
	v_lshl_add_u64 v[114:115], v[84:85], 0, v[52:53]
	flat_load_dwordx2 v[114:115], v[114:115]
.LBB32_183:                             ;   in Loop: Header=BB32_142 Depth=1
	s_or_b64 exec, exec, s[4:5]
	v_mov_b32_e32 v149, v148
	v_cmp_gt_i32_e32 vcc, s25, v146
	v_mov_b64_e32 v[118:119], v[148:149]
	s_and_saveexec_b64 s[4:5], vcc
	s_cbranch_execz .LBB32_185
; %bb.184:                              ;   in Loop: Header=BB32_142 Depth=1
	v_lshl_add_u64 v[118:119], v[82:83], 0, v[52:53]
	flat_load_dwordx2 v[118:119], v[118:119]
.LBB32_185:                             ;   in Loop: Header=BB32_142 Depth=1
	s_or_b64 exec, exec, s[4:5]
	v_cmp_gt_i32_e64 s[4:5], s25, v147
	s_branch .LBB32_188
.LBB32_186:                             ;   in Loop: Header=BB32_142 Depth=1
	s_mov_b64 s[4:5], 0
                                        ; implicit-def: $vgpr118_vgpr119
                                        ; implicit-def: $vgpr114_vgpr115
                                        ; implicit-def: $vgpr116_vgpr117
	s_cbranch_execz .LBB32_188
; %bb.187:                              ;   in Loop: Header=BB32_142 Depth=1
	s_waitcnt vmcnt(0) lgkmcnt(0)
	v_lshl_add_u64 v[114:115], v[84:85], 0, v[52:53]
	v_lshl_add_u64 v[118:119], v[82:83], 0, v[52:53]
	flat_load_dwordx2 v[116:117], v[120:121]
	s_or_b64 s[4:5], s[4:5], exec
	flat_load_dwordx2 v[114:115], v[114:115]
	s_nop 0
	flat_load_dwordx2 v[118:119], v[118:119]
.LBB32_188:                             ;   in Loop: Header=BB32_142 Depth=1
	v_mov_b32_e32 v120, 0
	v_mov_b32_e32 v121, 0
	s_and_saveexec_b64 s[14:15], s[4:5]
	s_cbranch_execz .LBB32_190
; %bb.189:                              ;   in Loop: Header=BB32_142 Depth=1
	v_lshl_add_u64 v[120:121], v[86:87], 0, v[52:53]
	flat_load_dwordx2 v[120:121], v[120:121]
.LBB32_190:                             ;   in Loop: Header=BB32_142 Depth=1
	s_or_b64 exec, exec, s[14:15]
	v_pk_add_f32 v[44:45], v[44:45], 0 op_sel_hi:[1,0]
	v_pk_add_f32 v[36:37], v[36:37], 0 op_sel_hi:[1,0]
	v_pk_add_f32 v[44:45], v[44:45], v[46:47]
	v_pk_add_f32 v[36:37], v[36:37], v[38:39]
	;; [unrolled: 1-line block ×5, first 2 shown]
	ds_read_b64 v[40:41], v127
	v_pk_add_f32 v[46:47], v[32:33], v[34:35]
	v_pk_add_f32 v[20:21], v[20:21], 0 op_sel_hi:[1,0]
	v_cmp_gt_i32_e32 vcc, s25, v122
	v_pk_add_f32 v[150:151], v[20:21], v[22:23]
	s_waitcnt vmcnt(0) lgkmcnt(0)
	v_pk_mul_f32 v[32:33], v[116:117], v[40:41] op_sel:[1,0]
	v_pk_add_f32 v[16:17], v[150:151], v[16:17]
	v_pk_fma_f32 v[34:35], v[116:117], v[40:41], v[32:33] op_sel:[0,0,1] op_sel_hi:[1,1,0]
	v_pk_fma_f32 v[32:33], v[116:117], v[40:41], v[32:33] op_sel:[0,0,1] op_sel_hi:[0,1,0] neg_lo:[0,0,1] neg_hi:[0,0,1]
	v_mov_b32_e32 v35, v33
	v_pk_mul_f32 v[32:33], v[114:115], v[40:41] op_sel:[1,0]
	v_pk_add_f32 v[16:17], v[16:17], v[18:19]
	v_pk_fma_f32 v[36:37], v[114:115], v[40:41], v[32:33] op_sel:[0,0,1] op_sel_hi:[1,1,0]
	v_pk_fma_f32 v[32:33], v[114:115], v[40:41], v[32:33] op_sel:[0,0,1] op_sel_hi:[0,1,0] neg_lo:[0,0,1] neg_hi:[0,0,1]
	v_mov_b32_e32 v37, v33
	v_pk_mul_f32 v[32:33], v[118:119], v[40:41] op_sel:[1,0]
	ds_write2_b64 v128, v[34:35], v[36:37] offset1:67
	v_pk_fma_f32 v[34:35], v[118:119], v[40:41], v[32:33] op_sel:[0,0,1] op_sel_hi:[1,1,0]
	v_pk_fma_f32 v[32:33], v[118:119], v[40:41], v[32:33] op_sel:[0,0,1] op_sel_hi:[0,1,0] neg_lo:[0,0,1] neg_hi:[0,0,1]
	v_mov_b32_e32 v35, v33
	v_pk_mul_f32 v[32:33], v[120:121], v[40:41] op_sel:[1,0]
	s_or_b64 s[4:5], s[12:13], vcc
	v_pk_fma_f32 v[36:37], v[120:121], v[40:41], v[32:33] op_sel:[0,0,1] op_sel_hi:[1,1,0]
	v_pk_fma_f32 v[32:33], v[120:121], v[40:41], v[32:33] op_sel:[0,0,1] op_sel_hi:[0,1,0] neg_lo:[0,0,1] neg_hi:[0,0,1]
	v_mov_b32_e32 v37, v33
	ds_write2_b64 v128, v[34:35], v[36:37] offset0:134 offset1:201
	ds_read_b128 v[36:39], v126 offset:384
	ds_read_b128 v[32:35], v126 offset:400
	s_waitcnt lgkmcnt(0)
	s_barrier
	ds_read2_b64 v[40:43], v129 offset1:1
	ds_read2_b64 v[20:23], v129 offset0:2 offset1:3
	s_and_b64 s[12:13], s[6:7], s[4:5]
	s_waitcnt lgkmcnt(0)
	s_barrier
	v_pk_add_f32 v[18:19], v[40:41], 0 op_sel_hi:[1,0]
	s_nop 0
	v_pk_add_f32 v[18:19], v[18:19], v[42:43]
	s_nop 0
	v_pk_add_f32 v[18:19], v[18:19], v[20:21]
	;; [unrolled: 2-line block ×3, first 2 shown]
	ds_write2_b64 v143, v[16:17], v[46:47] offset1:16
	ds_write2_b64 v143, v[44:45], v[18:19] offset0:32 offset1:48
	s_waitcnt lgkmcnt(0)
	s_barrier
	s_and_saveexec_b64 s[4:5], s[12:13]
	s_cbranch_execz .LBB32_192
; %bb.191:                              ;   in Loop: Header=BB32_142 Depth=1
	ds_read_b64 v[40:41], v130
	ds_read2_b64 v[16:19], v130 offset0:1 offset1:2
	ds_read2_b64 v[20:23], v130 offset0:3 offset1:4
	v_add_u32_e32 v42, s24, v122
	v_ashrrev_i32_e32 v43, 31, v42
	v_lshl_add_u64 v[44:45], v[42:43], 3, s[8:9]
	s_waitcnt lgkmcnt(1)
	v_add_f32_e32 v16, v16, v40
	v_add_f32_e32 v17, v17, v41
	v_add_f32_e32 v40, v18, v16
	v_add_f32_e32 v41, v19, v17
	ds_read2_b64 v[16:19], v130 offset0:5 offset1:6
	s_waitcnt lgkmcnt(1)
	v_add_f32_e32 v20, v40, v20
	v_add_f32_e32 v21, v41, v21
	;; [unrolled: 1-line block ×4, first 2 shown]
	ds_read2_b64 v[20:23], v130 offset0:7 offset1:8
	s_waitcnt lgkmcnt(1)
	v_pk_add_f32 v[16:17], v[40:41], v[16:17]
	ds_read2_b64 v[40:43], v130 offset0:9 offset1:10
	v_pk_add_f32 v[16:17], v[16:17], v[18:19]
	s_waitcnt lgkmcnt(1)
	v_pk_add_f32 v[16:17], v[16:17], v[20:21]
	s_nop 0
	v_pk_add_f32 v[20:21], v[16:17], v[22:23]
	ds_read2_b64 v[16:19], v130 offset0:11 offset1:12
	s_waitcnt lgkmcnt(1)
	v_pk_add_f32 v[40:41], v[20:21], v[40:41]
	ds_read2_b64 v[20:23], v130 offset0:13 offset1:14
	v_pk_add_f32 v[40:41], v[40:41], v[42:43]
	ds_read_b64 v[42:43], v131
	s_waitcnt lgkmcnt(2)
	v_pk_add_f32 v[16:17], v[40:41], v[16:17]
	s_nop 0
	v_pk_add_f32 v[16:17], v[16:17], v[18:19]
	s_waitcnt lgkmcnt(1)
	v_pk_add_f32 v[16:17], v[16:17], v[20:21]
	s_nop 0
	v_pk_add_f32 v[16:17], v[16:17], v[22:23]
	s_waitcnt lgkmcnt(0)
	v_pk_add_f32 v[16:17], v[16:17], v[42:43]
	global_store_dwordx2 v[44:45], v[16:17], off
.LBB32_192:                             ;   in Loop: Header=BB32_142 Depth=1
	s_or_b64 exec, exec, s[4:5]
	v_mov_b32_e32 v16, v92
	v_mov_b32_e32 v17, v92
	;; [unrolled: 1-line block ×3, first 2 shown]
	v_pk_mul_f32 v[92:93], v[92:93], v[4:5]
	v_mov_b32_e32 v18, v90
	v_mov_b32_e32 v19, v90
	;; [unrolled: 1-line block ×3, first 2 shown]
	v_pk_fma_f32 v[158:159], v[16:17], v[4:5], v[92:93] op_sel:[0,0,1] op_sel_hi:[1,1,0] neg_lo:[0,0,1] neg_hi:[0,0,1]
	v_pk_fma_f32 v[4:5], v[16:17], v[4:5], v[92:93] op_sel:[0,0,1] op_sel_hi:[1,1,0]
	v_pk_mul_f32 v[16:17], v[90:91], v[6:7]
	v_mov_b32_e32 v159, v5
	v_mov_b32_e32 v20, v94
	;; [unrolled: 1-line block ×4, first 2 shown]
	v_pk_add_f32 v[4:5], v[50:51], v[158:159]
	v_pk_fma_f32 v[50:51], v[18:19], v[6:7], v[16:17] op_sel:[0,0,1] op_sel_hi:[1,1,0] neg_lo:[0,0,1] neg_hi:[0,0,1]
	v_pk_fma_f32 v[6:7], v[18:19], v[6:7], v[16:17] op_sel:[0,0,1] op_sel_hi:[1,1,0]
	v_mov_b32_e32 v22, v96
	v_mov_b32_e32 v51, v7
	v_pk_mul_f32 v[6:7], v[94:95], v[0:1]
	v_mov_b32_e32 v23, v96
	v_pk_fma_f32 v[16:17], v[20:21], v[0:1], v[6:7] op_sel:[0,0,1] op_sel_hi:[1,1,0] neg_lo:[0,0,1] neg_hi:[0,0,1]
	v_pk_fma_f32 v[0:1], v[20:21], v[0:1], v[6:7] op_sel:[0,0,1] op_sel_hi:[1,1,0]
	v_mov_b32_e32 v96, v97
	v_pk_add_f32 v[4:5], v[4:5], v[50:51]
	v_mov_b32_e32 v17, v1
	v_pk_add_f32 v[0:1], v[4:5], v[16:17]
	v_pk_mul_f32 v[4:5], v[96:97], v[2:3]
	v_mov_b32_e32 v40, v108
	v_pk_fma_f32 v[6:7], v[22:23], v[2:3], v[4:5] op_sel:[0,0,1] op_sel_hi:[1,1,0] neg_lo:[0,0,1] neg_hi:[0,0,1]
	v_pk_fma_f32 v[2:3], v[22:23], v[2:3], v[4:5] op_sel:[0,0,1] op_sel_hi:[1,1,0]
	v_mov_b32_e32 v4, v15
	v_mov_b32_e32 v7, v3
	v_pk_mul_f32 v[2:3], v[100:101], v[12:13] op_sel:[1,1] op_sel_hi:[0,1]
	v_pk_add_f32 v[0:1], v[0:1], v[6:7]
	v_pk_mul_f32 v[4:5], v[98:99], v[4:5] op_sel:[1,0] op_sel_hi:[0,0]
	v_pk_fma_f32 v[6:7], v[100:101], v[12:13], v[2:3] neg_lo:[0,0,1] neg_hi:[0,0,1]
	v_pk_fma_f32 v[2:3], v[100:101], v[12:13], v[2:3] op_sel_hi:[1,0,1]
	v_mov_b32_e32 v41, v108
	v_mov_b32_e32 v7, v3
	v_pk_fma_f32 v[2:3], v[98:99], v[14:15], v[4:5] neg_lo:[0,0,1] neg_hi:[0,0,1]
	v_pk_fma_f32 v[4:5], v[98:99], v[14:15], v[4:5] op_sel_hi:[1,0,1]
	v_pk_add_f32 v[0:1], v[0:1], v[6:7]
	v_mov_b32_e32 v3, v5
	v_pk_add_f32 v[0:1], v[0:1], v[2:3]
	v_pk_mul_f32 v[2:3], v[102:103], v[8:9] op_sel:[1,1] op_sel_hi:[0,1]
	v_pk_fma_f32 v[4:5], v[102:103], v[8:9], v[2:3] neg_lo:[0,0,1] neg_hi:[0,0,1]
	v_pk_fma_f32 v[2:3], v[102:103], v[8:9], v[2:3] op_sel_hi:[1,0,1]
	v_mov_b32_e32 v108, v109
	v_mov_b32_e32 v2, v11
	;; [unrolled: 1-line block ×3, first 2 shown]
	v_pk_mul_f32 v[2:3], v[104:105], v[2:3] op_sel:[1,0] op_sel_hi:[0,0]
	v_pk_add_f32 v[0:1], v[0:1], v[4:5]
	v_pk_fma_f32 v[4:5], v[104:105], v[10:11], v[2:3] neg_lo:[0,0,1] neg_hi:[0,0,1]
	v_pk_fma_f32 v[2:3], v[104:105], v[10:11], v[2:3] op_sel_hi:[1,0,1]
	v_mov_b32_e32 v42, v106
	v_mov_b32_e32 v5, v3
	v_pk_mul_f32 v[2:3], v[108:109], v[28:29]
	v_mov_b32_e32 v43, v106
	v_mov_b32_e32 v106, v107
	v_pk_add_f32 v[0:1], v[0:1], v[4:5]
	v_pk_fma_f32 v[4:5], v[40:41], v[28:29], v[2:3] op_sel:[0,0,1] op_sel_hi:[1,1,0] neg_lo:[0,0,1] neg_hi:[0,0,1]
	v_pk_fma_f32 v[2:3], v[40:41], v[28:29], v[2:3] op_sel:[0,0,1] op_sel_hi:[1,1,0]
	v_mov_b32_e32 v44, v110
	v_mov_b32_e32 v5, v3
	v_pk_mul_f32 v[2:3], v[106:107], v[30:31]
	v_mov_b32_e32 v45, v110
	v_mov_b32_e32 v110, v111
	v_pk_add_f32 v[0:1], v[0:1], v[4:5]
	v_pk_fma_f32 v[4:5], v[42:43], v[30:31], v[2:3] op_sel:[0,0,1] op_sel_hi:[1,1,0] neg_lo:[0,0,1] neg_hi:[0,0,1]
	v_pk_fma_f32 v[2:3], v[42:43], v[30:31], v[2:3] op_sel:[0,0,1] op_sel_hi:[1,1,0]
	;; [unrolled: 8-line block ×5, first 2 shown]
	v_mov_b32_e32 v154, v118
	v_mov_b32_e32 v5, v3
	v_pk_mul_f32 v[2:3], v[114:115], v[38:39]
	v_mov_b32_e32 v155, v118
	v_mov_b32_e32 v118, v119
	v_pk_fma_f32 v[6:7], v[152:153], v[38:39], v[2:3] op_sel:[0,0,1] op_sel_hi:[1,1,0] neg_lo:[0,0,1] neg_hi:[0,0,1]
	v_pk_fma_f32 v[2:3], v[152:153], v[38:39], v[2:3] op_sel:[0,0,1] op_sel_hi:[1,1,0]
	v_mov_b32_e32 v156, v120
	v_mov_b32_e32 v7, v3
	v_pk_mul_f32 v[2:3], v[118:119], v[32:33]
	v_mov_b32_e32 v157, v120
	v_mov_b32_e32 v120, v121
	v_pk_fma_f32 v[8:9], v[154:155], v[32:33], v[2:3] op_sel:[0,0,1] op_sel_hi:[1,1,0] neg_lo:[0,0,1] neg_hi:[0,0,1]
	v_pk_fma_f32 v[2:3], v[154:155], v[32:33], v[2:3] op_sel:[0,0,1] op_sel_hi:[1,1,0]
	v_pk_add_f32 v[0:1], v[0:1], v[4:5]
	v_mov_b32_e32 v9, v3
	v_pk_mul_f32 v[2:3], v[120:121], v[34:35]
	v_pk_add_f32 v[0:1], v[0:1], v[6:7]
	v_pk_fma_f32 v[10:11], v[156:157], v[34:35], v[2:3] op_sel:[0,0,1] op_sel_hi:[1,1,0] neg_lo:[0,0,1] neg_hi:[0,0,1]
	v_pk_fma_f32 v[2:3], v[156:157], v[34:35], v[2:3] op_sel:[0,0,1] op_sel_hi:[1,1,0]
	v_pk_add_f32 v[0:1], v[0:1], v[8:9]
	v_mov_b32_e32 v11, v3
	s_add_i32 s4, s2, 1
	s_add_i32 s24, s24, 64
	s_add_i32 s2, s2, 2
	v_pk_add_f32 v[50:51], v[0:1], v[10:11]
	v_lshl_add_u64 v[56:57], v[56:57], 0, s[10:11]
	v_lshl_add_u64 v[58:59], v[58:59], 0, s[10:11]
	;; [unrolled: 1-line block ×15, first 2 shown]
	s_cmp_ge_u32 s2, s3
	v_lshl_add_u64 v[86:87], v[86:87], 0, s[10:11]
	s_barrier
	s_cbranch_scc0 .LBB32_137
.LBB32_193:
	s_movk_i32 s2, 0x218
	v_cmp_gt_i32_e32 vcc, s18, v122
	v_mad_u32_u24 v0, v123, s2, v52
	s_or_b64 s[2:3], s[20:21], vcc
	s_and_b64 s[0:1], s[0:1], s[2:3]
	ds_write_b64 v0, v[50:51]
	s_waitcnt lgkmcnt(0)
	s_barrier
	s_and_saveexec_b64 s[2:3], s[0:1]
	s_cbranch_execz .LBB32_195
; %bb.194:
	ds_read2_b64 v[0:3], v52 offset1:67
	ds_read2_b64 v[4:7], v52 offset0:134 offset1:201
	v_lshl_add_u64 v[8:9], v[48:49], 3, s[8:9]
	s_waitcnt lgkmcnt(1)
	v_pk_add_f32 v[0:1], v[2:3], v[0:1]
	s_waitcnt lgkmcnt(0)
	v_pk_add_f32 v[0:1], v[4:5], v[0:1]
	s_nop 0
	v_pk_add_f32 v[0:1], v[0:1], v[6:7]
	global_store_dwordx2 v[8:9], v[0:1], off
.LBB32_195:
	s_endpgm
	.section	.rodata,"a",@progbits
	.p2align	6, 0x0
	.amdhsa_kernel _ZL26rocblas_hemvn_kernel_upperILb1ELi64ELi4ELi33ELi32ELi16ElPK19rocblas_complex_numIfEPKS3_PS1_EviT6_lT7_lT5_lS8_lS9_lS7_lT8_i
		.amdhsa_group_segment_fixed_size 9600
		.amdhsa_private_segment_fixed_size 0
		.amdhsa_kernarg_size 376
		.amdhsa_user_sgpr_count 2
		.amdhsa_user_sgpr_dispatch_ptr 0
		.amdhsa_user_sgpr_queue_ptr 0
		.amdhsa_user_sgpr_kernarg_segment_ptr 1
		.amdhsa_user_sgpr_dispatch_id 0
		.amdhsa_user_sgpr_kernarg_preload_length 0
		.amdhsa_user_sgpr_kernarg_preload_offset 0
		.amdhsa_user_sgpr_private_segment_size 0
		.amdhsa_uses_dynamic_stack 0
		.amdhsa_enable_private_segment 0
		.amdhsa_system_sgpr_workgroup_id_x 1
		.amdhsa_system_sgpr_workgroup_id_y 0
		.amdhsa_system_sgpr_workgroup_id_z 1
		.amdhsa_system_sgpr_workgroup_info 0
		.amdhsa_system_vgpr_workitem_id 1
		.amdhsa_next_free_vgpr 160
		.amdhsa_next_free_sgpr 38
		.amdhsa_accum_offset 160
		.amdhsa_reserve_vcc 1
		.amdhsa_float_round_mode_32 0
		.amdhsa_float_round_mode_16_64 0
		.amdhsa_float_denorm_mode_32 3
		.amdhsa_float_denorm_mode_16_64 3
		.amdhsa_dx10_clamp 1
		.amdhsa_ieee_mode 1
		.amdhsa_fp16_overflow 0
		.amdhsa_tg_split 0
		.amdhsa_exception_fp_ieee_invalid_op 0
		.amdhsa_exception_fp_denorm_src 0
		.amdhsa_exception_fp_ieee_div_zero 0
		.amdhsa_exception_fp_ieee_overflow 0
		.amdhsa_exception_fp_ieee_underflow 0
		.amdhsa_exception_fp_ieee_inexact 0
		.amdhsa_exception_int_div_zero 0
	.end_amdhsa_kernel
	.section	.text._ZL26rocblas_hemvn_kernel_upperILb1ELi64ELi4ELi33ELi32ELi16ElPK19rocblas_complex_numIfEPKS3_PS1_EviT6_lT7_lT5_lS8_lS9_lS7_lT8_i,"axG",@progbits,_ZL26rocblas_hemvn_kernel_upperILb1ELi64ELi4ELi33ELi32ELi16ElPK19rocblas_complex_numIfEPKS3_PS1_EviT6_lT7_lT5_lS8_lS9_lS7_lT8_i,comdat
.Lfunc_end32:
	.size	_ZL26rocblas_hemvn_kernel_upperILb1ELi64ELi4ELi33ELi32ELi16ElPK19rocblas_complex_numIfEPKS3_PS1_EviT6_lT7_lT5_lS8_lS9_lS7_lT8_i, .Lfunc_end32-_ZL26rocblas_hemvn_kernel_upperILb1ELi64ELi4ELi33ELi32ELi16ElPK19rocblas_complex_numIfEPKS3_PS1_EviT6_lT7_lT5_lS8_lS9_lS7_lT8_i
                                        ; -- End function
	.set _ZL26rocblas_hemvn_kernel_upperILb1ELi64ELi4ELi33ELi32ELi16ElPK19rocblas_complex_numIfEPKS3_PS1_EviT6_lT7_lT5_lS8_lS9_lS7_lT8_i.num_vgpr, 160
	.set _ZL26rocblas_hemvn_kernel_upperILb1ELi64ELi4ELi33ELi32ELi16ElPK19rocblas_complex_numIfEPKS3_PS1_EviT6_lT7_lT5_lS8_lS9_lS7_lT8_i.num_agpr, 0
	.set _ZL26rocblas_hemvn_kernel_upperILb1ELi64ELi4ELi33ELi32ELi16ElPK19rocblas_complex_numIfEPKS3_PS1_EviT6_lT7_lT5_lS8_lS9_lS7_lT8_i.numbered_sgpr, 38
	.set _ZL26rocblas_hemvn_kernel_upperILb1ELi64ELi4ELi33ELi32ELi16ElPK19rocblas_complex_numIfEPKS3_PS1_EviT6_lT7_lT5_lS8_lS9_lS7_lT8_i.num_named_barrier, 0
	.set _ZL26rocblas_hemvn_kernel_upperILb1ELi64ELi4ELi33ELi32ELi16ElPK19rocblas_complex_numIfEPKS3_PS1_EviT6_lT7_lT5_lS8_lS9_lS7_lT8_i.private_seg_size, 0
	.set _ZL26rocblas_hemvn_kernel_upperILb1ELi64ELi4ELi33ELi32ELi16ElPK19rocblas_complex_numIfEPKS3_PS1_EviT6_lT7_lT5_lS8_lS9_lS7_lT8_i.uses_vcc, 1
	.set _ZL26rocblas_hemvn_kernel_upperILb1ELi64ELi4ELi33ELi32ELi16ElPK19rocblas_complex_numIfEPKS3_PS1_EviT6_lT7_lT5_lS8_lS9_lS7_lT8_i.uses_flat_scratch, 0
	.set _ZL26rocblas_hemvn_kernel_upperILb1ELi64ELi4ELi33ELi32ELi16ElPK19rocblas_complex_numIfEPKS3_PS1_EviT6_lT7_lT5_lS8_lS9_lS7_lT8_i.has_dyn_sized_stack, 0
	.set _ZL26rocblas_hemvn_kernel_upperILb1ELi64ELi4ELi33ELi32ELi16ElPK19rocblas_complex_numIfEPKS3_PS1_EviT6_lT7_lT5_lS8_lS9_lS7_lT8_i.has_recursion, 0
	.set _ZL26rocblas_hemvn_kernel_upperILb1ELi64ELi4ELi33ELi32ELi16ElPK19rocblas_complex_numIfEPKS3_PS1_EviT6_lT7_lT5_lS8_lS9_lS7_lT8_i.has_indirect_call, 0
	.section	.AMDGPU.csdata,"",@progbits
; Kernel info:
; codeLenInByte = 9652
; TotalNumSgprs: 44
; NumVgprs: 160
; NumAgprs: 0
; TotalNumVgprs: 160
; ScratchSize: 0
; MemoryBound: 1
; FloatMode: 240
; IeeeMode: 1
; LDSByteSize: 9600 bytes/workgroup (compile time only)
; SGPRBlocks: 5
; VGPRBlocks: 19
; NumSGPRsForWavesPerEU: 44
; NumVGPRsForWavesPerEU: 160
; AccumOffset: 160
; Occupancy: 3
; WaveLimiterHint : 1
; COMPUTE_PGM_RSRC2:SCRATCH_EN: 0
; COMPUTE_PGM_RSRC2:USER_SGPR: 2
; COMPUTE_PGM_RSRC2:TRAP_HANDLER: 0
; COMPUTE_PGM_RSRC2:TGID_X_EN: 1
; COMPUTE_PGM_RSRC2:TGID_Y_EN: 0
; COMPUTE_PGM_RSRC2:TGID_Z_EN: 1
; COMPUTE_PGM_RSRC2:TIDIG_COMP_CNT: 1
; COMPUTE_PGM_RSRC3_GFX90A:ACCUM_OFFSET: 39
; COMPUTE_PGM_RSRC3_GFX90A:TG_SPLIT: 0
	.section	.text._ZL36rocblas_hemvn_kernel_upper_block_sumILi64ElPK19rocblas_complex_numIfEPKPS1_S1_EviT1_lS7_lT2_lT0_lPT3_i,"axG",@progbits,_ZL36rocblas_hemvn_kernel_upper_block_sumILi64ElPK19rocblas_complex_numIfEPKPS1_S1_EviT1_lS7_lT2_lT0_lPT3_i,comdat
	.globl	_ZL36rocblas_hemvn_kernel_upper_block_sumILi64ElPK19rocblas_complex_numIfEPKPS1_S1_EviT1_lS7_lT2_lT0_lPT3_i ; -- Begin function _ZL36rocblas_hemvn_kernel_upper_block_sumILi64ElPK19rocblas_complex_numIfEPKPS1_S1_EviT1_lS7_lT2_lT0_lPT3_i
	.p2align	8
	.type	_ZL36rocblas_hemvn_kernel_upper_block_sumILi64ElPK19rocblas_complex_numIfEPKPS1_S1_EviT1_lS7_lT2_lT0_lPT3_i,@function
_ZL36rocblas_hemvn_kernel_upper_block_sumILi64ElPK19rocblas_complex_numIfEPKPS1_S1_EviT1_lS7_lT2_lT0_lPT3_i: ; @_ZL36rocblas_hemvn_kernel_upper_block_sumILi64ElPK19rocblas_complex_numIfEPKPS1_S1_EviT1_lS7_lT2_lT0_lPT3_i
; %bb.0:
	s_load_dwordx8 s[16:23], s[0:1], 0x8
	s_mov_b32 s14, s3
	s_mov_b32 s15, 0
	s_waitcnt lgkmcnt(0)
	s_mul_i32 s3, s19, s3
	s_mul_hi_u32 s4, s18, s14
	s_add_i32 s5, s4, s3
	s_mul_i32 s4, s18, s14
	s_lshl_b64 s[4:5], s[4:5], 3
	s_add_u32 s4, s16, s4
	s_mul_i32 s3, s23, s14
	s_mul_hi_u32 s6, s22, s14
	s_addc_u32 s5, s17, s5
	s_add_i32 s7, s6, s3
	s_mul_i32 s6, s22, s14
	s_load_dwordx2 s[8:9], s[4:5], 0x0
	s_lshl_b64 s[4:5], s[6:7], 3
	s_add_u32 s4, s20, s4
	s_addc_u32 s5, s21, s5
	s_load_dwordx2 s[10:11], s[4:5], 0x0
	s_waitcnt lgkmcnt(0)
	s_or_b32 s3, s8, s9
	s_bitset0_b32 s3, 31
	s_cmp_eq_u32 s3, 0
	s_cselect_b64 s[18:19], -1, 0
	v_cmp_eq_f32_e64 s[4:5], s10, 1.0
	v_cmp_eq_f32_e64 s[6:7], s11, 0
	s_and_b64 s[4:5], s[4:5], s[6:7]
	s_and_b64 s[4:5], s[18:19], s[4:5]
	s_and_b64 vcc, exec, s[4:5]
	s_cbranch_vccnz .LBB33_17
; %bb.1:
	s_load_dwordx2 s[12:13], s[0:1], 0x28
	s_load_dword s16, s[0:1], 0x0
	s_load_dwordx4 s[4:7], s[0:1], 0x30
	s_lshl_b64 s[20:21], s[14:15], 3
	v_lshl_or_b32 v0, s2, 6, v0
	s_waitcnt lgkmcnt(0)
	s_add_u32 s12, s12, s20
	s_addc_u32 s13, s13, s21
	s_load_dwordx2 s[12:13], s[12:13], 0x0
	s_lshl_b64 s[4:5], s[4:5], 3
	s_mov_b64 s[20:21], -1
	s_waitcnt lgkmcnt(0)
	s_add_u32 s12, s12, s4
	s_addc_u32 s13, s13, s5
	s_andn2_b64 vcc, exec, s[18:19]
	v_cmp_gt_i32_e64 s[4:5], s16, v0
	s_cbranch_vccnz .LBB33_7
; %bb.2:
	s_and_saveexec_b64 s[18:19], s[4:5]
	s_cbranch_execz .LBB33_6
; %bb.3:
	v_ashrrev_i32_e32 v1, 31, v0
	v_cmp_neq_f32_e64 s[4:5], s10, 0
	v_cmp_neq_f32_e64 s[20:21], s11, 0
	v_mul_lo_u32 v2, s7, v0
	v_mul_lo_u32 v1, s6, v1
	v_mad_u64_u32 v[4:5], s[22:23], s6, v0, 0
	v_add3_u32 v5, v5, v1, v2
	s_or_b64 s[4:5], s[4:5], s[20:21]
	v_mov_b32_e32 v2, 0
	s_andn2_b64 vcc, exec, s[4:5]
	v_lshl_add_u64 v[4:5], v[4:5], 3, s[12:13]
	v_mov_b32_e32 v3, 0
	s_cbranch_vccnz .LBB33_5
; %bb.4:
	flat_load_dwordx2 v[6:7], v[4:5]
	s_waitcnt vmcnt(0) lgkmcnt(0)
	v_pk_mul_f32 v[8:9], v[6:7], s[10:11] op_sel:[1,1] op_sel_hi:[1,0]
	s_nop 0
	v_pk_fma_f32 v[2:3], v[6:7], s[10:11], v[8:9] neg_lo:[0,0,1] neg_hi:[0,0,1]
	v_pk_fma_f32 v[6:7], v[6:7], s[10:11], v[8:9] op_sel_hi:[0,1,1]
	v_mov_b32_e32 v3, v7
.LBB33_5:
	flat_store_dwordx2 v[4:5], v[2:3]
.LBB33_6:
	s_or_b64 exec, exec, s[18:19]
	s_mov_b64 s[20:21], 0
.LBB33_7:
	s_andn2_b64 vcc, exec, s[20:21]
	s_cbranch_vccnz .LBB33_17
; %bb.8:
	v_cmp_gt_i32_e32 vcc, s16, v0
	s_and_saveexec_b64 s[4:5], vcc
	s_cbranch_execz .LBB33_17
; %bb.9:
	v_mov_b32_e32 v3, 0
	v_ashrrev_i32_e32 v1, 31, v0
	s_cmp_lt_i32 s2, 0
	v_mov_b32_e32 v2, v3
	s_cbranch_scc1 .LBB33_12
; %bb.10:
	s_load_dwordx2 s[4:5], s[0:1], 0x48
	s_load_dword s3, s[0:1], 0x58
	s_ashr_i32 s17, s16, 31
	s_mul_hi_u32 s0, s16, s14
	s_mul_i32 s1, s17, s14
	s_add_i32 s0, s0, s1
	s_mul_i32 s14, s16, s14
	s_waitcnt lgkmcnt(0)
	s_mul_i32 s0, s0, s3
	s_mul_hi_u32 s1, s14, s3
	s_add_i32 s1, s1, s0
	s_mul_i32 s0, s14, s3
	s_lshl_b64 s[0:1], s[0:1], 3
	s_add_u32 s0, s4, s0
	s_addc_u32 s1, s5, s1
	v_mov_b32_e32 v2, 0
	v_lshl_add_u64 v[4:5], v[0:1], 3, s[0:1]
	s_add_i32 s2, s2, 1
	s_lshl_b64 s[0:1], s[16:17], 3
	v_mov_b32_e32 v3, v2
.LBB33_11:                              ; =>This Inner Loop Header: Depth=1
	global_load_dwordx2 v[6:7], v[4:5], off
	s_add_i32 s2, s2, -1
	v_lshl_add_u64 v[4:5], v[4:5], 0, s[0:1]
	s_cmp_eq_u32 s2, 0
	s_waitcnt vmcnt(0)
	v_pk_add_f32 v[2:3], v[2:3], v[6:7]
	s_cbranch_scc0 .LBB33_11
.LBB33_12:
	v_cmp_neq_f32_e64 s[0:1], s10, 0
	v_cmp_neq_f32_e64 s[2:3], s11, 0
	s_or_b64 s[0:1], s[0:1], s[2:3]
	v_pk_mul_f32 v[8:9], v[2:3], s[8:9] op_sel:[1,1] op_sel_hi:[1,0]
	s_andn2_b64 vcc, exec, s[0:1]
	v_pk_fma_f32 v[4:5], v[2:3], s[8:9], v[8:9] op_sel_hi:[0,1,1]
	v_mul_lo_u32 v10, s7, v0
	v_mul_lo_u32 v1, s6, v1
	s_cbranch_vccz .LBB33_14
; %bb.13:
	v_pk_mul_f32 v[12:13], v[2:3], s[8:9]
	v_mad_u64_u32 v[6:7], s[0:1], s6, v0, 0
	v_add3_u32 v7, v7, v1, v10
	v_sub_f32_e32 v4, v12, v8
	s_cbranch_execz .LBB33_15
	s_branch .LBB33_16
.LBB33_14:
                                        ; implicit-def: $vgpr6_vgpr7
.LBB33_15:
	v_mad_u64_u32 v[6:7], s[0:1], s6, v0, 0
	v_add3_u32 v7, v7, v1, v10
	v_lshl_add_u64 v[0:1], v[6:7], 3, s[12:13]
	flat_load_dwordx2 v[0:1], v[0:1]
	v_pk_fma_f32 v[2:3], v[2:3], s[8:9], v[8:9] neg_lo:[0,0,1] neg_hi:[0,0,1]
	s_waitcnt vmcnt(0) lgkmcnt(0)
	v_pk_mul_f32 v[8:9], v[0:1], s[10:11] op_sel:[1,1] op_sel_hi:[1,0]
	s_nop 0
	v_pk_fma_f32 v[10:11], v[0:1], s[10:11], v[8:9] neg_lo:[0,0,1] neg_hi:[0,0,1]
	v_pk_fma_f32 v[0:1], v[0:1], s[10:11], v[8:9] op_sel_hi:[0,1,1]
	v_mov_b32_e32 v11, v1
	v_mov_b32_e32 v3, v5
	v_pk_add_f32 v[4:5], v[2:3], v[10:11]
.LBB33_16:
	v_lshl_add_u64 v[0:1], v[6:7], 3, s[12:13]
	flat_store_dwordx2 v[0:1], v[4:5]
.LBB33_17:
	s_endpgm
	.section	.rodata,"a",@progbits
	.p2align	6, 0x0
	.amdhsa_kernel _ZL36rocblas_hemvn_kernel_upper_block_sumILi64ElPK19rocblas_complex_numIfEPKPS1_S1_EviT1_lS7_lT2_lT0_lPT3_i
		.amdhsa_group_segment_fixed_size 0
		.amdhsa_private_segment_fixed_size 0
		.amdhsa_kernarg_size 344
		.amdhsa_user_sgpr_count 2
		.amdhsa_user_sgpr_dispatch_ptr 0
		.amdhsa_user_sgpr_queue_ptr 0
		.amdhsa_user_sgpr_kernarg_segment_ptr 1
		.amdhsa_user_sgpr_dispatch_id 0
		.amdhsa_user_sgpr_kernarg_preload_length 0
		.amdhsa_user_sgpr_kernarg_preload_offset 0
		.amdhsa_user_sgpr_private_segment_size 0
		.amdhsa_uses_dynamic_stack 0
		.amdhsa_enable_private_segment 0
		.amdhsa_system_sgpr_workgroup_id_x 1
		.amdhsa_system_sgpr_workgroup_id_y 0
		.amdhsa_system_sgpr_workgroup_id_z 1
		.amdhsa_system_sgpr_workgroup_info 0
		.amdhsa_system_vgpr_workitem_id 0
		.amdhsa_next_free_vgpr 14
		.amdhsa_next_free_sgpr 24
		.amdhsa_accum_offset 16
		.amdhsa_reserve_vcc 1
		.amdhsa_float_round_mode_32 0
		.amdhsa_float_round_mode_16_64 0
		.amdhsa_float_denorm_mode_32 3
		.amdhsa_float_denorm_mode_16_64 3
		.amdhsa_dx10_clamp 1
		.amdhsa_ieee_mode 1
		.amdhsa_fp16_overflow 0
		.amdhsa_tg_split 0
		.amdhsa_exception_fp_ieee_invalid_op 0
		.amdhsa_exception_fp_denorm_src 0
		.amdhsa_exception_fp_ieee_div_zero 0
		.amdhsa_exception_fp_ieee_overflow 0
		.amdhsa_exception_fp_ieee_underflow 0
		.amdhsa_exception_fp_ieee_inexact 0
		.amdhsa_exception_int_div_zero 0
	.end_amdhsa_kernel
	.section	.text._ZL36rocblas_hemvn_kernel_upper_block_sumILi64ElPK19rocblas_complex_numIfEPKPS1_S1_EviT1_lS7_lT2_lT0_lPT3_i,"axG",@progbits,_ZL36rocblas_hemvn_kernel_upper_block_sumILi64ElPK19rocblas_complex_numIfEPKPS1_S1_EviT1_lS7_lT2_lT0_lPT3_i,comdat
.Lfunc_end33:
	.size	_ZL36rocblas_hemvn_kernel_upper_block_sumILi64ElPK19rocblas_complex_numIfEPKPS1_S1_EviT1_lS7_lT2_lT0_lPT3_i, .Lfunc_end33-_ZL36rocblas_hemvn_kernel_upper_block_sumILi64ElPK19rocblas_complex_numIfEPKPS1_S1_EviT1_lS7_lT2_lT0_lPT3_i
                                        ; -- End function
	.set _ZL36rocblas_hemvn_kernel_upper_block_sumILi64ElPK19rocblas_complex_numIfEPKPS1_S1_EviT1_lS7_lT2_lT0_lPT3_i.num_vgpr, 14
	.set _ZL36rocblas_hemvn_kernel_upper_block_sumILi64ElPK19rocblas_complex_numIfEPKPS1_S1_EviT1_lS7_lT2_lT0_lPT3_i.num_agpr, 0
	.set _ZL36rocblas_hemvn_kernel_upper_block_sumILi64ElPK19rocblas_complex_numIfEPKPS1_S1_EviT1_lS7_lT2_lT0_lPT3_i.numbered_sgpr, 24
	.set _ZL36rocblas_hemvn_kernel_upper_block_sumILi64ElPK19rocblas_complex_numIfEPKPS1_S1_EviT1_lS7_lT2_lT0_lPT3_i.num_named_barrier, 0
	.set _ZL36rocblas_hemvn_kernel_upper_block_sumILi64ElPK19rocblas_complex_numIfEPKPS1_S1_EviT1_lS7_lT2_lT0_lPT3_i.private_seg_size, 0
	.set _ZL36rocblas_hemvn_kernel_upper_block_sumILi64ElPK19rocblas_complex_numIfEPKPS1_S1_EviT1_lS7_lT2_lT0_lPT3_i.uses_vcc, 1
	.set _ZL36rocblas_hemvn_kernel_upper_block_sumILi64ElPK19rocblas_complex_numIfEPKPS1_S1_EviT1_lS7_lT2_lT0_lPT3_i.uses_flat_scratch, 0
	.set _ZL36rocblas_hemvn_kernel_upper_block_sumILi64ElPK19rocblas_complex_numIfEPKPS1_S1_EviT1_lS7_lT2_lT0_lPT3_i.has_dyn_sized_stack, 0
	.set _ZL36rocblas_hemvn_kernel_upper_block_sumILi64ElPK19rocblas_complex_numIfEPKPS1_S1_EviT1_lS7_lT2_lT0_lPT3_i.has_recursion, 0
	.set _ZL36rocblas_hemvn_kernel_upper_block_sumILi64ElPK19rocblas_complex_numIfEPKPS1_S1_EviT1_lS7_lT2_lT0_lPT3_i.has_indirect_call, 0
	.section	.AMDGPU.csdata,"",@progbits
; Kernel info:
; codeLenInByte = 760
; TotalNumSgprs: 30
; NumVgprs: 14
; NumAgprs: 0
; TotalNumVgprs: 14
; ScratchSize: 0
; MemoryBound: 0
; FloatMode: 240
; IeeeMode: 1
; LDSByteSize: 0 bytes/workgroup (compile time only)
; SGPRBlocks: 3
; VGPRBlocks: 1
; NumSGPRsForWavesPerEU: 30
; NumVGPRsForWavesPerEU: 14
; AccumOffset: 16
; Occupancy: 8
; WaveLimiterHint : 1
; COMPUTE_PGM_RSRC2:SCRATCH_EN: 0
; COMPUTE_PGM_RSRC2:USER_SGPR: 2
; COMPUTE_PGM_RSRC2:TRAP_HANDLER: 0
; COMPUTE_PGM_RSRC2:TGID_X_EN: 1
; COMPUTE_PGM_RSRC2:TGID_Y_EN: 0
; COMPUTE_PGM_RSRC2:TGID_Z_EN: 1
; COMPUTE_PGM_RSRC2:TIDIG_COMP_CNT: 0
; COMPUTE_PGM_RSRC3_GFX90A:ACCUM_OFFSET: 3
; COMPUTE_PGM_RSRC3_GFX90A:TG_SPLIT: 0
	.section	.text._ZL26rocblas_hemvn_kernel_upperILb1ELi64ELi4ELi33ELi32ELi16EiPK19rocblas_complex_numIfEPKS3_PS1_EviT6_lT7_lT5_lS8_lS9_lS7_lT8_i,"axG",@progbits,_ZL26rocblas_hemvn_kernel_upperILb1ELi64ELi4ELi33ELi32ELi16EiPK19rocblas_complex_numIfEPKS3_PS1_EviT6_lT7_lT5_lS8_lS9_lS7_lT8_i,comdat
	.globl	_ZL26rocblas_hemvn_kernel_upperILb1ELi64ELi4ELi33ELi32ELi16EiPK19rocblas_complex_numIfEPKS3_PS1_EviT6_lT7_lT5_lS8_lS9_lS7_lT8_i ; -- Begin function _ZL26rocblas_hemvn_kernel_upperILb1ELi64ELi4ELi33ELi32ELi16EiPK19rocblas_complex_numIfEPKS3_PS1_EviT6_lT7_lT5_lS8_lS9_lS7_lT8_i
	.p2align	8
	.type	_ZL26rocblas_hemvn_kernel_upperILb1ELi64ELi4ELi33ELi32ELi16EiPK19rocblas_complex_numIfEPKS3_PS1_EviT6_lT7_lT5_lS8_lS9_lS7_lT8_i,@function
_ZL26rocblas_hemvn_kernel_upperILb1ELi64ELi4ELi33ELi32ELi16EiPK19rocblas_complex_numIfEPKS3_PS1_EviT6_lT7_lT5_lS8_lS9_lS7_lT8_i: ; @_ZL26rocblas_hemvn_kernel_upperILb1ELi64ELi4ELi33ELi32ELi16EiPK19rocblas_complex_numIfEPKS3_PS1_EviT6_lT7_lT5_lS8_lS9_lS7_lT8_i
; %bb.0:
	s_load_dwordx2 s[4:5], s[0:1], 0x84
	s_add_u32 s12, s0, 0x78
	s_mov_b32 s22, s3
	s_addc_u32 s13, s1, 0
	s_waitcnt lgkmcnt(0)
	s_and_b32 s3, s5, 0xffff
	s_lshr_b32 s5, s4, 16
	s_and_b32 s4, s4, 0xffff
	s_mul_i32 s4, s5, s4
	s_mul_i32 s4, s4, s3
	s_cmpk_lg_i32 s4, 0x100
	s_cbranch_scc1 .LBB34_195
; %bb.1:
	s_load_dwordx8 s[4:11], s[0:1], 0x8
	s_mov_b32 s23, 0
	s_waitcnt lgkmcnt(0)
	s_mul_i32 s3, s7, s22
	s_mul_hi_u32 s7, s6, s22
	s_add_i32 s7, s7, s3
	s_mul_i32 s6, s6, s22
	s_lshl_b64 s[6:7], s[6:7], 3
	s_add_u32 s14, s4, s6
	s_addc_u32 s15, s5, s7
	s_load_dwordx2 s[16:17], s[14:15], 0x0
	s_load_dwordx2 s[24:25], s[0:1], 0x68
	s_load_dwordx4 s[4:7], s[0:1], 0x58
	s_mov_b64 s[14:15], -1
	s_waitcnt lgkmcnt(0)
	s_or_b32 s3, s16, s17
	s_bitset0_b32 s3, 31
	s_cmp_lg_u32 s3, 0
	s_cbranch_scc1 .LBB34_3
; %bb.2:
	s_mul_i32 s3, s7, s22
	s_mul_hi_u32 s7, s6, s22
	s_add_i32 s7, s7, s3
	s_mul_i32 s6, s6, s22
	s_lshl_b64 s[6:7], s[6:7], 3
	s_add_u32 s4, s4, s6
	s_addc_u32 s5, s5, s7
	s_load_dwordx2 s[6:7], s[4:5], 0x0
	s_mov_b64 s[14:15], 0
	s_waitcnt lgkmcnt(0)
	v_cmp_eq_f32_e64 s[4:5], s6, 1.0
	v_cmp_eq_f32_e64 s[6:7], s7, 0
	s_and_b64 s[4:5], s[4:5], s[6:7]
	s_andn2_b64 vcc, exec, s[4:5]
.LBB34_3:
	s_andn2_b64 vcc, exec, s[14:15]
	s_cbranch_vccnz .LBB34_195
; %bb.4:
	s_load_dwordx4 s[4:7], s[0:1], 0x38
	s_load_dword s36, s[0:1], 0x48
	s_lshl_b64 s[14:15], s[22:23], 3
	s_add_u32 s8, s8, s14
	s_addc_u32 s9, s9, s15
	s_waitcnt lgkmcnt(0)
	s_add_u32 s14, s4, s14
	s_addc_u32 s15, s5, s15
	s_load_dwordx2 s[16:17], s[14:15], 0x0
	s_load_dword s23, s[0:1], 0x0
	s_load_dword s3, s[12:13], 0x0
	s_load_dwordx2 s[4:5], s[8:9], 0x0
	s_lshl_b64 s[6:7], s[6:7], 3
	s_waitcnt lgkmcnt(0)
	s_add_u32 s6, s16, s6
	s_addc_u32 s7, s17, s7
	s_ashr_i32 s37, s23, 31
	s_lshr_b32 s9, s37, 26
	v_and_b32_e32 v50, 0x3ff, v0
	s_lshl_b32 s26, s2, 6
	s_add_i32 s9, s23, s9
	s_andn2_b32 s9, s9, 63
	v_add_u32_e32 v48, s26, v50
	v_bfe_u32 v49, v0, 10, 10
	s_add_i32 s8, s3, -1
	s_sub_i32 s33, s23, s9
	v_mul_lo_u32 v0, s36, v48
	s_cmp_eq_u32 s2, s8
	v_ashrrev_i32_e32 v1, 31, v0
	s_cselect_b32 s16, s33, 0
	v_lshl_add_u64 v[14:15], v[0:1], 3, s[6:7]
	v_cmp_eq_u32_e64 s[12:13], 0, v49
	s_and_saveexec_b64 s[6:7], s[12:13]
	s_cbranch_execz .LBB34_9
; %bb.5:
	s_cmp_lg_u32 s16, 0
	s_cselect_b64 s[8:9], -1, 0
	v_cmp_le_i32_e32 vcc, s16, v50
	v_mov_b32_e32 v0, 0x2380
	s_and_b64 s[8:9], s[8:9], vcc
	v_lshl_add_u32 v0, v50, 3, v0
	s_and_saveexec_b64 s[14:15], s[8:9]
	s_xor_b64 s[8:9], exec, s[14:15]
; %bb.6:
	v_mov_b32_e32 v2, 0
	v_mov_b32_e32 v3, v2
	ds_write_b64 v0, v[2:3]
                                        ; implicit-def: $vgpr0
; %bb.7:
	s_andn2_saveexec_b64 s[8:9], s[8:9]
	s_cbranch_execz .LBB34_9
; %bb.8:
	flat_load_dwordx2 v[2:3], v[14:15]
	s_waitcnt vmcnt(0) lgkmcnt(0)
	ds_write_b64 v0, v[2:3]
.LBB34_9:
	s_or_b64 exec, exec, s[6:7]
	s_lshl_b64 s[6:7], s[10:11], 3
	s_load_dword s20, s[0:1], 0x28
	s_add_u32 s4, s4, s6
	s_addc_u32 s5, s5, s7
	s_ashr_i32 s27, s26, 31
	v_lshl_add_u32 v22, v49, 6, v50
	s_lshl_b64 s[0:1], s[26:27], 3
	v_and_b32_e32 v2, 31, v50
	v_lshrrev_b32_e32 v10, 5, v22
	s_add_u32 s0, s4, s0
	s_addc_u32 s1, s5, s1
	s_waitcnt lgkmcnt(0)
	v_mad_u64_u32 v[12:13], s[4:5], s20, v10, v[2:3]
	v_ashrrev_i32_e32 v13, 31, v12
	v_lshl_add_u64 v[0:1], v[12:13], 3, s[0:1]
	s_mul_i32 s0, s20, s26
	s_ashr_i32 s1, s0, 31
	s_cmp_eq_u32 s16, 0
	s_cselect_b64 s[18:19], -1, 0
	s_cmp_lg_u32 s16, 0
	s_cselect_b64 s[28:29], -1, 0
	v_lshl_add_u64 v[6:7], s[0:1], 3, v[0:1]
	s_and_b64 vcc, exec, s[28:29]
	v_cmp_gt_i32_e64 s[0:1], s16, v2
	v_lshlrev_b32_e32 v0, 3, v2
	s_cbranch_vccz .LBB34_25
; %bb.10:
	v_sub_co_u32_e32 v4, vcc, v6, v0
	s_ashr_i32 s17, s16, 31
	s_nop 0
	v_subbrev_co_u32_e32 v5, vcc, 0, v7, vcc
	v_lshl_add_u64 v[4:5], s[16:17], 3, v[4:5]
	v_mov_b32_e32 v8, 0
	v_lshl_add_u64 v[4:5], v[4:5], 0, -8
	v_cndmask_b32_e64 v5, v5, v7, s[0:1]
	v_cndmask_b32_e64 v4, v4, v6, s[0:1]
	v_cmp_gt_i32_e32 vcc, s16, v10
	v_mov_b32_e32 v9, v8
	s_and_saveexec_b64 s[4:5], vcc
	s_cbranch_execz .LBB34_12
; %bb.11:
	flat_load_dwordx2 v[8:9], v[4:5]
.LBB34_12:
	s_or_b64 exec, exec, s[4:5]
	s_movk_i32 s4, 0x108
	v_mad_u32_u24 v3, v10, s4, v0
	v_mul_u32_u24_e32 v1, 0x108, v10
	s_waitcnt vmcnt(0) lgkmcnt(0)
	ds_write_b64 v3, v[8:9]
	v_add_u32_e32 v3, 8, v10
	v_cmp_le_i32_e32 vcc, s16, v3
	v_add_u32_e32 v1, v1, v0
	s_and_saveexec_b64 s[4:5], vcc
	s_xor_b64 s[4:5], exec, s[4:5]
; %bb.13:
	v_mov_b32_e32 v8, 0
	v_mov_b32_e32 v9, v8
	ds_write_b64 v1, v[8:9] offset:2112
; %bb.14:
	s_andn2_saveexec_b64 s[4:5], s[4:5]
	s_cbranch_execz .LBB34_16
; %bb.15:
	s_lshl_b32 s6, s20, 3
	s_ashr_i32 s7, s6, 31
	v_lshl_add_u64 v[8:9], s[6:7], 3, v[4:5]
	flat_load_dwordx2 v[8:9], v[8:9]
	s_waitcnt vmcnt(0) lgkmcnt(0)
	ds_write_b64 v1, v[8:9] offset:2112
.LBB34_16:
	s_or_b64 exec, exec, s[4:5]
	v_add_u32_e32 v3, 16, v10
	v_cmp_le_i32_e32 vcc, s16, v3
	s_and_saveexec_b64 s[4:5], vcc
	s_xor_b64 s[4:5], exec, s[4:5]
; %bb.17:
	v_mov_b32_e32 v8, 0
	v_mov_b32_e32 v9, v8
	ds_write_b64 v1, v[8:9] offset:4224
; %bb.18:
	s_andn2_saveexec_b64 s[4:5], s[4:5]
	s_cbranch_execz .LBB34_20
; %bb.19:
	s_lshl_b32 s6, s20, 4
	s_ashr_i32 s7, s6, 31
	v_lshl_add_u64 v[8:9], s[6:7], 3, v[4:5]
	flat_load_dwordx2 v[8:9], v[8:9]
	s_waitcnt vmcnt(0) lgkmcnt(0)
	ds_write_b64 v1, v[8:9] offset:4224
.LBB34_20:
	s_or_b64 exec, exec, s[4:5]
	v_add_u32_e32 v3, 24, v10
	v_cmp_le_i32_e32 vcc, s16, v3
	s_and_saveexec_b64 s[4:5], vcc
	s_xor_b64 s[4:5], exec, s[4:5]
; %bb.21:
	v_mov_b32_e32 v8, 0
	v_mov_b32_e32 v9, v8
	ds_write_b64 v1, v[8:9] offset:6336
                                        ; implicit-def: $vgpr1
; %bb.22:
	s_andn2_saveexec_b64 s[4:5], s[4:5]
	s_cbranch_execz .LBB34_24
; %bb.23:
	s_mul_i32 s6, s20, 24
	s_ashr_i32 s7, s6, 31
	v_lshl_add_u64 v[8:9], s[6:7], 3, v[4:5]
	flat_load_dwordx2 v[8:9], v[8:9]
	s_waitcnt vmcnt(0) lgkmcnt(0)
	ds_write_b64 v1, v[8:9] offset:6336
.LBB34_24:
	s_or_b64 exec, exec, s[4:5]
	v_mov_b32_e32 v1, 0
	v_lshl_add_u64 v[4:5], v[4:5], 0, v[0:1]
	s_lshl_b64 s[4:5], s[16:17], 3
	v_mov_b32_e32 v1, s5
	v_subrev_co_u32_e32 v4, vcc, s4, v4
	s_nop 1
	v_subb_co_u32_e32 v5, vcc, v5, v1, vcc
	v_lshl_add_u64 v[4:5], v[4:5], 0, 8
	v_cndmask_b32_e64 v5, v5, v7, s[0:1]
	v_cndmask_b32_e64 v4, v4, v6, s[0:1]
	s_branch .LBB34_27
.LBB34_25:
                                        ; implicit-def: $vgpr4_vgpr5
	s_cbranch_execz .LBB34_27
; %bb.26:
	s_lshl_b32 s0, s20, 3
	s_ashr_i32 s1, s0, 31
	s_ashr_i32 s21, s20, 31
	v_lshl_add_u64 v[4:5], s[0:1], 3, v[6:7]
	s_lshl_b64 s[0:1], s[20:21], 6
	v_lshl_add_u64 v[8:9], v[4:5], 0, s[0:1]
	v_lshl_add_u64 v[16:17], v[8:9], 0, s[0:1]
	flat_load_dwordx2 v[18:19], v[6:7]
	flat_load_dwordx2 v[20:21], v[4:5]
	;; [unrolled: 1-line block ×4, first 2 shown]
	v_mul_u32_u24_e32 v1, 0x108, v10
	v_lshl_add_u32 v1, v2, 3, v1
	v_mov_b64_e32 v[4:5], v[6:7]
	s_waitcnt vmcnt(0) lgkmcnt(0)
	ds_write_b64 v1, v[18:19]
	ds_write_b64 v1, v[20:21] offset:2112
	ds_write_b64 v1, v[24:25] offset:4224
	;; [unrolled: 1-line block ×3, first 2 shown]
.LBB34_27:
	v_lshlrev_b32_e32 v11, 2, v10
	v_mul_u32_u24_e32 v3, 0x108, v2
	v_cmp_le_u32_e64 s[4:5], v11, v2
	s_mov_b64 s[0:1], 0
	s_waitcnt lgkmcnt(0)
	s_barrier
                                        ; implicit-def: $vgpr6
	s_and_saveexec_b64 s[6:7], s[4:5]
	s_xor_b64 s[6:7], exec, s[6:7]
	s_cbranch_execz .LBB34_31
; %bb.28:
	v_cmp_eq_u32_e32 vcc, v11, v2
                                        ; implicit-def: $vgpr6
	s_and_saveexec_b64 s[8:9], vcc
	s_xor_b64 s[8:9], exec, s[8:9]
; %bb.29:
	s_mov_b64 s[0:1], exec
	v_add_u32_e32 v6, v0, v3
; %bb.30:
	s_or_b64 exec, exec, s[8:9]
	s_and_b64 s[0:1], s[0:1], exec
.LBB34_31:
	s_or_saveexec_b64 s[6:7], s[6:7]
	v_lshl_or_b32 v1, v2, 8, v0
	v_mov_b32_e32 v7, 0
	v_lshl_add_u32 v1, v11, 3, v1
	s_xor_b64 exec, exec, s[6:7]
	s_cbranch_execz .LBB34_33
; %bb.32:
	s_movk_i32 s8, 0x420
	v_mad_u32_u24 v6, v10, s8, v0
	ds_read_b64 v[6:7], v6
	s_or_b64 s[0:1], s[0:1], exec
	s_waitcnt lgkmcnt(0)
	v_xor_b32_e32 v7, 0x80000000, v7
	ds_write_b32 v1, v6
	v_mov_b32_e32 v6, v1
.LBB34_33:
	s_or_b64 exec, exec, s[6:7]
	s_and_saveexec_b64 s[6:7], s[0:1]
; %bb.34:
	ds_write_b32 v6, v7 offset:4
; %bb.35:
	s_or_b64 exec, exec, s[6:7]
	v_or_b32_e32 v16, 1, v11
	v_cmp_ge_u32_e64 s[6:7], v11, v2
	s_mov_b64 s[0:1], 0
                                        ; implicit-def: $vgpr7
                                        ; implicit-def: $vgpr6
	s_and_saveexec_b64 s[8:9], s[6:7]
	s_xor_b64 s[8:9], exec, s[8:9]
	s_cbranch_execz .LBB34_69
; %bb.36:
	s_movk_i32 s10, 0x108
	v_mad_u32_u24 v6, v16, s10, v0
	ds_read_b64 v[8:9], v6
	s_mov_b64 s[0:1], exec
	v_add_u32_e32 v6, 8, v1
	s_waitcnt lgkmcnt(0)
	v_xor_b32_e32 v7, 0x80000000, v9
	ds_write_b32 v1, v8 offset:8
	s_andn2_saveexec_b64 s[8:9], s[8:9]
	s_cbranch_execnz .LBB34_70
.LBB34_37:
	s_or_b64 exec, exec, s[8:9]
	s_and_saveexec_b64 s[8:9], s[0:1]
.LBB34_38:
	ds_write_b32 v6, v7 offset:4
.LBB34_39:
	s_or_b64 exec, exec, s[8:9]
	v_or_b32_e32 v17, 2, v11
	v_cmp_le_u32_e64 s[8:9], v17, v2
	s_mov_b64 s[0:1], 0
                                        ; implicit-def: $vgpr6
	s_and_saveexec_b64 s[10:11], s[8:9]
	s_xor_b64 s[10:11], exec, s[10:11]
	s_cbranch_execz .LBB34_73
; %bb.40:
	v_cmp_eq_u32_e32 vcc, v17, v2
                                        ; implicit-def: $vgpr6
	s_and_saveexec_b64 s[14:15], vcc
; %bb.41:
	s_mov_b64 s[0:1], exec
	v_add_u32_e32 v6, v0, v3
; %bb.42:
	s_or_b64 exec, exec, s[14:15]
	s_and_b64 s[0:1], s[0:1], exec
	s_or_saveexec_b64 s[10:11], s[10:11]
	v_mov_b32_e32 v7, 0
	s_xor_b64 exec, exec, s[10:11]
	s_cbranch_execnz .LBB34_74
.LBB34_43:
	s_or_b64 exec, exec, s[10:11]
	s_and_saveexec_b64 s[10:11], s[0:1]
.LBB34_44:
	ds_write_b32 v6, v7 offset:4
.LBB34_45:
	s_or_b64 exec, exec, s[10:11]
	v_or_b32_e32 v18, 3, v11
	v_cmp_le_u32_e64 s[10:11], v18, v2
	s_mov_b64 s[0:1], 0
                                        ; implicit-def: $vgpr6
	s_and_saveexec_b64 s[14:15], s[10:11]
	s_xor_b64 s[14:15], exec, s[14:15]
	s_cbranch_execz .LBB34_75
; %bb.46:
	v_cmp_eq_u32_e32 vcc, v18, v2
                                        ; implicit-def: $vgpr6
	s_and_saveexec_b64 s[30:31], vcc
; %bb.47:
	s_mov_b64 s[0:1], exec
	v_add_u32_e32 v6, v0, v3
; %bb.48:
	s_or_b64 exec, exec, s[30:31]
	s_and_b64 s[0:1], s[0:1], exec
                                        ; implicit-def: $vgpr1
	s_or_saveexec_b64 s[14:15], s[14:15]
	v_mov_b32_e32 v7, 0
	s_xor_b64 exec, exec, s[14:15]
	s_cbranch_execnz .LBB34_76
.LBB34_49:
	s_or_b64 exec, exec, s[14:15]
	s_and_saveexec_b64 s[14:15], s[0:1]
.LBB34_50:
	ds_write_b32 v6, v7 offset:4
.LBB34_51:
	s_or_b64 exec, exec, s[14:15]
	s_movk_i32 s0, 0x420
	v_mad_u32_u24 v1, v10, s0, v0
	s_movk_i32 s0, 0x108
	v_mad_u32_u24 v25, v16, s0, v0
	s_waitcnt lgkmcnt(0)
	s_barrier
	v_lshlrev_b32_e32 v19, 3, v11
	ds_read2_b64 v[6:9], v25 offset1:33
	ds_read_b64 v[20:21], v1
	ds_read_b128 v[26:29], v19 offset:9088
	ds_read_b64 v[34:35], v25 offset:528
	ds_read_b128 v[30:33], v19 offset:9104
	v_mul_u32_u24_e32 v23, 33, v2
	v_lshlrev_b32_e32 v23, 3, v23
	v_mov_b32_e32 v52, 0
	s_waitcnt lgkmcnt(2)
	v_pk_mul_f32 v[36:37], v[26:27], v[20:21] op_sel:[1,1] op_sel_hi:[0,1]
	v_pk_fma_f32 v[38:39], v[26:27], v[20:21], v[36:37] neg_lo:[0,0,1] neg_hi:[0,0,1]
	v_pk_fma_f32 v[20:21], v[26:27], v[20:21], v[36:37] op_sel_hi:[1,0,1]
	v_pk_mul_f32 v[26:27], v[28:29], v[6:7] op_sel:[1,1] op_sel_hi:[0,1]
	v_mov_b32_e32 v39, v21
	v_pk_fma_f32 v[36:37], v[28:29], v[6:7], v[26:27] neg_lo:[0,0,1] neg_hi:[0,0,1]
	v_pk_fma_f32 v[6:7], v[28:29], v[6:7], v[26:27] op_sel_hi:[1,0,1]
	v_pk_add_f32 v[20:21], v[38:39], 0 op_sel_hi:[1,0]
	v_mov_b32_e32 v37, v7
	v_pk_add_f32 v[6:7], v[20:21], v[36:37]
	s_waitcnt lgkmcnt(0)
	v_pk_mul_f32 v[20:21], v[30:31], v[8:9] op_sel:[1,1] op_sel_hi:[0,1]
	v_pk_fma_f32 v[26:27], v[30:31], v[8:9], v[20:21] neg_lo:[0,0,1] neg_hi:[0,0,1]
	v_pk_fma_f32 v[8:9], v[30:31], v[8:9], v[20:21] op_sel_hi:[1,0,1]
	v_lshl_add_u32 v24, v10, 3, v23
	v_mov_b32_e32 v27, v9
	v_pk_mul_f32 v[8:9], v[32:33], v[34:35] op_sel:[1,1] op_sel_hi:[0,1]
	v_pk_fma_f32 v[20:21], v[32:33], v[34:35], v[8:9] neg_lo:[0,0,1] neg_hi:[0,0,1]
	v_pk_fma_f32 v[8:9], v[32:33], v[34:35], v[8:9] op_sel_hi:[1,0,1]
	v_pk_add_f32 v[6:7], v[6:7], v[26:27]
	v_mov_b32_e32 v21, v9
	v_mov_b32_e32 v53, v52
	v_pk_add_f32 v[6:7], v[6:7], v[20:21]
	v_cmp_gt_u32_e64 s[0:1], 32, v22
	s_barrier
	ds_write_b64 v24, v[6:7]
	s_waitcnt lgkmcnt(0)
	s_barrier
	s_and_saveexec_b64 s[14:15], s[0:1]
	s_cbranch_execz .LBB34_53
; %bb.52:
	ds_read2_b64 v[6:9], v23 offset1:7
	ds_read2_b64 v[26:29], v23 offset0:1 offset1:2
	ds_read2_b64 v[30:33], v23 offset0:3 offset1:4
	s_waitcnt lgkmcnt(1)
	v_add_f32_e32 v1, v26, v6
	v_add_f32_e32 v6, v27, v7
	;; [unrolled: 1-line block ×4, first 2 shown]
	ds_read2_b64 v[26:29], v23 offset0:5 offset1:6
	s_waitcnt lgkmcnt(1)
	v_add_f32_e32 v1, v1, v30
	v_add_f32_e32 v6, v6, v31
	;; [unrolled: 1-line block ×4, first 2 shown]
	s_waitcnt lgkmcnt(0)
	v_add_f32_e32 v1, v1, v26
	v_add_f32_e32 v7, v6, v27
	;; [unrolled: 1-line block ×4, first 2 shown]
	v_pk_add_f32 v[52:53], v[6:7], v[8:9]
.LBB34_53:
	s_or_b64 exec, exec, s[14:15]
	s_lshl_b32 s30, s20, 5
	s_ashr_i32 s31, s30, 31
	v_lshl_add_u64 v[8:9], s[30:31], 3, v[4:5]
	s_mov_b64 s[14:15], 0x100
	v_lshl_add_u64 v[6:7], v[8:9], 0, s[14:15]
	s_and_b64 vcc, exec, s[28:29]
	s_barrier
	s_cbranch_vccz .LBB34_77
; %bb.54:
	v_sub_co_u32_e32 v4, vcc, v8, v0
	s_ashr_i32 s17, s16, 31
	s_nop 0
	v_subbrev_co_u32_e32 v5, vcc, 0, v9, vcc
	v_or_b32_e32 v1, 32, v2
	v_lshl_add_u64 v[4:5], s[16:17], 3, v[4:5]
	v_mov_b32_e32 v20, 0
	v_lshl_add_u64 v[4:5], v[4:5], 0, -8
	v_cmp_gt_i32_e32 vcc, s16, v1
	s_sub_i32 s21, s16, 32
	v_cmp_gt_i32_e64 s[14:15], s21, v10
	v_cndmask_b32_e32 v5, v5, v7, vcc
	v_cndmask_b32_e32 v4, v4, v6, vcc
	v_mov_b32_e32 v21, v20
	s_and_saveexec_b64 s[34:35], s[14:15]
	s_cbranch_execz .LBB34_56
; %bb.55:
	flat_load_dwordx2 v[20:21], v[4:5]
.LBB34_56:
	s_or_b64 exec, exec, s[34:35]
	s_movk_i32 s14, 0x108
	v_mad_u32_u24 v25, v10, s14, v0
	v_mul_u32_u24_e32 v1, 0x108, v10
	s_waitcnt vmcnt(0) lgkmcnt(0)
	ds_write_b64 v25, v[20:21]
	v_add_u32_e32 v20, 8, v10
	v_cmp_le_i32_e64 s[14:15], s21, v20
	v_add_u32_e32 v1, v1, v0
	s_and_saveexec_b64 s[34:35], s[14:15]
	s_xor_b64 s[14:15], exec, s[34:35]
; %bb.57:
	v_mov_b32_e32 v20, 0
	v_mov_b32_e32 v21, v20
	ds_write_b64 v1, v[20:21] offset:2112
; %bb.58:
	s_andn2_saveexec_b64 s[14:15], s[14:15]
	s_cbranch_execz .LBB34_60
; %bb.59:
	s_lshl_b32 s34, s20, 3
	s_ashr_i32 s35, s34, 31
	v_lshl_add_u64 v[20:21], s[34:35], 3, v[4:5]
	flat_load_dwordx2 v[20:21], v[20:21]
	s_waitcnt vmcnt(0) lgkmcnt(0)
	ds_write_b64 v1, v[20:21] offset:2112
.LBB34_60:
	s_or_b64 exec, exec, s[14:15]
	v_add_u32_e32 v20, 16, v10
	v_cmp_le_i32_e64 s[14:15], s21, v20
	s_and_saveexec_b64 s[34:35], s[14:15]
	s_xor_b64 s[14:15], exec, s[34:35]
; %bb.61:
	v_mov_b32_e32 v20, 0
	v_mov_b32_e32 v21, v20
	ds_write_b64 v1, v[20:21] offset:4224
; %bb.62:
	s_andn2_saveexec_b64 s[14:15], s[14:15]
	s_cbranch_execz .LBB34_64
; %bb.63:
	s_lshl_b32 s34, s20, 4
	s_ashr_i32 s35, s34, 31
	v_lshl_add_u64 v[20:21], s[34:35], 3, v[4:5]
	flat_load_dwordx2 v[20:21], v[20:21]
	s_waitcnt vmcnt(0) lgkmcnt(0)
	ds_write_b64 v1, v[20:21] offset:4224
.LBB34_64:
	s_or_b64 exec, exec, s[14:15]
	v_add_u32_e32 v20, 24, v10
	v_cmp_le_i32_e64 s[14:15], s21, v20
	s_and_saveexec_b64 s[34:35], s[14:15]
	s_xor_b64 s[14:15], exec, s[34:35]
; %bb.65:
	v_mov_b32_e32 v20, 0
	v_mov_b32_e32 v21, v20
	ds_write_b64 v1, v[20:21] offset:6336
                                        ; implicit-def: $vgpr1
; %bb.66:
	s_andn2_saveexec_b64 s[14:15], s[14:15]
	s_cbranch_execz .LBB34_68
; %bb.67:
	s_mul_i32 s34, s20, 24
	s_ashr_i32 s35, s34, 31
	v_lshl_add_u64 v[20:21], s[34:35], 3, v[4:5]
	flat_load_dwordx2 v[20:21], v[20:21]
	s_waitcnt vmcnt(0) lgkmcnt(0)
	ds_write_b64 v1, v[20:21] offset:6336
.LBB34_68:
	s_or_b64 exec, exec, s[14:15]
	v_mov_b32_e32 v1, 0
	v_lshl_add_u64 v[4:5], v[4:5], 0, v[0:1]
	s_lshl_b64 s[14:15], s[16:17], 3
	v_mov_b32_e32 v1, s15
	v_subrev_co_u32_e64 v4, s[14:15], s14, v4
	s_nop 1
	v_subb_co_u32_e64 v5, s[14:15], v5, v1, s[14:15]
	s_mov_b64 s[14:15], 0x108
	s_nop 0
	v_lshl_add_u64 v[4:5], v[4:5], 0, s[14:15]
	v_cndmask_b32_e32 v5, v5, v7, vcc
	v_cndmask_b32_e32 v4, v4, v6, vcc
	s_branch .LBB34_79
.LBB34_69:
	s_andn2_saveexec_b64 s[8:9], s[8:9]
	s_cbranch_execz .LBB34_37
.LBB34_70:
	v_cmp_eq_u32_e32 vcc, v16, v2
	s_mov_b64 s[10:11], s[0:1]
                                        ; implicit-def: $vgpr6
	s_and_saveexec_b64 s[14:15], vcc
; %bb.71:
	v_add_u32_e32 v6, v0, v3
	s_or_b64 s[10:11], s[0:1], exec
; %bb.72:
	s_or_b64 exec, exec, s[14:15]
	s_andn2_b64 s[0:1], s[0:1], exec
	s_and_b64 s[10:11], s[10:11], exec
	v_mov_b32_e32 v7, 0
	s_or_b64 s[0:1], s[0:1], s[10:11]
	s_or_b64 exec, exec, s[8:9]
	s_and_saveexec_b64 s[8:9], s[0:1]
	s_cbranch_execnz .LBB34_38
	s_branch .LBB34_39
.LBB34_73:
	s_or_saveexec_b64 s[10:11], s[10:11]
	v_mov_b32_e32 v7, 0
	s_xor_b64 exec, exec, s[10:11]
	s_cbranch_execz .LBB34_43
.LBB34_74:
	s_movk_i32 s14, 0x108
	v_mad_u32_u24 v6, v17, s14, v0
	ds_read_b64 v[8:9], v6
	v_add_u32_e32 v6, 16, v1
	s_or_b64 s[0:1], s[0:1], exec
	s_waitcnt lgkmcnt(0)
	v_xor_b32_e32 v7, 0x80000000, v9
	ds_write_b32 v1, v8 offset:16
	s_or_b64 exec, exec, s[10:11]
	s_and_saveexec_b64 s[10:11], s[0:1]
	s_cbranch_execnz .LBB34_44
	s_branch .LBB34_45
.LBB34_75:
	s_or_saveexec_b64 s[14:15], s[14:15]
	v_mov_b32_e32 v7, 0
	s_xor_b64 exec, exec, s[14:15]
	s_cbranch_execz .LBB34_49
.LBB34_76:
	s_movk_i32 s17, 0x108
	v_mad_u32_u24 v6, v18, s17, v0
	ds_read_b64 v[8:9], v6
	v_add_u32_e32 v6, 24, v1
	s_or_b64 s[0:1], s[0:1], exec
	s_waitcnt lgkmcnt(0)
	v_xor_b32_e32 v7, 0x80000000, v9
	ds_write_b32 v1, v8 offset:24
	s_or_b64 exec, exec, s[14:15]
	s_and_saveexec_b64 s[14:15], s[0:1]
	s_cbranch_execnz .LBB34_50
	s_branch .LBB34_51
.LBB34_77:
                                        ; implicit-def: $vgpr4_vgpr5
	s_cbranch_execz .LBB34_79
; %bb.78:
	s_lshl_b32 s14, s20, 3
	s_ashr_i32 s15, s14, 31
	s_ashr_i32 s21, s20, 31
	v_lshl_add_u64 v[4:5], s[14:15], 3, v[8:9]
	s_lshl_b64 s[14:15], s[20:21], 6
	v_lshl_add_u64 v[20:21], v[4:5], 0, s[14:15]
	v_lshl_add_u64 v[26:27], v[20:21], 0, s[14:15]
	flat_load_dwordx2 v[28:29], v[8:9] offset:256
	flat_load_dwordx2 v[30:31], v[4:5] offset:256
	flat_load_dwordx2 v[32:33], v[20:21] offset:256
	flat_load_dwordx2 v[34:35], v[26:27] offset:256
	s_movk_i32 s14, 0x108
	v_mad_u32_u24 v1, v10, s14, v0
	v_mov_b64_e32 v[4:5], v[6:7]
	s_waitcnt vmcnt(0) lgkmcnt(0)
	ds_write_b64 v1, v[28:29]
	ds_write_b64 v1, v[30:31] offset:2112
	ds_write_b64 v1, v[32:33] offset:4224
	;; [unrolled: 1-line block ×3, first 2 shown]
.LBB34_79:
	v_mul_u32_u24_e32 v1, 0x420, v10
	s_mov_b64 s[14:15], 0
	s_waitcnt lgkmcnt(0)
	s_barrier
                                        ; implicit-def: $vgpr7
	s_and_saveexec_b64 s[34:35], s[4:5]
	s_xor_b64 s[4:5], exec, s[34:35]
	s_cbranch_execz .LBB34_83
; %bb.80:
	v_cmp_eq_u32_e32 vcc, v11, v2
                                        ; implicit-def: $vgpr7
	s_and_saveexec_b64 s[34:35], vcc
	s_xor_b64 s[34:35], exec, s[34:35]
; %bb.81:
	s_mov_b64 s[14:15], exec
	v_add_u32_e32 v7, v0, v3
; %bb.82:
	s_or_b64 exec, exec, s[34:35]
	s_and_b64 s[14:15], s[14:15], exec
.LBB34_83:
	s_or_saveexec_b64 s[4:5], s[4:5]
	v_mov_b32_e32 v8, 0
	v_add_u32_e32 v6, v0, v1
	v_lshl_add_u32 v1, v11, 3, v23
	s_xor_b64 exec, exec, s[4:5]
	s_cbranch_execz .LBB34_85
; %bb.84:
	ds_read_b64 v[20:21], v6
	s_or_b64 s[14:15], s[14:15], exec
	v_mov_b32_e32 v7, v1
	s_waitcnt lgkmcnt(0)
	v_xor_b32_e32 v8, 0x80000000, v21
	ds_write_b32 v1, v20
.LBB34_85:
	s_or_b64 exec, exec, s[4:5]
	v_mul_u32_u24_e32 v9, 0x108, v16
	s_and_saveexec_b64 s[4:5], s[14:15]
; %bb.86:
	ds_write_b32 v7, v8 offset:4
; %bb.87:
	s_or_b64 exec, exec, s[4:5]
	s_mov_b64 s[4:5], 0
	v_add_u32_e32 v7, v0, v9
                                        ; implicit-def: $vgpr9
                                        ; implicit-def: $vgpr8
	s_and_saveexec_b64 s[14:15], s[6:7]
	s_xor_b64 s[6:7], exec, s[14:15]
	s_cbranch_execz .LBB34_121
; %bb.88:
	ds_read_b64 v[20:21], v7
	s_mov_b64 s[4:5], exec
	v_add_u32_e32 v8, 8, v1
                                        ; implicit-def: $vgpr16
	s_waitcnt lgkmcnt(0)
	v_xor_b32_e32 v9, 0x80000000, v21
	ds_write_b32 v1, v20 offset:8
	s_andn2_saveexec_b64 s[6:7], s[6:7]
	s_cbranch_execnz .LBB34_122
.LBB34_89:
	s_or_b64 exec, exec, s[6:7]
	s_and_saveexec_b64 s[6:7], s[4:5]
.LBB34_90:
	ds_write_b32 v8, v9 offset:4
.LBB34_91:
	s_or_b64 exec, exec, s[6:7]
	s_mov_b64 s[4:5], 0
                                        ; implicit-def: $vgpr8
	s_and_saveexec_b64 s[6:7], s[8:9]
	s_xor_b64 s[6:7], exec, s[6:7]
	s_cbranch_execz .LBB34_125
; %bb.92:
	v_cmp_eq_u32_e32 vcc, v17, v2
                                        ; implicit-def: $vgpr8
	s_and_saveexec_b64 s[8:9], vcc
; %bb.93:
	s_mov_b64 s[4:5], exec
	v_add_u32_e32 v8, v0, v3
; %bb.94:
	s_or_b64 exec, exec, s[8:9]
	s_and_b64 s[4:5], s[4:5], exec
	s_or_saveexec_b64 s[6:7], s[6:7]
	v_mov_b32_e32 v9, 0
	s_xor_b64 exec, exec, s[6:7]
	s_cbranch_execnz .LBB34_126
.LBB34_95:
	s_or_b64 exec, exec, s[6:7]
	s_and_saveexec_b64 s[6:7], s[4:5]
.LBB34_96:
	ds_write_b32 v8, v9 offset:4
.LBB34_97:
	s_or_b64 exec, exec, s[6:7]
	s_mov_b64 s[4:5], 0
                                        ; implicit-def: $vgpr8
	s_and_saveexec_b64 s[6:7], s[10:11]
	s_xor_b64 s[6:7], exec, s[6:7]
	s_cbranch_execz .LBB34_127
; %bb.98:
	v_cmp_eq_u32_e32 vcc, v18, v2
                                        ; implicit-def: $vgpr8
	s_and_saveexec_b64 s[8:9], vcc
; %bb.99:
	s_mov_b64 s[4:5], exec
	v_add_u32_e32 v8, v0, v3
; %bb.100:
	s_or_b64 exec, exec, s[8:9]
	s_and_b64 s[4:5], s[4:5], exec
                                        ; implicit-def: $vgpr1
	s_or_saveexec_b64 s[6:7], s[6:7]
	v_mov_b32_e32 v3, 0
	s_xor_b64 exec, exec, s[6:7]
	s_cbranch_execnz .LBB34_128
.LBB34_101:
	s_or_b64 exec, exec, s[6:7]
	v_add_u32_e32 v25, 0x2380, v19
	s_and_saveexec_b64 s[6:7], s[4:5]
.LBB34_102:
	ds_write_b32 v8, v3 offset:4
.LBB34_103:
	s_or_b64 exec, exec, s[6:7]
	s_waitcnt lgkmcnt(0)
	s_barrier
	ds_read_b64 v[8:9], v6
	ds_read_b128 v[16:19], v25 offset:256
	ds_read2_b64 v[26:29], v7 offset1:33
	ds_read_b64 v[20:21], v7 offset:528
	ds_read_b128 v[30:33], v25 offset:272
	v_cmp_eq_u32_e64 s[4:5], 1, v10
	s_waitcnt lgkmcnt(3)
	v_pk_mul_f32 v[34:35], v[16:17], v[8:9] op_sel:[1,1] op_sel_hi:[0,1]
	v_pk_fma_f32 v[36:37], v[16:17], v[8:9], v[34:35] neg_lo:[0,0,1] neg_hi:[0,0,1]
	v_pk_fma_f32 v[8:9], v[16:17], v[8:9], v[34:35] op_sel_hi:[1,0,1]
	s_waitcnt lgkmcnt(2)
	v_pk_mul_f32 v[16:17], v[18:19], v[26:27] op_sel:[1,1] op_sel_hi:[0,1]
	v_pk_fma_f32 v[34:35], v[18:19], v[26:27], v[16:17] neg_lo:[0,0,1] neg_hi:[0,0,1]
	v_pk_fma_f32 v[16:17], v[18:19], v[26:27], v[16:17] op_sel_hi:[1,0,1]
	v_mov_b32_e32 v37, v9
	v_mov_b32_e32 v35, v17
	s_waitcnt lgkmcnt(0)
	v_pk_mul_f32 v[16:17], v[30:31], v[28:29] op_sel:[1,1] op_sel_hi:[0,1]
	v_pk_add_f32 v[8:9], v[36:37], 0 op_sel_hi:[1,0]
	v_pk_fma_f32 v[18:19], v[30:31], v[28:29], v[16:17] neg_lo:[0,0,1] neg_hi:[0,0,1]
	v_pk_fma_f32 v[16:17], v[30:31], v[28:29], v[16:17] op_sel_hi:[1,0,1]
	v_pk_add_f32 v[8:9], v[8:9], v[34:35]
	v_mov_b32_e32 v19, v17
	v_pk_mul_f32 v[16:17], v[32:33], v[20:21] op_sel:[1,1] op_sel_hi:[0,1]
	v_pk_add_f32 v[8:9], v[8:9], v[18:19]
	v_pk_fma_f32 v[18:19], v[32:33], v[20:21], v[16:17] neg_lo:[0,0,1] neg_hi:[0,0,1]
	v_pk_fma_f32 v[16:17], v[32:33], v[20:21], v[16:17] op_sel_hi:[1,0,1]
	s_nop 0
	v_mov_b32_e32 v19, v17
	v_pk_add_f32 v[8:9], v[8:9], v[18:19]
	s_barrier
	ds_write_b64 v24, v[8:9]
	s_waitcnt lgkmcnt(0)
	s_barrier
	s_and_saveexec_b64 s[6:7], s[4:5]
	s_cbranch_execz .LBB34_105
; %bb.104:
	ds_read2_b64 v[16:19], v23 offset1:7
	ds_read2_b64 v[26:29], v23 offset0:1 offset1:2
	ds_read2_b64 v[30:33], v23 offset0:3 offset1:4
	s_waitcnt lgkmcnt(1)
	v_add_f32_e32 v1, v26, v16
	v_add_f32_e32 v3, v27, v17
	;; [unrolled: 1-line block ×4, first 2 shown]
	ds_read2_b64 v[26:29], v23 offset0:5 offset1:6
	s_waitcnt lgkmcnt(1)
	v_add_f32_e32 v1, v1, v30
	v_add_f32_e32 v3, v3, v31
	;; [unrolled: 1-line block ×4, first 2 shown]
	s_waitcnt lgkmcnt(0)
	v_add_f32_e32 v8, v1, v26
	v_add_f32_e32 v9, v3, v27
	v_pk_add_f32 v[8:9], v[8:9], v[28:29]
	s_nop 0
	v_pk_add_f32 v[52:53], v[8:9], v[18:19]
.LBB34_105:
	s_or_b64 exec, exec, s[6:7]
	s_movk_i32 s6, 0xff00
	s_mov_b32 s7, -1
	v_lshl_add_u64 v[4:5], v[4:5], 0, s[6:7]
	s_and_b64 vcc, exec, s[28:29]
	s_barrier
	s_cbranch_vccz .LBB34_129
; %bb.106:
	v_sub_co_u32_e32 v16, vcc, v4, v0
	s_ashr_i32 s17, s16, 31
	s_nop 0
	v_subbrev_co_u32_e32 v17, vcc, 0, v5, vcc
	v_lshl_add_u64 v[16:17], s[16:17], 3, v[16:17]
	v_mov_b32_e32 v8, 0
	v_lshl_add_u64 v[16:17], v[16:17], 0, -8
	v_cmp_gt_i32_e32 vcc, s16, v2
	s_sub_i32 s10, s16, 32
	v_cmp_gt_i32_e64 s[6:7], s10, v10
	v_cndmask_b32_e32 v3, v17, v5, vcc
	v_cndmask_b32_e32 v2, v16, v4, vcc
	v_mov_b32_e32 v9, v8
	s_and_saveexec_b64 s[8:9], s[6:7]
	s_cbranch_execz .LBB34_108
; %bb.107:
	flat_load_dwordx2 v[8:9], v[2:3]
.LBB34_108:
	s_or_b64 exec, exec, s[8:9]
	s_movk_i32 s6, 0x108
	v_mad_u32_u24 v11, v10, s6, v0
	v_mul_u32_u24_e32 v1, 0x108, v10
	s_waitcnt vmcnt(0) lgkmcnt(0)
	ds_write_b64 v11, v[8:9]
	v_add_u32_e32 v8, 8, v10
	v_cmp_le_i32_e64 s[6:7], s10, v8
	v_add_u32_e32 v1, v1, v0
	s_and_saveexec_b64 s[8:9], s[6:7]
	s_xor_b64 s[6:7], exec, s[8:9]
; %bb.109:
	v_mov_b32_e32 v16, 0
	v_mov_b32_e32 v17, v16
	ds_write_b64 v1, v[16:17] offset:2112
; %bb.110:
	s_andn2_saveexec_b64 s[6:7], s[6:7]
	s_cbranch_execz .LBB34_112
; %bb.111:
	s_lshl_b32 s8, s20, 3
	s_ashr_i32 s9, s8, 31
	v_lshl_add_u64 v[16:17], s[8:9], 3, v[2:3]
	flat_load_dwordx2 v[16:17], v[16:17]
	s_waitcnt vmcnt(0) lgkmcnt(0)
	ds_write_b64 v1, v[16:17] offset:2112
.LBB34_112:
	s_or_b64 exec, exec, s[6:7]
	v_add_u32_e32 v9, 16, v10
	v_cmp_le_i32_e64 s[6:7], s10, v9
	s_and_saveexec_b64 s[8:9], s[6:7]
	s_xor_b64 s[6:7], exec, s[8:9]
; %bb.113:
	v_mov_b32_e32 v16, 0
	v_mov_b32_e32 v17, v16
	ds_write_b64 v1, v[16:17] offset:4224
; %bb.114:
	s_andn2_saveexec_b64 s[6:7], s[6:7]
	s_cbranch_execz .LBB34_116
; %bb.115:
	s_lshl_b32 s8, s20, 4
	s_ashr_i32 s9, s8, 31
	v_lshl_add_u64 v[16:17], s[8:9], 3, v[2:3]
	flat_load_dwordx2 v[16:17], v[16:17]
	s_waitcnt vmcnt(0) lgkmcnt(0)
	ds_write_b64 v1, v[16:17] offset:4224
.LBB34_116:
	s_or_b64 exec, exec, s[6:7]
	v_add_u32_e32 v11, 24, v10
	v_cmp_le_i32_e64 s[6:7], s10, v11
	s_and_saveexec_b64 s[8:9], s[6:7]
	s_xor_b64 s[6:7], exec, s[8:9]
; %bb.117:
	v_mov_b32_e32 v16, 0
	v_mov_b32_e32 v17, v16
	ds_write_b64 v1, v[16:17] offset:6336
                                        ; implicit-def: $vgpr1
; %bb.118:
	s_andn2_saveexec_b64 s[6:7], s[6:7]
	s_cbranch_execz .LBB34_120
; %bb.119:
	s_mul_i32 s8, s20, 24
	s_ashr_i32 s9, s8, 31
	v_lshl_add_u64 v[16:17], s[8:9], 3, v[2:3]
	flat_load_dwordx2 v[16:17], v[16:17]
	s_waitcnt vmcnt(0) lgkmcnt(0)
	ds_write_b64 v1, v[16:17] offset:6336
.LBB34_120:
	s_or_b64 exec, exec, s[6:7]
	v_mov_b32_e32 v1, 0
	v_lshl_add_u64 v[2:3], v[2:3], 0, v[0:1]
	s_lshl_b64 s[6:7], s[16:17], 3
	v_mov_b32_e32 v1, s7
	v_subrev_co_u32_e64 v2, s[6:7], s6, v2
	s_nop 1
	v_subb_co_u32_e64 v3, s[6:7], v3, v1, s[6:7]
	v_lshl_add_u64 v[2:3], v[2:3], 0, 8
	v_cndmask_b32_e32 v17, v3, v5, vcc
	v_cndmask_b32_e32 v16, v2, v4, vcc
	s_branch .LBB34_131
.LBB34_121:
	s_andn2_saveexec_b64 s[6:7], s[6:7]
	s_cbranch_execz .LBB34_89
.LBB34_122:
	v_cmp_eq_u32_e32 vcc, v16, v2
	s_mov_b64 s[14:15], s[4:5]
                                        ; implicit-def: $vgpr8
	s_and_saveexec_b64 s[34:35], vcc
; %bb.123:
	v_add_u32_e32 v8, v0, v3
	s_or_b64 s[14:15], s[4:5], exec
; %bb.124:
	s_or_b64 exec, exec, s[34:35]
	s_andn2_b64 s[4:5], s[4:5], exec
	s_and_b64 s[14:15], s[14:15], exec
	v_mov_b32_e32 v9, 0
	s_or_b64 s[4:5], s[4:5], s[14:15]
	s_or_b64 exec, exec, s[6:7]
	s_and_saveexec_b64 s[6:7], s[4:5]
	s_cbranch_execnz .LBB34_90
	s_branch .LBB34_91
.LBB34_125:
	s_or_saveexec_b64 s[6:7], s[6:7]
	v_mov_b32_e32 v9, 0
	s_xor_b64 exec, exec, s[6:7]
	s_cbranch_execz .LBB34_95
.LBB34_126:
	ds_read_b64 v[16:17], v7 offset:264
	v_add_u32_e32 v8, 16, v1
	s_or_b64 s[4:5], s[4:5], exec
	s_waitcnt lgkmcnt(0)
	v_xor_b32_e32 v9, 0x80000000, v17
	ds_write_b32 v1, v16 offset:16
	s_or_b64 exec, exec, s[6:7]
	s_and_saveexec_b64 s[6:7], s[4:5]
	s_cbranch_execnz .LBB34_96
	s_branch .LBB34_97
.LBB34_127:
	s_or_saveexec_b64 s[6:7], s[6:7]
	v_mov_b32_e32 v3, 0
	s_xor_b64 exec, exec, s[6:7]
	s_cbranch_execz .LBB34_101
.LBB34_128:
	ds_read_b64 v[16:17], v7 offset:528
	v_add_u32_e32 v8, 24, v1
	s_or_b64 s[4:5], s[4:5], exec
	s_waitcnt lgkmcnt(0)
	v_xor_b32_e32 v3, 0x80000000, v17
	ds_write_b32 v1, v16 offset:24
	s_or_b64 exec, exec, s[6:7]
	v_add_u32_e32 v25, 0x2380, v19
	s_and_saveexec_b64 s[6:7], s[4:5]
	s_cbranch_execnz .LBB34_102
	s_branch .LBB34_103
.LBB34_129:
                                        ; implicit-def: $vgpr16_vgpr17
                                        ; implicit-def: $vgpr8
                                        ; implicit-def: $vgpr9
                                        ; implicit-def: $vgpr11
	s_cbranch_execz .LBB34_131
; %bb.130:
	s_lshl_b32 s6, s20, 3
	s_ashr_i32 s7, s6, 31
	s_ashr_i32 s21, s20, 31
	v_lshl_add_u64 v[2:3], s[6:7], 3, v[4:5]
	s_lshl_b64 s[6:7], s[20:21], 6
	v_lshl_add_u64 v[8:9], v[2:3], 0, s[6:7]
	v_lshl_add_u64 v[16:17], v[8:9], 0, s[6:7]
	flat_load_dwordx2 v[18:19], v[4:5]
	flat_load_dwordx2 v[20:21], v[2:3]
	;; [unrolled: 1-line block ×4, first 2 shown]
	s_movk_i32 s6, 0x108
	v_add_u32_e32 v8, 8, v10
	v_add_u32_e32 v9, 16, v10
	;; [unrolled: 1-line block ×3, first 2 shown]
	v_mad_u32_u24 v0, v10, s6, v0
	v_mov_b64_e32 v[16:17], v[4:5]
	s_waitcnt vmcnt(0) lgkmcnt(0)
	ds_write_b64 v0, v[18:19]
	ds_write_b64 v0, v[20:21] offset:2112
	ds_write_b64 v0, v[26:27] offset:4224
	;; [unrolled: 1-line block ×3, first 2 shown]
.LBB34_131:
	v_lshlrev_b32_e32 v4, 3, v10
	v_lshlrev_b32_e32 v8, 3, v8
	;; [unrolled: 1-line block ×4, first 2 shown]
	v_add_u32_e32 v5, v23, v4
	v_add_u32_e32 v10, v23, v8
	;; [unrolled: 1-line block ×4, first 2 shown]
	s_waitcnt lgkmcnt(0)
	s_barrier
	ds_read2_b64 v[0:3], v7 offset1:33
	ds_read_b64 v[20:21], v6
	ds_read_b64 v[18:19], v7 offset:528
	ds_read_b64 v[26:27], v5
	ds_read_b64 v[28:29], v10
	ds_read_b64 v[30:31], v8 offset:9088
	ds_read_b64 v[32:33], v4 offset:9088
	ds_read_b64 v[34:35], v34
	ds_read_b64 v[36:37], v36
	ds_read_b64 v[38:39], v11 offset:9088
	ds_read_b64 v[40:41], v9 offset:9088
	ds_read_b128 v[8:11], v25 offset:256
	ds_read_b128 v[4:7], v25 offset:272
	s_waitcnt lgkmcnt(6)
	v_pk_mul_f32 v[42:43], v[26:27], v[32:33] op_sel:[1,1] op_sel_hi:[1,0]
	v_pk_mul_f32 v[44:45], v[28:29], v[30:31] op_sel:[1,1] op_sel_hi:[1,0]
	v_pk_fma_f32 v[56:57], v[26:27], v[32:33], v[42:43]
	v_pk_fma_f32 v[26:27], v[26:27], v[32:33], v[42:43] op_sel_hi:[0,1,1] neg_lo:[0,0,1] neg_hi:[0,0,1]
	s_waitcnt lgkmcnt(2)
	v_pk_mul_f32 v[46:47], v[34:35], v[40:41] op_sel:[1,1] op_sel_hi:[1,0]
	v_mov_b32_e32 v57, v27
	v_pk_fma_f32 v[32:33], v[28:29], v[30:31], v[44:45]
	v_pk_fma_f32 v[28:29], v[28:29], v[30:31], v[44:45] op_sel_hi:[0,1,1] neg_lo:[0,0,1] neg_hi:[0,0,1]
	v_pk_add_f32 v[26:27], v[56:57], 0 op_sel_hi:[1,0]
	v_mov_b32_e32 v33, v29
	v_pk_fma_f32 v[28:29], v[34:35], v[40:41], v[46:47]
	v_pk_fma_f32 v[30:31], v[34:35], v[40:41], v[46:47] op_sel_hi:[0,1,1] neg_lo:[0,0,1] neg_hi:[0,0,1]
	v_pk_mul_f32 v[54:55], v[36:37], v[38:39] op_sel:[1,1] op_sel_hi:[1,0]
	v_pk_add_f32 v[26:27], v[26:27], v[32:33]
	v_mov_b32_e32 v29, v31
	v_pk_add_f32 v[26:27], v[26:27], v[28:29]
	v_pk_fma_f32 v[28:29], v[36:37], v[38:39], v[54:55]
	v_pk_fma_f32 v[30:31], v[36:37], v[38:39], v[54:55] op_sel_hi:[0,1,1] neg_lo:[0,0,1] neg_hi:[0,0,1]
	v_mov_b32_e32 v29, v31
	v_pk_add_f32 v[26:27], v[26:27], v[28:29]
	s_waitcnt lgkmcnt(0)
	s_barrier
	ds_write_b64 v24, v[26:27]
	s_waitcnt lgkmcnt(0)
	s_barrier
	s_and_saveexec_b64 s[6:7], s[4:5]
	s_cbranch_execz .LBB34_133
; %bb.132:
	ds_read2_b64 v[26:29], v23 offset1:1
	ds_read2_b64 v[30:33], v23 offset0:2 offset1:3
	ds_read2_b64 v[34:37], v23 offset0:4 offset1:5
	s_waitcnt lgkmcnt(2)
	v_pk_add_f32 v[26:27], v[52:53], v[26:27]
	s_nop 0
	v_pk_add_f32 v[38:39], v[26:27], v[28:29]
	ds_read2_b64 v[26:29], v23 offset0:6 offset1:7
	s_waitcnt lgkmcnt(2)
	v_pk_add_f32 v[30:31], v[38:39], v[30:31]
	s_nop 0
	v_pk_add_f32 v[30:31], v[30:31], v[32:33]
	s_waitcnt lgkmcnt(1)
	v_pk_add_f32 v[30:31], v[30:31], v[34:35]
	s_nop 0
	v_pk_add_f32 v[30:31], v[30:31], v[36:37]
	s_waitcnt lgkmcnt(0)
	v_pk_add_f32 v[26:27], v[30:31], v[26:27]
	s_nop 0
	v_pk_add_f32 v[52:53], v[26:27], v[28:29]
.LBB34_133:
	s_or_b64 exec, exec, s[6:7]
	v_pk_mul_f32 v[26:27], v[8:9], v[20:21] op_sel:[1,1] op_sel_hi:[0,1]
	v_pk_fma_f32 v[28:29], v[8:9], v[20:21], v[26:27] neg_lo:[0,0,1] neg_hi:[0,0,1]
	v_pk_fma_f32 v[8:9], v[8:9], v[20:21], v[26:27] op_sel_hi:[1,0,1]
	v_pk_mul_f32 v[20:21], v[10:11], v[0:1] op_sel:[1,1] op_sel_hi:[0,1]
	v_mov_b32_e32 v29, v9
	v_pk_fma_f32 v[26:27], v[10:11], v[0:1], v[20:21] neg_lo:[0,0,1] neg_hi:[0,0,1]
	v_pk_fma_f32 v[0:1], v[10:11], v[0:1], v[20:21] op_sel_hi:[1,0,1]
	v_pk_add_f32 v[8:9], v[28:29], 0 op_sel_hi:[1,0]
	v_mov_b32_e32 v27, v1
	v_pk_add_f32 v[0:1], v[8:9], v[26:27]
	v_pk_mul_f32 v[8:9], v[4:5], v[2:3] op_sel:[1,1] op_sel_hi:[0,1]
	v_pk_fma_f32 v[10:11], v[4:5], v[2:3], v[8:9] neg_lo:[0,0,1] neg_hi:[0,0,1]
	v_pk_fma_f32 v[2:3], v[4:5], v[2:3], v[8:9] op_sel_hi:[1,0,1]
	s_nop 0
	v_mov_b32_e32 v11, v3
	v_pk_mul_f32 v[2:3], v[6:7], v[18:19] op_sel:[1,1] op_sel_hi:[0,1]
	v_pk_fma_f32 v[4:5], v[6:7], v[18:19], v[2:3] neg_lo:[0,0,1] neg_hi:[0,0,1]
	v_pk_fma_f32 v[2:3], v[6:7], v[18:19], v[2:3] op_sel_hi:[1,0,1]
	v_pk_add_f32 v[0:1], v[0:1], v[10:11]
	v_mov_b32_e32 v5, v3
	v_pk_add_f32 v[0:1], v[0:1], v[4:5]
	s_barrier
	ds_write_b64 v24, v[0:1]
	s_waitcnt lgkmcnt(0)
	s_barrier
	s_and_saveexec_b64 s[4:5], s[0:1]
	s_cbranch_execz .LBB34_135
; %bb.134:
	ds_read2_b64 v[0:3], v23 offset1:1
	ds_read2_b64 v[4:7], v23 offset0:2 offset1:3
	ds_read2_b64 v[8:11], v23 offset0:4 offset1:5
	s_waitcnt lgkmcnt(2)
	v_pk_add_f32 v[0:1], v[52:53], v[0:1]
	s_nop 0
	v_pk_add_f32 v[18:19], v[0:1], v[2:3]
	ds_read2_b64 v[0:3], v23 offset0:6 offset1:7
	s_waitcnt lgkmcnt(2)
	v_pk_add_f32 v[4:5], v[18:19], v[4:5]
	s_nop 0
	v_pk_add_f32 v[4:5], v[4:5], v[6:7]
	s_waitcnt lgkmcnt(1)
	v_pk_add_f32 v[4:5], v[4:5], v[8:9]
	s_nop 0
	v_pk_add_f32 v[4:5], v[4:5], v[10:11]
	;; [unrolled: 4-line block ×3, first 2 shown]
.LBB34_135:
	s_or_b64 exec, exec, s[4:5]
	s_mul_hi_u32 s0, s23, s22
	s_mul_i32 s37, s37, s22
	s_add_i32 s0, s0, s37
	s_mul_i32 s4, s23, s22
	s_mul_i32 s0, s0, s3
	s_mul_hi_u32 s1, s4, s3
	s_add_i32 s1, s1, s0
	s_mul_i32 s0, s4, s3
	s_lshl_b64 s[0:1], s[0:1], 3
	s_add_u32 s4, s24, s0
	s_addc_u32 s5, s25, s1
	s_mul_hi_i32 s1, s23, s2
	s_mul_i32 s0, s23, s2
	s_lshl_b64 s[0:1], s[0:1], 3
	s_add_u32 s6, s4, s0
	s_addc_u32 s7, s5, s1
	s_add_i32 s8, s2, 1
	s_cmp_ge_u32 s8, s3
	v_lshlrev_b32_e32 v51, 3, v50
	s_barrier
	s_cbranch_scc1 .LBB34_193
; %bb.136:
	v_lshrrev_b32_e32 v2, 4, v22
	v_mov_b32_e32 v4, 0x2180
	s_mul_i32 s0, s36, s26
	v_lshl_add_u32 v136, v49, 5, v4
	v_lshlrev_b32_e32 v4, 5, v2
	v_mul_i32_i24_e32 v6, 0xffffffe8, v2
	v_and_b32_e32 v2, 48, v50
	s_ashr_i32 s1, s0, 31
	v_and_b32_e32 v3, 15, v50
	s_movk_i32 s10, 0x218
	s_lshl_b32 s4, s20, 4
	v_lshlrev_b32_e32 v2, 3, v2
	s_lshl_b64 s[0:1], s[0:1], 3
	s_lshl_b32 s24, s36, 6
	s_ashr_i32 s5, s4, 31
	v_mad_u32_u24 v139, v3, s10, v2
	v_or_b32_e32 v2, 0x78, v51
	s_ashr_i32 s21, s20, 31
	s_lshl_b32 s22, s20, 1
	s_mul_i32 s26, s20, 3
	s_mul_i32 s36, s36, s8
	v_lshlrev_b32_e32 v134, 2, v49
	v_mov_b32_e32 v0, s1
	v_subrev_co_u32_e32 v54, vcc, s0, v14
	s_add_i32 s17, s3, -2
	v_mad_u32_u24 v138, v3, s10, v4
	v_mad_u32_u24 v140, v3, s10, v2
	s_ashr_i32 s23, s22, 31
	s_ashr_i32 s27, s26, 31
	s_lshl_b64 s[14:15], s[20:21], 3
	s_lshl_b32 s8, s36, 6
	s_lshl_b64 s[28:29], s[30:31], 3
	s_lshl_b64 s[10:11], s[4:5], 5
	;; [unrolled: 1-line block ×3, first 2 shown]
	v_subb_co_u32_e32 v55, vcc, v15, v0, vcc
	v_mad_u64_u32 v[0:1], s[0:1], s20, v134, v[50:51]
	v_lshlrev_b64 v[2:3], 3, v[12:13]
	s_add_u32 s36, s34, s28
	v_ashrrev_i32_e32 v1, 31, v0
	v_sub_co_u32_e32 v56, vcc, 0, v2
	s_addc_u32 s37, s35, s29
	s_nop 0
	v_subb_co_u32_e32 v57, vcc, 0, v3, vcc
	v_lshlrev_b64 v[2:3], 3, v[0:1]
	s_add_u32 s38, s14, s28
	v_lshl_add_u64 v[4:5], s[28:29], 0, v[2:3]
	s_addc_u32 s39, s15, s29
	s_lshl_b64 s[22:23], s[22:23], 3
	v_lshl_add_u64 v[58:59], v[16:17], 0, v[4:5]
	v_lshl_add_u64 v[4:5], s[36:37], 0, v[2:3]
	s_add_u32 s40, s28, s22
	v_lshl_add_u64 v[60:61], v[16:17], 0, v[4:5]
	v_lshl_add_u64 v[4:5], s[38:39], 0, v[2:3]
	s_addc_u32 s41, s29, s23
	s_lshl_b64 s[26:27], s[26:27], 3
	v_lshl_add_u64 v[62:63], v[16:17], 0, v[4:5]
	v_lshl_add_u64 v[4:5], s[40:41], 0, v[2:3]
	s_add_u32 s40, s28, s26
	s_addc_u32 s41, s29, s27
	v_lshl_add_u64 v[64:65], v[16:17], 0, v[4:5]
	v_lshl_add_u64 v[4:5], s[40:41], 0, v[2:3]
	s_lshl_b64 s[40:41], s[4:5], 3
	s_add_u32 s42, s28, s40
	s_addc_u32 s43, s29, s41
	s_add_u32 s44, s36, s40
	s_addc_u32 s45, s37, s41
	v_lshl_add_u64 v[66:67], v[16:17], 0, v[4:5]
	v_lshl_add_u64 v[4:5], s[42:43], 0, v[2:3]
	s_add_u32 s38, s38, s40
	v_lshl_add_u64 v[68:69], v[16:17], 0, v[4:5]
	v_lshl_add_u64 v[4:5], s[44:45], 0, v[2:3]
	s_addc_u32 s39, s39, s41
	v_lshl_add_u64 v[70:71], v[16:17], 0, v[4:5]
	v_lshl_add_u64 v[4:5], s[38:39], 0, v[2:3]
	s_add_u32 s38, s42, s22
	s_addc_u32 s39, s43, s23
	v_lshl_add_u64 v[72:73], v[16:17], 0, v[4:5]
	v_lshl_add_u64 v[4:5], s[38:39], 0, v[2:3]
	s_add_u32 s38, s42, s26
	s_addc_u32 s39, s43, s27
	v_lshl_add_u64 v[74:75], v[16:17], 0, v[4:5]
	v_lshl_add_u64 v[4:5], s[38:39], 0, v[2:3]
	s_lshl_b64 s[38:39], s[4:5], 4
	s_add_u32 s28, s38, s28
	s_addc_u32 s29, s39, s29
	s_add_u32 s36, s36, s38
	v_lshl_add_u64 v[76:77], v[16:17], 0, v[4:5]
	v_lshl_add_u64 v[4:5], s[28:29], 0, v[2:3]
	s_addc_u32 s37, s37, s39
	v_lshl_add_u64 v[78:79], v[16:17], 0, v[4:5]
	v_lshl_add_u64 v[4:5], s[36:37], 0, v[2:3]
	s_add_u32 s36, s28, s14
	s_addc_u32 s37, s29, s15
	v_lshl_add_u64 v[80:81], v[16:17], 0, v[4:5]
	v_lshl_add_u64 v[4:5], s[36:37], 0, v[2:3]
	s_add_u32 s36, s28, s22
	s_addc_u32 s37, s29, s23
	s_add_u32 s28, s28, s26
	s_addc_u32 s29, s29, s27
	v_lshl_add_u64 v[0:1], s[30:31], 0, v[0:1]
	v_lshl_add_u64 v[82:83], v[16:17], 0, v[4:5]
	;; [unrolled: 1-line block ×4, first 2 shown]
	v_lshlrev_b64 v[0:1], 3, v[0:1]
	v_lshl_add_u64 v[86:87], v[16:17], 0, v[2:3]
	s_mulk_i32 s20, 0x180
	s_mul_hi_i32 s21, s4, 24
	v_mad_i64_i32 v[2:3], s[4:5], s4, 24, v[0:1]
	s_add_u32 s4, s20, s34
	s_addc_u32 s5, s21, s35
	v_lshl_add_u64 v[0:1], s[4:5], 0, v[0:1]
	v_lshl_add_u64 v[90:91], v[16:17], 0, v[0:1]
	;; [unrolled: 1-line block ×5, first 2 shown]
	s_movk_i32 s9, 0x860
	v_lshl_add_u64 v[94:95], v[16:17], 0, v[0:1]
	v_lshl_add_u64 v[0:1], v[2:3], 0, s[26:27]
	v_mov_b32_e32 v158, 0
	v_add_u32_e32 v135, 0x2180, v51
	v_add_u32_e32 v137, 0x2380, v51
	v_cmp_gt_u32_e64 s[0:1], 64, v22
	v_lshl_add_u64 v[84:85], v[16:17], 0, v[4:5]
	v_lshl_add_u64 v[88:89], v[16:17], 0, v[2:3]
	;; [unrolled: 1-line block ×3, first 2 shown]
	v_add_u32_e32 v141, v138, v6
	v_mov_b32_e32 v98, 0
	v_mov_b32_e32 v99, v158
	v_mad_u32_u24 v142, v49, s9, v51
	v_or_b32_e32 v143, 2, v134
	v_or_b32_e32 v144, 3, v134
	v_add_u32_e32 v145, 16, v134
	v_add_u32_e32 v146, 17, v134
	;; [unrolled: 1-line block ×13, first 2 shown]
	s_cmp_eq_u32 s17, s2
	s_cselect_b32 s25, s33, 0
	s_and_saveexec_b64 s[4:5], s[12:13]
	s_cbranch_execz .LBB34_142
	s_branch .LBB34_138
.LBB34_137:                             ;   in Loop: Header=BB34_142 Depth=1
	s_mov_b32 s2, s4
	s_cmp_eq_u32 s17, s2
	s_cselect_b32 s25, s33, 0
	s_and_saveexec_b64 s[4:5], s[12:13]
	s_cbranch_execz .LBB34_142
.LBB34_138:
	s_cmp_lg_u32 s25, 0
	s_cselect_b64 s[14:15], -1, 0
	v_cmp_le_i32_e32 vcc, s25, v50
	s_and_b64 s[14:15], s[14:15], vcc
	s_and_saveexec_b64 s[20:21], s[14:15]
	s_xor_b64 s[14:15], exec, s[20:21]
; %bb.139:
	ds_write_b64 v135, v[98:99]
; %bb.140:
	s_andn2_saveexec_b64 s[14:15], s[14:15]
	s_cbranch_execz .LBB34_142
; %bb.141:
	s_ashr_i32 s9, s8, 31
	v_lshl_add_u64 v[0:1], s[8:9], 3, v[54:55]
	flat_load_dwordx2 v[0:1], v[0:1]
	s_waitcnt vmcnt(0) lgkmcnt(0)
	ds_write_b64 v135, v[0:1]
.LBB34_142:                             ; =>This Inner Loop Header: Depth=1
	s_or_b64 exec, exec, s[4:5]
	s_cmp_eq_u32 s25, 0
	s_cselect_b64 s[14:15], -1, 0
	s_cmp_lg_u32 s25, 0
	s_cselect_b64 s[20:21], -1, 0
	v_lshl_add_u64 v[0:1], v[58:59], 0, v[56:57]
	s_and_b64 vcc, exec, s[20:21]
	s_waitcnt lgkmcnt(0)
	s_barrier
	s_cbranch_vccz .LBB34_150
; %bb.143:                              ;   in Loop: Header=BB34_142 Depth=1
	v_mov_b32_e32 v102, 0
	v_mov_b32_e32 v103, v158
	v_cmp_gt_i32_e32 vcc, s25, v134
	v_mov_b64_e32 v[104:105], v[102:103]
	s_and_saveexec_b64 s[4:5], vcc
	s_cbranch_execz .LBB34_145
; %bb.144:                              ;   in Loop: Header=BB34_142 Depth=1
	flat_load_dwordx2 v[104:105], v[0:1]
.LBB34_145:                             ;   in Loop: Header=BB34_142 Depth=1
	s_or_b64 exec, exec, s[4:5]
	v_or_b32_e32 v2, 1, v134
	v_cmp_gt_i32_e32 vcc, s25, v2
	s_and_saveexec_b64 s[4:5], vcc
	s_cbranch_execz .LBB34_147
; %bb.146:                              ;   in Loop: Header=BB34_142 Depth=1
	v_lshl_add_u64 v[2:3], v[62:63], 0, v[56:57]
	flat_load_dwordx2 v[102:103], v[2:3]
.LBB34_147:                             ;   in Loop: Header=BB34_142 Depth=1
	s_or_b64 exec, exec, s[4:5]
	v_mov_b32_e32 v159, v158
	v_cmp_gt_i32_e32 vcc, s25, v143
	v_mov_b64_e32 v[106:107], v[158:159]
	s_and_saveexec_b64 s[4:5], vcc
	s_cbranch_execz .LBB34_149
; %bb.148:                              ;   in Loop: Header=BB34_142 Depth=1
	v_lshl_add_u64 v[2:3], v[64:65], 0, v[56:57]
	flat_load_dwordx2 v[106:107], v[2:3]
.LBB34_149:                             ;   in Loop: Header=BB34_142 Depth=1
	s_or_b64 exec, exec, s[4:5]
	v_cmp_gt_i32_e64 s[4:5], s25, v144
	s_branch .LBB34_152
.LBB34_150:                             ;   in Loop: Header=BB34_142 Depth=1
	s_mov_b64 s[4:5], 0
                                        ; implicit-def: $vgpr106_vgpr107
                                        ; implicit-def: $vgpr102_vgpr103
                                        ; implicit-def: $vgpr104_vgpr105
	s_cbranch_execz .LBB34_152
; %bb.151:                              ;   in Loop: Header=BB34_142 Depth=1
	s_waitcnt vmcnt(0) lgkmcnt(0)
	flat_load_dwordx2 v[104:105], v[0:1]
	v_lshl_add_u64 v[0:1], v[62:63], 0, v[56:57]
	flat_load_dwordx2 v[102:103], v[0:1]
	v_lshl_add_u64 v[0:1], v[60:61], 0, v[56:57]
	flat_load_dwordx2 v[106:107], v[0:1]
	s_or_b64 s[4:5], s[4:5], exec
.LBB34_152:                             ;   in Loop: Header=BB34_142 Depth=1
	v_mov_b32_e32 v108, 0
	v_mov_b32_e32 v109, 0
	s_and_saveexec_b64 s[22:23], s[4:5]
	s_cbranch_execz .LBB34_154
; %bb.153:                              ;   in Loop: Header=BB34_142 Depth=1
	v_lshl_add_u64 v[0:1], v[66:67], 0, v[56:57]
	flat_load_dwordx2 v[108:109], v[0:1]
.LBB34_154:                             ;   in Loop: Header=BB34_142 Depth=1
	s_or_b64 exec, exec, s[22:23]
	ds_read_b64 v[0:1], v137
	s_andn2_b64 vcc, exec, s[20:21]
	s_waitcnt vmcnt(0) lgkmcnt(0)
	v_pk_mul_f32 v[2:3], v[104:105], v[0:1] op_sel:[1,0]
	v_pk_mul_f32 v[4:5], v[102:103], v[0:1] op_sel:[1,0]
	v_pk_fma_f32 v[6:7], v[104:105], v[0:1], v[2:3] op_sel:[0,0,1] op_sel_hi:[1,1,0]
	v_pk_fma_f32 v[2:3], v[104:105], v[0:1], v[2:3] op_sel:[0,0,1] op_sel_hi:[0,1,0] neg_lo:[0,0,1] neg_hi:[0,0,1]
	v_pk_fma_f32 v[8:9], v[102:103], v[0:1], v[4:5] op_sel:[0,0,1] op_sel_hi:[1,1,0]
	v_pk_fma_f32 v[4:5], v[102:103], v[0:1], v[4:5] op_sel:[0,0,1] op_sel_hi:[0,1,0] neg_lo:[0,0,1] neg_hi:[0,0,1]
	v_mov_b32_e32 v7, v3
	v_pk_mul_f32 v[2:3], v[106:107], v[0:1] op_sel:[1,0]
	v_mov_b32_e32 v9, v5
	v_pk_fma_f32 v[4:5], v[106:107], v[0:1], v[2:3] op_sel:[0,0,1] op_sel_hi:[1,1,0]
	v_pk_fma_f32 v[2:3], v[106:107], v[0:1], v[2:3] op_sel:[0,0,1] op_sel_hi:[0,1,0] neg_lo:[0,0,1] neg_hi:[0,0,1]
	v_mov_b32_e32 v5, v3
	v_pk_mul_f32 v[2:3], v[108:109], v[0:1] op_sel:[1,0]
	ds_write2_b64 v142, v[6:7], v[8:9] offset1:67
	v_pk_fma_f32 v[6:7], v[108:109], v[0:1], v[2:3] op_sel:[0,0,1] op_sel_hi:[1,1,0]
	v_pk_fma_f32 v[0:1], v[108:109], v[0:1], v[2:3] op_sel:[0,0,1] op_sel_hi:[0,1,0] neg_lo:[0,0,1] neg_hi:[0,0,1]
	v_mov_b32_e32 v7, v1
	ds_write2_b64 v142, v[4:5], v[6:7] offset0:134 offset1:201
	ds_read_b128 v[4:7], v136
	ds_read_b128 v[0:3], v136 offset:16
	s_waitcnt lgkmcnt(0)
	s_barrier
	ds_read2_b64 v[20:23], v138 offset1:1
	ds_read2_b64 v[16:19], v138 offset0:2 offset1:3
	v_cndmask_b32_e64 v8, 0, 1, s[20:21]
	v_cmp_ne_u32_e64 s[4:5], 1, v8
	v_lshl_add_u64 v[8:9], v[68:69], 0, v[56:57]
	s_waitcnt lgkmcnt(0)
	s_barrier
	s_cbranch_vccnz .LBB34_162
; %bb.155:                              ;   in Loop: Header=BB34_142 Depth=1
	v_mov_b32_e32 v110, 0
	v_mov_b32_e32 v111, v158
	v_cmp_gt_i32_e32 vcc, s25, v145
	v_mov_b64_e32 v[112:113], v[110:111]
	s_and_saveexec_b64 s[20:21], vcc
	s_cbranch_execz .LBB34_157
; %bb.156:                              ;   in Loop: Header=BB34_142 Depth=1
	flat_load_dwordx2 v[112:113], v[8:9]
.LBB34_157:                             ;   in Loop: Header=BB34_142 Depth=1
	s_or_b64 exec, exec, s[20:21]
	v_cmp_gt_i32_e32 vcc, s25, v146
	s_and_saveexec_b64 s[20:21], vcc
	s_cbranch_execz .LBB34_159
; %bb.158:                              ;   in Loop: Header=BB34_142 Depth=1
	v_lshl_add_u64 v[10:11], v[72:73], 0, v[56:57]
	flat_load_dwordx2 v[110:111], v[10:11]
.LBB34_159:                             ;   in Loop: Header=BB34_142 Depth=1
	s_or_b64 exec, exec, s[20:21]
	v_mov_b32_e32 v159, v158
	v_cmp_gt_i32_e32 vcc, s25, v147
	v_mov_b64_e32 v[114:115], v[158:159]
	s_and_saveexec_b64 s[20:21], vcc
	s_cbranch_execz .LBB34_161
; %bb.160:                              ;   in Loop: Header=BB34_142 Depth=1
	v_lshl_add_u64 v[10:11], v[74:75], 0, v[56:57]
	flat_load_dwordx2 v[114:115], v[10:11]
.LBB34_161:                             ;   in Loop: Header=BB34_142 Depth=1
	s_or_b64 exec, exec, s[20:21]
	v_cmp_gt_i32_e64 s[20:21], s25, v148
	s_branch .LBB34_164
.LBB34_162:                             ;   in Loop: Header=BB34_142 Depth=1
	s_mov_b64 s[20:21], 0
                                        ; implicit-def: $vgpr114_vgpr115
                                        ; implicit-def: $vgpr110_vgpr111
                                        ; implicit-def: $vgpr112_vgpr113
	s_cbranch_execz .LBB34_164
; %bb.163:                              ;   in Loop: Header=BB34_142 Depth=1
	s_waitcnt vmcnt(0) lgkmcnt(0)
	flat_load_dwordx2 v[112:113], v[8:9]
	v_lshl_add_u64 v[8:9], v[72:73], 0, v[56:57]
	flat_load_dwordx2 v[110:111], v[8:9]
	v_lshl_add_u64 v[8:9], v[70:71], 0, v[56:57]
	flat_load_dwordx2 v[114:115], v[8:9]
	s_or_b64 s[20:21], s[20:21], exec
.LBB34_164:                             ;   in Loop: Header=BB34_142 Depth=1
	v_mov_b32_e32 v116, 0
	v_mov_b32_e32 v117, 0
	s_and_saveexec_b64 s[22:23], s[20:21]
	s_cbranch_execz .LBB34_166
; %bb.165:                              ;   in Loop: Header=BB34_142 Depth=1
	v_lshl_add_u64 v[8:9], v[76:77], 0, v[56:57]
	flat_load_dwordx2 v[116:117], v[8:9]
.LBB34_166:                             ;   in Loop: Header=BB34_142 Depth=1
	s_or_b64 exec, exec, s[22:23]
	ds_read_b64 v[24:25], v137
	ds_read_b128 v[12:15], v136 offset:128
	ds_read_b128 v[8:11], v136 offset:144
	s_and_b64 vcc, exec, s[4:5]
	s_waitcnt vmcnt(0) lgkmcnt(0)
	v_pk_mul_f32 v[26:27], v[112:113], v[24:25] op_sel:[1,1] op_sel_hi:[1,0]
	v_pk_mul_f32 v[28:29], v[110:111], v[24:25] op_sel:[1,1] op_sel_hi:[1,0]
	v_pk_fma_f32 v[30:31], v[112:113], v[24:25], v[26:27]
	v_pk_fma_f32 v[26:27], v[112:113], v[24:25], v[26:27] op_sel_hi:[0,1,1] neg_lo:[0,0,1] neg_hi:[0,0,1]
	v_mov_b32_e32 v31, v27
	v_pk_fma_f32 v[26:27], v[110:111], v[24:25], v[28:29]
	v_pk_fma_f32 v[28:29], v[110:111], v[24:25], v[28:29] op_sel_hi:[0,1,1] neg_lo:[0,0,1] neg_hi:[0,0,1]
	v_mov_b32_e32 v27, v29
	ds_write2_b64 v142, v[30:31], v[26:27] offset1:67
	v_pk_mul_f32 v[26:27], v[114:115], v[24:25] op_sel:[1,1] op_sel_hi:[1,0]
	s_nop 0
	v_pk_fma_f32 v[28:29], v[114:115], v[24:25], v[26:27]
	v_pk_fma_f32 v[26:27], v[114:115], v[24:25], v[26:27] op_sel_hi:[0,1,1] neg_lo:[0,0,1] neg_hi:[0,0,1]
	v_mov_b32_e32 v29, v27
	v_pk_mul_f32 v[26:27], v[116:117], v[24:25] op_sel:[1,1] op_sel_hi:[1,0]
	s_nop 0
	v_pk_fma_f32 v[30:31], v[116:117], v[24:25], v[26:27]
	v_pk_fma_f32 v[24:25], v[116:117], v[24:25], v[26:27] op_sel_hi:[0,1,1] neg_lo:[0,0,1] neg_hi:[0,0,1]
	v_mov_b32_e32 v31, v25
	ds_write2_b64 v142, v[28:29], v[30:31] offset0:134 offset1:201
	s_waitcnt lgkmcnt(0)
	s_barrier
	ds_read2_b64 v[36:39], v138 offset1:1
	ds_read2_b64 v[32:35], v138 offset0:2 offset1:3
	v_lshl_add_u64 v[24:25], v[78:79], 0, v[56:57]
	s_waitcnt lgkmcnt(0)
	s_barrier
	s_cbranch_vccnz .LBB34_174
; %bb.167:                              ;   in Loop: Header=BB34_142 Depth=1
	v_mov_b32_e32 v118, 0
	v_mov_b32_e32 v119, v158
	v_cmp_gt_i32_e32 vcc, s25, v149
	v_mov_b64_e32 v[120:121], v[118:119]
	s_and_saveexec_b64 s[20:21], vcc
	s_cbranch_execz .LBB34_169
; %bb.168:                              ;   in Loop: Header=BB34_142 Depth=1
	flat_load_dwordx2 v[120:121], v[24:25]
.LBB34_169:                             ;   in Loop: Header=BB34_142 Depth=1
	s_or_b64 exec, exec, s[20:21]
	v_cmp_gt_i32_e32 vcc, s25, v150
	s_and_saveexec_b64 s[20:21], vcc
	s_cbranch_execz .LBB34_171
; %bb.170:                              ;   in Loop: Header=BB34_142 Depth=1
	v_lshl_add_u64 v[26:27], v[82:83], 0, v[56:57]
	flat_load_dwordx2 v[118:119], v[26:27]
.LBB34_171:                             ;   in Loop: Header=BB34_142 Depth=1
	s_or_b64 exec, exec, s[20:21]
	v_mov_b32_e32 v159, v158
	v_cmp_gt_i32_e32 vcc, s25, v151
	v_mov_b64_e32 v[122:123], v[158:159]
	s_and_saveexec_b64 s[20:21], vcc
	s_cbranch_execz .LBB34_173
; %bb.172:                              ;   in Loop: Header=BB34_142 Depth=1
	v_lshl_add_u64 v[26:27], v[84:85], 0, v[56:57]
	flat_load_dwordx2 v[122:123], v[26:27]
.LBB34_173:                             ;   in Loop: Header=BB34_142 Depth=1
	s_or_b64 exec, exec, s[20:21]
	v_cmp_gt_i32_e64 s[20:21], s25, v152
	s_branch .LBB34_176
.LBB34_174:                             ;   in Loop: Header=BB34_142 Depth=1
	s_mov_b64 s[20:21], 0
                                        ; implicit-def: $vgpr122_vgpr123
                                        ; implicit-def: $vgpr118_vgpr119
                                        ; implicit-def: $vgpr120_vgpr121
	s_cbranch_execz .LBB34_176
; %bb.175:                              ;   in Loop: Header=BB34_142 Depth=1
	s_waitcnt vmcnt(0) lgkmcnt(0)
	flat_load_dwordx2 v[120:121], v[24:25]
	v_lshl_add_u64 v[24:25], v[82:83], 0, v[56:57]
	flat_load_dwordx2 v[118:119], v[24:25]
	v_lshl_add_u64 v[24:25], v[80:81], 0, v[56:57]
	flat_load_dwordx2 v[122:123], v[24:25]
	s_or_b64 s[20:21], s[20:21], exec
.LBB34_176:                             ;   in Loop: Header=BB34_142 Depth=1
	v_mov_b32_e32 v124, 0
	v_mov_b32_e32 v125, 0
	s_and_saveexec_b64 s[22:23], s[20:21]
	s_cbranch_execz .LBB34_178
; %bb.177:                              ;   in Loop: Header=BB34_142 Depth=1
	v_lshl_add_u64 v[24:25], v[86:87], 0, v[56:57]
	flat_load_dwordx2 v[124:125], v[24:25]
.LBB34_178:                             ;   in Loop: Header=BB34_142 Depth=1
	s_or_b64 exec, exec, s[22:23]
	ds_read_b64 v[24:25], v137
	s_and_b64 vcc, exec, s[4:5]
	v_lshl_add_u64 v[132:133], v[88:89], 0, v[56:57]
	s_waitcnt vmcnt(0) lgkmcnt(0)
	v_pk_mul_f32 v[26:27], v[120:121], v[24:25] op_sel:[1,0]
	v_pk_mul_f32 v[28:29], v[118:119], v[24:25] op_sel:[1,0]
	v_pk_fma_f32 v[30:31], v[120:121], v[24:25], v[26:27] op_sel:[0,0,1] op_sel_hi:[1,1,0]
	v_pk_fma_f32 v[26:27], v[120:121], v[24:25], v[26:27] op_sel:[0,0,1] op_sel_hi:[0,1,0] neg_lo:[0,0,1] neg_hi:[0,0,1]
	v_pk_fma_f32 v[40:41], v[118:119], v[24:25], v[28:29] op_sel:[0,0,1] op_sel_hi:[1,1,0]
	v_pk_fma_f32 v[28:29], v[118:119], v[24:25], v[28:29] op_sel:[0,0,1] op_sel_hi:[0,1,0] neg_lo:[0,0,1] neg_hi:[0,0,1]
	v_mov_b32_e32 v31, v27
	v_pk_mul_f32 v[26:27], v[122:123], v[24:25] op_sel:[1,0]
	v_mov_b32_e32 v41, v29
	v_pk_fma_f32 v[28:29], v[122:123], v[24:25], v[26:27] op_sel:[0,0,1] op_sel_hi:[1,1,0]
	v_pk_fma_f32 v[26:27], v[122:123], v[24:25], v[26:27] op_sel:[0,0,1] op_sel_hi:[0,1,0] neg_lo:[0,0,1] neg_hi:[0,0,1]
	v_mov_b32_e32 v29, v27
	v_pk_mul_f32 v[26:27], v[124:125], v[24:25] op_sel:[1,0]
	ds_write2_b64 v142, v[30:31], v[40:41] offset1:67
	v_pk_fma_f32 v[30:31], v[124:125], v[24:25], v[26:27] op_sel:[0,0,1] op_sel_hi:[1,1,0]
	v_pk_fma_f32 v[24:25], v[124:125], v[24:25], v[26:27] op_sel:[0,0,1] op_sel_hi:[0,1,0] neg_lo:[0,0,1] neg_hi:[0,0,1]
	v_mov_b32_e32 v31, v25
	ds_write2_b64 v142, v[28:29], v[30:31] offset0:134 offset1:201
	ds_read_b128 v[28:31], v136 offset:256
	ds_read_b128 v[24:27], v136 offset:272
	s_waitcnt lgkmcnt(0)
	s_barrier
	ds_read2_b64 v[44:47], v138 offset1:1
	ds_read2_b64 v[40:43], v138 offset0:2 offset1:3
	s_waitcnt lgkmcnt(0)
	s_barrier
	s_cbranch_vccnz .LBB34_186
; %bb.179:                              ;   in Loop: Header=BB34_142 Depth=1
	v_mov_b32_e32 v126, 0
	v_mov_b32_e32 v127, v158
	v_cmp_gt_i32_e32 vcc, s25, v153
	v_mov_b64_e32 v[128:129], v[126:127]
	s_and_saveexec_b64 s[4:5], vcc
	s_cbranch_execz .LBB34_181
; %bb.180:                              ;   in Loop: Header=BB34_142 Depth=1
	flat_load_dwordx2 v[128:129], v[132:133]
.LBB34_181:                             ;   in Loop: Header=BB34_142 Depth=1
	s_or_b64 exec, exec, s[4:5]
	v_cmp_gt_i32_e32 vcc, s25, v154
	s_and_saveexec_b64 s[4:5], vcc
	s_cbranch_execz .LBB34_183
; %bb.182:                              ;   in Loop: Header=BB34_142 Depth=1
	v_lshl_add_u64 v[126:127], v[92:93], 0, v[56:57]
	flat_load_dwordx2 v[126:127], v[126:127]
.LBB34_183:                             ;   in Loop: Header=BB34_142 Depth=1
	s_or_b64 exec, exec, s[4:5]
	v_mov_b32_e32 v159, v158
	v_cmp_gt_i32_e32 vcc, s25, v155
	v_mov_b64_e32 v[130:131], v[158:159]
	s_and_saveexec_b64 s[4:5], vcc
	s_cbranch_execz .LBB34_185
; %bb.184:                              ;   in Loop: Header=BB34_142 Depth=1
	v_lshl_add_u64 v[130:131], v[94:95], 0, v[56:57]
	flat_load_dwordx2 v[130:131], v[130:131]
.LBB34_185:                             ;   in Loop: Header=BB34_142 Depth=1
	s_or_b64 exec, exec, s[4:5]
	v_cmp_gt_i32_e64 s[4:5], s25, v156
	s_branch .LBB34_188
.LBB34_186:                             ;   in Loop: Header=BB34_142 Depth=1
	s_mov_b64 s[4:5], 0
                                        ; implicit-def: $vgpr130_vgpr131
                                        ; implicit-def: $vgpr126_vgpr127
                                        ; implicit-def: $vgpr128_vgpr129
	s_cbranch_execz .LBB34_188
; %bb.187:                              ;   in Loop: Header=BB34_142 Depth=1
	s_waitcnt vmcnt(0) lgkmcnt(0)
	v_lshl_add_u64 v[126:127], v[92:93], 0, v[56:57]
	v_lshl_add_u64 v[130:131], v[90:91], 0, v[56:57]
	flat_load_dwordx2 v[128:129], v[132:133]
	s_or_b64 s[4:5], s[4:5], exec
	flat_load_dwordx2 v[126:127], v[126:127]
	s_nop 0
	flat_load_dwordx2 v[130:131], v[130:131]
.LBB34_188:                             ;   in Loop: Header=BB34_142 Depth=1
	v_mov_b32_e32 v132, 0
	v_mov_b32_e32 v133, 0
	s_and_saveexec_b64 s[20:21], s[4:5]
	s_cbranch_execz .LBB34_190
; %bb.189:                              ;   in Loop: Header=BB34_142 Depth=1
	v_lshl_add_u64 v[132:133], v[96:97], 0, v[56:57]
	flat_load_dwordx2 v[132:133], v[132:133]
.LBB34_190:                             ;   in Loop: Header=BB34_142 Depth=1
	s_or_b64 exec, exec, s[20:21]
	v_pk_add_f32 v[44:45], v[44:45], 0 op_sel_hi:[1,0]
	v_pk_add_f32 v[36:37], v[36:37], 0 op_sel_hi:[1,0]
	v_pk_add_f32 v[44:45], v[44:45], v[46:47]
	v_pk_add_f32 v[36:37], v[36:37], v[38:39]
	;; [unrolled: 1-line block ×5, first 2 shown]
	ds_read_b64 v[40:41], v137
	v_pk_add_f32 v[46:47], v[32:33], v[34:35]
	v_pk_add_f32 v[20:21], v[20:21], 0 op_sel_hi:[1,0]
	v_cmp_gt_i32_e32 vcc, s25, v50
	v_pk_add_f32 v[160:161], v[20:21], v[22:23]
	s_waitcnt vmcnt(0) lgkmcnt(0)
	v_pk_mul_f32 v[32:33], v[128:129], v[40:41] op_sel:[1,0]
	v_pk_add_f32 v[16:17], v[160:161], v[16:17]
	v_pk_fma_f32 v[34:35], v[128:129], v[40:41], v[32:33] op_sel:[0,0,1] op_sel_hi:[1,1,0]
	v_pk_fma_f32 v[32:33], v[128:129], v[40:41], v[32:33] op_sel:[0,0,1] op_sel_hi:[0,1,0] neg_lo:[0,0,1] neg_hi:[0,0,1]
	v_mov_b32_e32 v35, v33
	v_pk_mul_f32 v[32:33], v[126:127], v[40:41] op_sel:[1,0]
	v_pk_add_f32 v[16:17], v[16:17], v[18:19]
	v_pk_fma_f32 v[36:37], v[126:127], v[40:41], v[32:33] op_sel:[0,0,1] op_sel_hi:[1,1,0]
	v_pk_fma_f32 v[32:33], v[126:127], v[40:41], v[32:33] op_sel:[0,0,1] op_sel_hi:[0,1,0] neg_lo:[0,0,1] neg_hi:[0,0,1]
	v_mov_b32_e32 v37, v33
	v_pk_mul_f32 v[32:33], v[130:131], v[40:41] op_sel:[1,0]
	ds_write2_b64 v142, v[34:35], v[36:37] offset1:67
	v_pk_fma_f32 v[34:35], v[130:131], v[40:41], v[32:33] op_sel:[0,0,1] op_sel_hi:[1,1,0]
	v_pk_fma_f32 v[32:33], v[130:131], v[40:41], v[32:33] op_sel:[0,0,1] op_sel_hi:[0,1,0] neg_lo:[0,0,1] neg_hi:[0,0,1]
	v_mov_b32_e32 v35, v33
	v_pk_mul_f32 v[32:33], v[132:133], v[40:41] op_sel:[1,0]
	s_or_b64 s[4:5], s[14:15], vcc
	v_pk_fma_f32 v[36:37], v[132:133], v[40:41], v[32:33] op_sel:[0,0,1] op_sel_hi:[1,1,0]
	v_pk_fma_f32 v[32:33], v[132:133], v[40:41], v[32:33] op_sel:[0,0,1] op_sel_hi:[0,1,0] neg_lo:[0,0,1] neg_hi:[0,0,1]
	v_mov_b32_e32 v37, v33
	ds_write2_b64 v142, v[34:35], v[36:37] offset0:134 offset1:201
	ds_read_b128 v[36:39], v136 offset:384
	ds_read_b128 v[32:35], v136 offset:400
	s_waitcnt lgkmcnt(0)
	s_barrier
	ds_read2_b64 v[40:43], v138 offset1:1
	ds_read2_b64 v[20:23], v138 offset0:2 offset1:3
	s_and_b64 s[14:15], s[0:1], s[4:5]
	s_waitcnt lgkmcnt(0)
	s_barrier
	v_pk_add_f32 v[18:19], v[40:41], 0 op_sel_hi:[1,0]
	s_nop 0
	v_pk_add_f32 v[18:19], v[18:19], v[42:43]
	s_nop 0
	v_pk_add_f32 v[18:19], v[18:19], v[20:21]
	s_nop 0
	v_pk_add_f32 v[18:19], v[18:19], v[22:23]
	ds_write2_b64 v141, v[16:17], v[46:47] offset1:16
	ds_write2_b64 v141, v[44:45], v[18:19] offset0:32 offset1:48
	s_waitcnt lgkmcnt(0)
	s_barrier
	s_and_saveexec_b64 s[4:5], s[14:15]
	s_cbranch_execz .LBB34_192
; %bb.191:                              ;   in Loop: Header=BB34_142 Depth=1
	ds_read_b64 v[40:41], v139
	ds_read2_b64 v[16:19], v139 offset0:1 offset1:2
	ds_read2_b64 v[20:23], v139 offset0:3 offset1:4
	v_ashrrev_i32_e32 v101, 31, v100
	v_lshl_add_u64 v[44:45], v[100:101], 3, s[6:7]
	s_waitcnt lgkmcnt(1)
	v_add_f32_e32 v16, v16, v40
	v_add_f32_e32 v17, v17, v41
	;; [unrolled: 1-line block ×4, first 2 shown]
	ds_read2_b64 v[16:19], v139 offset0:5 offset1:6
	s_waitcnt lgkmcnt(1)
	v_add_f32_e32 v20, v40, v20
	v_add_f32_e32 v21, v41, v21
	;; [unrolled: 1-line block ×4, first 2 shown]
	ds_read2_b64 v[20:23], v139 offset0:7 offset1:8
	s_waitcnt lgkmcnt(1)
	v_pk_add_f32 v[16:17], v[40:41], v[16:17]
	ds_read2_b64 v[40:43], v139 offset0:9 offset1:10
	v_pk_add_f32 v[16:17], v[16:17], v[18:19]
	s_waitcnt lgkmcnt(1)
	v_pk_add_f32 v[16:17], v[16:17], v[20:21]
	s_nop 0
	v_pk_add_f32 v[20:21], v[16:17], v[22:23]
	ds_read2_b64 v[16:19], v139 offset0:11 offset1:12
	s_waitcnt lgkmcnt(1)
	v_pk_add_f32 v[40:41], v[20:21], v[40:41]
	ds_read2_b64 v[20:23], v139 offset0:13 offset1:14
	v_pk_add_f32 v[40:41], v[40:41], v[42:43]
	ds_read_b64 v[42:43], v140
	s_waitcnt lgkmcnt(2)
	v_pk_add_f32 v[16:17], v[40:41], v[16:17]
	s_nop 0
	v_pk_add_f32 v[16:17], v[16:17], v[18:19]
	s_waitcnt lgkmcnt(1)
	v_pk_add_f32 v[16:17], v[16:17], v[20:21]
	s_nop 0
	v_pk_add_f32 v[16:17], v[16:17], v[22:23]
	s_waitcnt lgkmcnt(0)
	v_pk_add_f32 v[16:17], v[16:17], v[42:43]
	global_store_dwordx2 v[44:45], v[16:17], off
.LBB34_192:                             ;   in Loop: Header=BB34_142 Depth=1
	s_or_b64 exec, exec, s[4:5]
	v_mov_b32_e32 v16, v104
	v_mov_b32_e32 v17, v104
	;; [unrolled: 1-line block ×3, first 2 shown]
	v_pk_mul_f32 v[104:105], v[104:105], v[4:5]
	v_mov_b32_e32 v18, v102
	v_mov_b32_e32 v19, v102
	;; [unrolled: 1-line block ×3, first 2 shown]
	v_pk_fma_f32 v[168:169], v[16:17], v[4:5], v[104:105] op_sel:[0,0,1] op_sel_hi:[1,1,0] neg_lo:[0,0,1] neg_hi:[0,0,1]
	v_pk_fma_f32 v[4:5], v[16:17], v[4:5], v[104:105] op_sel:[0,0,1] op_sel_hi:[1,1,0]
	v_pk_mul_f32 v[16:17], v[102:103], v[6:7]
	v_mov_b32_e32 v169, v5
	v_mov_b32_e32 v20, v106
	;; [unrolled: 1-line block ×4, first 2 shown]
	v_pk_add_f32 v[4:5], v[52:53], v[168:169]
	v_pk_fma_f32 v[52:53], v[18:19], v[6:7], v[16:17] op_sel:[0,0,1] op_sel_hi:[1,1,0] neg_lo:[0,0,1] neg_hi:[0,0,1]
	v_pk_fma_f32 v[6:7], v[18:19], v[6:7], v[16:17] op_sel:[0,0,1] op_sel_hi:[1,1,0]
	v_mov_b32_e32 v22, v108
	v_mov_b32_e32 v53, v7
	v_pk_mul_f32 v[6:7], v[106:107], v[0:1]
	v_mov_b32_e32 v23, v108
	v_pk_fma_f32 v[16:17], v[20:21], v[0:1], v[6:7] op_sel:[0,0,1] op_sel_hi:[1,1,0] neg_lo:[0,0,1] neg_hi:[0,0,1]
	v_pk_fma_f32 v[0:1], v[20:21], v[0:1], v[6:7] op_sel:[0,0,1] op_sel_hi:[1,1,0]
	v_mov_b32_e32 v108, v109
	v_pk_add_f32 v[4:5], v[4:5], v[52:53]
	v_mov_b32_e32 v17, v1
	v_pk_add_f32 v[0:1], v[4:5], v[16:17]
	v_pk_mul_f32 v[4:5], v[108:109], v[2:3]
	v_mov_b32_e32 v40, v120
	v_pk_fma_f32 v[6:7], v[22:23], v[2:3], v[4:5] op_sel:[0,0,1] op_sel_hi:[1,1,0] neg_lo:[0,0,1] neg_hi:[0,0,1]
	v_pk_fma_f32 v[2:3], v[22:23], v[2:3], v[4:5] op_sel:[0,0,1] op_sel_hi:[1,1,0]
	v_mov_b32_e32 v4, v15
	v_mov_b32_e32 v7, v3
	v_pk_mul_f32 v[2:3], v[112:113], v[12:13] op_sel:[1,1] op_sel_hi:[0,1]
	v_pk_add_f32 v[0:1], v[0:1], v[6:7]
	v_pk_mul_f32 v[4:5], v[110:111], v[4:5] op_sel:[1,0] op_sel_hi:[0,0]
	v_pk_fma_f32 v[6:7], v[112:113], v[12:13], v[2:3] neg_lo:[0,0,1] neg_hi:[0,0,1]
	v_pk_fma_f32 v[2:3], v[112:113], v[12:13], v[2:3] op_sel_hi:[1,0,1]
	v_mov_b32_e32 v41, v120
	v_mov_b32_e32 v7, v3
	v_pk_fma_f32 v[2:3], v[110:111], v[14:15], v[4:5] neg_lo:[0,0,1] neg_hi:[0,0,1]
	v_pk_fma_f32 v[4:5], v[110:111], v[14:15], v[4:5] op_sel_hi:[1,0,1]
	v_pk_add_f32 v[0:1], v[0:1], v[6:7]
	v_mov_b32_e32 v3, v5
	v_pk_add_f32 v[0:1], v[0:1], v[2:3]
	v_pk_mul_f32 v[2:3], v[114:115], v[8:9] op_sel:[1,1] op_sel_hi:[0,1]
	v_pk_fma_f32 v[4:5], v[114:115], v[8:9], v[2:3] neg_lo:[0,0,1] neg_hi:[0,0,1]
	v_pk_fma_f32 v[2:3], v[114:115], v[8:9], v[2:3] op_sel_hi:[1,0,1]
	v_mov_b32_e32 v120, v121
	v_mov_b32_e32 v2, v11
	v_mov_b32_e32 v5, v3
	v_pk_mul_f32 v[2:3], v[116:117], v[2:3] op_sel:[1,0] op_sel_hi:[0,0]
	v_pk_add_f32 v[0:1], v[0:1], v[4:5]
	v_pk_fma_f32 v[4:5], v[116:117], v[10:11], v[2:3] neg_lo:[0,0,1] neg_hi:[0,0,1]
	v_pk_fma_f32 v[2:3], v[116:117], v[10:11], v[2:3] op_sel_hi:[1,0,1]
	v_mov_b32_e32 v42, v118
	v_mov_b32_e32 v5, v3
	v_pk_mul_f32 v[2:3], v[120:121], v[28:29]
	v_mov_b32_e32 v43, v118
	v_mov_b32_e32 v118, v119
	v_pk_add_f32 v[0:1], v[0:1], v[4:5]
	v_pk_fma_f32 v[4:5], v[40:41], v[28:29], v[2:3] op_sel:[0,0,1] op_sel_hi:[1,1,0] neg_lo:[0,0,1] neg_hi:[0,0,1]
	v_pk_fma_f32 v[2:3], v[40:41], v[28:29], v[2:3] op_sel:[0,0,1] op_sel_hi:[1,1,0]
	v_mov_b32_e32 v44, v122
	v_mov_b32_e32 v5, v3
	v_pk_mul_f32 v[2:3], v[118:119], v[30:31]
	v_mov_b32_e32 v45, v122
	v_mov_b32_e32 v122, v123
	v_pk_add_f32 v[0:1], v[0:1], v[4:5]
	v_pk_fma_f32 v[4:5], v[42:43], v[30:31], v[2:3] op_sel:[0,0,1] op_sel_hi:[1,1,0] neg_lo:[0,0,1] neg_hi:[0,0,1]
	v_pk_fma_f32 v[2:3], v[42:43], v[30:31], v[2:3] op_sel:[0,0,1] op_sel_hi:[1,1,0]
	;; [unrolled: 8-line block ×5, first 2 shown]
	v_mov_b32_e32 v164, v130
	v_mov_b32_e32 v5, v3
	v_pk_mul_f32 v[2:3], v[126:127], v[38:39]
	v_mov_b32_e32 v165, v130
	v_mov_b32_e32 v130, v131
	v_pk_fma_f32 v[6:7], v[162:163], v[38:39], v[2:3] op_sel:[0,0,1] op_sel_hi:[1,1,0] neg_lo:[0,0,1] neg_hi:[0,0,1]
	v_pk_fma_f32 v[2:3], v[162:163], v[38:39], v[2:3] op_sel:[0,0,1] op_sel_hi:[1,1,0]
	v_mov_b32_e32 v166, v132
	v_mov_b32_e32 v7, v3
	v_pk_mul_f32 v[2:3], v[130:131], v[32:33]
	v_mov_b32_e32 v167, v132
	v_mov_b32_e32 v132, v133
	v_pk_fma_f32 v[8:9], v[164:165], v[32:33], v[2:3] op_sel:[0,0,1] op_sel_hi:[1,1,0] neg_lo:[0,0,1] neg_hi:[0,0,1]
	v_pk_fma_f32 v[2:3], v[164:165], v[32:33], v[2:3] op_sel:[0,0,1] op_sel_hi:[1,1,0]
	v_pk_add_f32 v[0:1], v[0:1], v[4:5]
	v_mov_b32_e32 v9, v3
	v_pk_mul_f32 v[2:3], v[132:133], v[34:35]
	v_pk_add_f32 v[0:1], v[0:1], v[6:7]
	v_pk_fma_f32 v[10:11], v[166:167], v[34:35], v[2:3] op_sel:[0,0,1] op_sel_hi:[1,1,0] neg_lo:[0,0,1] neg_hi:[0,0,1]
	v_pk_fma_f32 v[2:3], v[166:167], v[34:35], v[2:3] op_sel:[0,0,1] op_sel_hi:[1,1,0]
	v_pk_add_f32 v[0:1], v[0:1], v[8:9]
	v_mov_b32_e32 v11, v3
	s_add_i32 s4, s2, 1
	s_add_i32 s8, s8, s24
	;; [unrolled: 1-line block ×3, first 2 shown]
	v_pk_add_f32 v[52:53], v[0:1], v[10:11]
	v_add_u32_e32 v100, 64, v100
	v_lshl_add_u64 v[58:59], v[58:59], 0, s[10:11]
	v_lshl_add_u64 v[60:61], v[60:61], 0, s[10:11]
	;; [unrolled: 1-line block ×19, first 2 shown]
	s_cmp_ge_u32 s2, s3
	v_lshl_add_u64 v[96:97], v[96:97], 0, s[10:11]
	s_barrier
	s_cbranch_scc0 .LBB34_137
.LBB34_193:
	s_movk_i32 s0, 0x218
	v_cmp_gt_i32_e32 vcc, s16, v50
	v_mad_u32_u24 v0, v49, s0, v51
	s_or_b64 s[0:1], s[18:19], vcc
	s_and_b64 s[0:1], s[12:13], s[0:1]
	ds_write_b64 v0, v[52:53]
	s_waitcnt lgkmcnt(0)
	s_barrier
	s_and_saveexec_b64 s[2:3], s[0:1]
	s_cbranch_execz .LBB34_195
; %bb.194:
	ds_read2_b64 v[0:3], v51 offset1:67
	ds_read2_b64 v[4:7], v51 offset0:134 offset1:201
	v_ashrrev_i32_e32 v49, 31, v48
	v_lshl_add_u64 v[8:9], v[48:49], 3, s[6:7]
	s_waitcnt lgkmcnt(1)
	v_pk_add_f32 v[0:1], v[2:3], v[0:1]
	s_waitcnt lgkmcnt(0)
	v_pk_add_f32 v[0:1], v[4:5], v[0:1]
	s_nop 0
	v_pk_add_f32 v[0:1], v[0:1], v[6:7]
	global_store_dwordx2 v[8:9], v[0:1], off
.LBB34_195:
	s_endpgm
	.section	.rodata,"a",@progbits
	.p2align	6, 0x0
	.amdhsa_kernel _ZL26rocblas_hemvn_kernel_upperILb1ELi64ELi4ELi33ELi32ELi16EiPK19rocblas_complex_numIfEPKS3_PS1_EviT6_lT7_lT5_lS8_lS9_lS7_lT8_i
		.amdhsa_group_segment_fixed_size 9600
		.amdhsa_private_segment_fixed_size 0
		.amdhsa_kernarg_size 376
		.amdhsa_user_sgpr_count 2
		.amdhsa_user_sgpr_dispatch_ptr 0
		.amdhsa_user_sgpr_queue_ptr 0
		.amdhsa_user_sgpr_kernarg_segment_ptr 1
		.amdhsa_user_sgpr_dispatch_id 0
		.amdhsa_user_sgpr_kernarg_preload_length 0
		.amdhsa_user_sgpr_kernarg_preload_offset 0
		.amdhsa_user_sgpr_private_segment_size 0
		.amdhsa_uses_dynamic_stack 0
		.amdhsa_enable_private_segment 0
		.amdhsa_system_sgpr_workgroup_id_x 1
		.amdhsa_system_sgpr_workgroup_id_y 0
		.amdhsa_system_sgpr_workgroup_id_z 1
		.amdhsa_system_sgpr_workgroup_info 0
		.amdhsa_system_vgpr_workitem_id 1
		.amdhsa_next_free_vgpr 170
		.amdhsa_next_free_sgpr 46
		.amdhsa_accum_offset 172
		.amdhsa_reserve_vcc 1
		.amdhsa_float_round_mode_32 0
		.amdhsa_float_round_mode_16_64 0
		.amdhsa_float_denorm_mode_32 3
		.amdhsa_float_denorm_mode_16_64 3
		.amdhsa_dx10_clamp 1
		.amdhsa_ieee_mode 1
		.amdhsa_fp16_overflow 0
		.amdhsa_tg_split 0
		.amdhsa_exception_fp_ieee_invalid_op 0
		.amdhsa_exception_fp_denorm_src 0
		.amdhsa_exception_fp_ieee_div_zero 0
		.amdhsa_exception_fp_ieee_overflow 0
		.amdhsa_exception_fp_ieee_underflow 0
		.amdhsa_exception_fp_ieee_inexact 0
		.amdhsa_exception_int_div_zero 0
	.end_amdhsa_kernel
	.section	.text._ZL26rocblas_hemvn_kernel_upperILb1ELi64ELi4ELi33ELi32ELi16EiPK19rocblas_complex_numIfEPKS3_PS1_EviT6_lT7_lT5_lS8_lS9_lS7_lT8_i,"axG",@progbits,_ZL26rocblas_hemvn_kernel_upperILb1ELi64ELi4ELi33ELi32ELi16EiPK19rocblas_complex_numIfEPKS3_PS1_EviT6_lT7_lT5_lS8_lS9_lS7_lT8_i,comdat
.Lfunc_end34:
	.size	_ZL26rocblas_hemvn_kernel_upperILb1ELi64ELi4ELi33ELi32ELi16EiPK19rocblas_complex_numIfEPKS3_PS1_EviT6_lT7_lT5_lS8_lS9_lS7_lT8_i, .Lfunc_end34-_ZL26rocblas_hemvn_kernel_upperILb1ELi64ELi4ELi33ELi32ELi16EiPK19rocblas_complex_numIfEPKS3_PS1_EviT6_lT7_lT5_lS8_lS9_lS7_lT8_i
                                        ; -- End function
	.set _ZL26rocblas_hemvn_kernel_upperILb1ELi64ELi4ELi33ELi32ELi16EiPK19rocblas_complex_numIfEPKS3_PS1_EviT6_lT7_lT5_lS8_lS9_lS7_lT8_i.num_vgpr, 170
	.set _ZL26rocblas_hemvn_kernel_upperILb1ELi64ELi4ELi33ELi32ELi16EiPK19rocblas_complex_numIfEPKS3_PS1_EviT6_lT7_lT5_lS8_lS9_lS7_lT8_i.num_agpr, 0
	.set _ZL26rocblas_hemvn_kernel_upperILb1ELi64ELi4ELi33ELi32ELi16EiPK19rocblas_complex_numIfEPKS3_PS1_EviT6_lT7_lT5_lS8_lS9_lS7_lT8_i.numbered_sgpr, 46
	.set _ZL26rocblas_hemvn_kernel_upperILb1ELi64ELi4ELi33ELi32ELi16EiPK19rocblas_complex_numIfEPKS3_PS1_EviT6_lT7_lT5_lS8_lS9_lS7_lT8_i.num_named_barrier, 0
	.set _ZL26rocblas_hemvn_kernel_upperILb1ELi64ELi4ELi33ELi32ELi16EiPK19rocblas_complex_numIfEPKS3_PS1_EviT6_lT7_lT5_lS8_lS9_lS7_lT8_i.private_seg_size, 0
	.set _ZL26rocblas_hemvn_kernel_upperILb1ELi64ELi4ELi33ELi32ELi16EiPK19rocblas_complex_numIfEPKS3_PS1_EviT6_lT7_lT5_lS8_lS9_lS7_lT8_i.uses_vcc, 1
	.set _ZL26rocblas_hemvn_kernel_upperILb1ELi64ELi4ELi33ELi32ELi16EiPK19rocblas_complex_numIfEPKS3_PS1_EviT6_lT7_lT5_lS8_lS9_lS7_lT8_i.uses_flat_scratch, 0
	.set _ZL26rocblas_hemvn_kernel_upperILb1ELi64ELi4ELi33ELi32ELi16EiPK19rocblas_complex_numIfEPKS3_PS1_EviT6_lT7_lT5_lS8_lS9_lS7_lT8_i.has_dyn_sized_stack, 0
	.set _ZL26rocblas_hemvn_kernel_upperILb1ELi64ELi4ELi33ELi32ELi16EiPK19rocblas_complex_numIfEPKS3_PS1_EviT6_lT7_lT5_lS8_lS9_lS7_lT8_i.has_recursion, 0
	.set _ZL26rocblas_hemvn_kernel_upperILb1ELi64ELi4ELi33ELi32ELi16EiPK19rocblas_complex_numIfEPKS3_PS1_EviT6_lT7_lT5_lS8_lS9_lS7_lT8_i.has_indirect_call, 0
	.section	.AMDGPU.csdata,"",@progbits
; Kernel info:
; codeLenInByte = 9392
; TotalNumSgprs: 52
; NumVgprs: 170
; NumAgprs: 0
; TotalNumVgprs: 170
; ScratchSize: 0
; MemoryBound: 1
; FloatMode: 240
; IeeeMode: 1
; LDSByteSize: 9600 bytes/workgroup (compile time only)
; SGPRBlocks: 6
; VGPRBlocks: 21
; NumSGPRsForWavesPerEU: 52
; NumVGPRsForWavesPerEU: 170
; AccumOffset: 172
; Occupancy: 2
; WaveLimiterHint : 1
; COMPUTE_PGM_RSRC2:SCRATCH_EN: 0
; COMPUTE_PGM_RSRC2:USER_SGPR: 2
; COMPUTE_PGM_RSRC2:TRAP_HANDLER: 0
; COMPUTE_PGM_RSRC2:TGID_X_EN: 1
; COMPUTE_PGM_RSRC2:TGID_Y_EN: 0
; COMPUTE_PGM_RSRC2:TGID_Z_EN: 1
; COMPUTE_PGM_RSRC2:TIDIG_COMP_CNT: 1
; COMPUTE_PGM_RSRC3_GFX90A:ACCUM_OFFSET: 42
; COMPUTE_PGM_RSRC3_GFX90A:TG_SPLIT: 0
	.section	.text._ZL36rocblas_hemvn_kernel_upper_block_sumILi64EiPK19rocblas_complex_numIfEPKPS1_S1_EviT1_lS7_lT2_lT0_lPT3_i,"axG",@progbits,_ZL36rocblas_hemvn_kernel_upper_block_sumILi64EiPK19rocblas_complex_numIfEPKPS1_S1_EviT1_lS7_lT2_lT0_lPT3_i,comdat
	.globl	_ZL36rocblas_hemvn_kernel_upper_block_sumILi64EiPK19rocblas_complex_numIfEPKPS1_S1_EviT1_lS7_lT2_lT0_lPT3_i ; -- Begin function _ZL36rocblas_hemvn_kernel_upper_block_sumILi64EiPK19rocblas_complex_numIfEPKPS1_S1_EviT1_lS7_lT2_lT0_lPT3_i
	.p2align	8
	.type	_ZL36rocblas_hemvn_kernel_upper_block_sumILi64EiPK19rocblas_complex_numIfEPKPS1_S1_EviT1_lS7_lT2_lT0_lPT3_i,@function
_ZL36rocblas_hemvn_kernel_upper_block_sumILi64EiPK19rocblas_complex_numIfEPKPS1_S1_EviT1_lS7_lT2_lT0_lPT3_i: ; @_ZL36rocblas_hemvn_kernel_upper_block_sumILi64EiPK19rocblas_complex_numIfEPKPS1_S1_EviT1_lS7_lT2_lT0_lPT3_i
; %bb.0:
	s_load_dwordx8 s[4:11], s[0:1], 0x8
	s_mov_b32 s12, s3
	s_mov_b32 s13, 0
	s_waitcnt lgkmcnt(0)
	s_mul_i32 s3, s7, s3
	s_mul_hi_u32 s7, s6, s12
	s_add_i32 s7, s7, s3
	s_mul_i32 s6, s6, s12
	s_lshl_b64 s[6:7], s[6:7], 3
	s_add_u32 s4, s4, s6
	s_mul_i32 s3, s11, s12
	s_mul_hi_u32 s6, s10, s12
	s_addc_u32 s5, s5, s7
	s_add_i32 s11, s6, s3
	s_mul_i32 s10, s10, s12
	s_load_dwordx2 s[6:7], s[4:5], 0x0
	s_lshl_b64 s[4:5], s[10:11], 3
	s_add_u32 s4, s8, s4
	s_addc_u32 s5, s9, s5
	s_load_dwordx2 s[8:9], s[4:5], 0x0
	s_waitcnt lgkmcnt(0)
	s_or_b32 s3, s6, s7
	s_bitset0_b32 s3, 31
	s_cmp_eq_u32 s3, 0
	s_cselect_b64 s[4:5], -1, 0
	v_cmp_eq_f32_e64 s[10:11], s8, 1.0
	v_cmp_eq_f32_e64 s[14:15], s9, 0
	s_and_b64 s[10:11], s[10:11], s[14:15]
	s_and_b64 s[10:11], s[4:5], s[10:11]
	s_and_b64 vcc, exec, s[10:11]
	s_cbranch_vccnz .LBB35_17
; %bb.1:
	s_load_dwordx4 s[16:19], s[0:1], 0x28
	s_load_dword s3, s[0:1], 0x38
	s_load_dword s14, s[0:1], 0x0
	s_lshl_b64 s[10:11], s[12:13], 3
	v_lshl_or_b32 v0, s2, 6, v0
	s_waitcnt lgkmcnt(0)
	s_add_u32 s10, s16, s10
	s_addc_u32 s11, s17, s11
	s_load_dwordx2 s[10:11], s[10:11], 0x0
	s_lshl_b64 s[18:19], s[18:19], 3
	s_mov_b64 s[16:17], -1
	s_waitcnt lgkmcnt(0)
	s_add_u32 s10, s10, s18
	s_addc_u32 s11, s11, s19
	s_andn2_b64 vcc, exec, s[4:5]
	v_cmp_gt_i32_e64 s[4:5], s14, v0
	s_cbranch_vccnz .LBB35_7
; %bb.2:
	s_and_saveexec_b64 s[16:17], s[4:5]
	s_cbranch_execz .LBB35_6
; %bb.3:
	v_cmp_neq_f32_e64 s[4:5], s8, 0
	v_cmp_neq_f32_e64 s[18:19], s9, 0
	v_mul_lo_u32 v4, s3, v0
	v_ashrrev_i32_e32 v5, 31, v4
	s_or_b64 s[4:5], s[4:5], s[18:19]
	v_mov_b32_e32 v2, 0
	s_andn2_b64 vcc, exec, s[4:5]
	v_lshl_add_u64 v[4:5], v[4:5], 3, s[10:11]
	v_mov_b32_e32 v3, 0
	s_cbranch_vccnz .LBB35_5
; %bb.4:
	flat_load_dwordx2 v[6:7], v[4:5]
	s_waitcnt vmcnt(0) lgkmcnt(0)
	v_pk_mul_f32 v[8:9], v[6:7], s[8:9] op_sel:[1,1] op_sel_hi:[1,0]
	s_nop 0
	v_pk_fma_f32 v[2:3], v[6:7], s[8:9], v[8:9] neg_lo:[0,0,1] neg_hi:[0,0,1]
	v_pk_fma_f32 v[6:7], v[6:7], s[8:9], v[8:9] op_sel_hi:[0,1,1]
	v_mov_b32_e32 v3, v7
.LBB35_5:
	flat_store_dwordx2 v[4:5], v[2:3]
.LBB35_6:
	s_or_b64 exec, exec, s[16:17]
	s_mov_b64 s[16:17], 0
.LBB35_7:
	s_andn2_b64 vcc, exec, s[16:17]
	s_cbranch_vccnz .LBB35_17
; %bb.8:
	v_cmp_gt_i32_e32 vcc, s14, v0
	s_and_saveexec_b64 s[4:5], vcc
	s_cbranch_execz .LBB35_17
; %bb.9:
	v_mov_b32_e32 v3, 0
	s_cmp_lt_i32 s2, 0
	v_mov_b32_e32 v2, v3
	s_cbranch_scc1 .LBB35_12
; %bb.10:
	s_load_dwordx2 s[4:5], s[0:1], 0x48
	s_load_dword s13, s[0:1], 0x58
	s_ashr_i32 s15, s14, 31
	s_mul_hi_u32 s0, s14, s12
	s_mul_i32 s1, s15, s12
	s_add_i32 s0, s0, s1
	s_mul_i32 s12, s14, s12
	s_waitcnt lgkmcnt(0)
	s_mul_i32 s0, s0, s13
	s_mul_hi_u32 s1, s12, s13
	s_add_i32 s1, s1, s0
	s_mul_i32 s0, s12, s13
	s_lshl_b64 s[0:1], s[0:1], 3
	s_add_u32 s0, s4, s0
	s_addc_u32 s1, s5, s1
	v_mov_b32_e32 v1, 0
	v_lshl_add_u64 v[4:5], v[0:1], 3, s[0:1]
	s_add_i32 s2, s2, 1
	s_lshl_b64 s[0:1], s[14:15], 3
	v_mov_b32_e32 v2, v1
	v_mov_b32_e32 v3, v1
.LBB35_11:                              ; =>This Inner Loop Header: Depth=1
	global_load_dwordx2 v[6:7], v[4:5], off
	s_add_i32 s2, s2, -1
	v_lshl_add_u64 v[4:5], v[4:5], 0, s[0:1]
	s_cmp_eq_u32 s2, 0
	s_waitcnt vmcnt(0)
	v_pk_add_f32 v[2:3], v[2:3], v[6:7]
	s_cbranch_scc0 .LBB35_11
.LBB35_12:
	v_cmp_neq_f32_e64 s[0:1], s8, 0
	v_cmp_neq_f32_e64 s[4:5], s9, 0
	s_or_b64 s[0:1], s[0:1], s[4:5]
	v_pk_mul_f32 v[6:7], v[2:3], s[6:7] op_sel:[1,1] op_sel_hi:[1,0]
	v_mul_lo_u32 v4, s3, v0
	s_andn2_b64 vcc, exec, s[0:1]
	v_pk_fma_f32 v[0:1], v[2:3], s[6:7], v[6:7] op_sel_hi:[0,1,1]
	v_ashrrev_i32_e32 v5, 31, v4
	s_cbranch_vccz .LBB35_14
; %bb.13:
	v_pk_mul_f32 v[8:9], v[2:3], s[6:7]
	s_nop 0
	v_sub_f32_e32 v0, v8, v6
	s_cbranch_execz .LBB35_15
	s_branch .LBB35_16
.LBB35_14:
.LBB35_15:
	v_lshl_add_u64 v[8:9], v[4:5], 3, s[10:11]
	flat_load_dwordx2 v[8:9], v[8:9]
	v_pk_fma_f32 v[2:3], v[2:3], s[6:7], v[6:7] neg_lo:[0,0,1] neg_hi:[0,0,1]
	s_waitcnt vmcnt(0) lgkmcnt(0)
	v_pk_mul_f32 v[6:7], v[8:9], s[8:9] op_sel:[1,1] op_sel_hi:[1,0]
	s_nop 0
	v_pk_fma_f32 v[10:11], v[8:9], s[8:9], v[6:7] neg_lo:[0,0,1] neg_hi:[0,0,1]
	v_pk_fma_f32 v[6:7], v[8:9], s[8:9], v[6:7] op_sel_hi:[0,1,1]
	v_mov_b32_e32 v11, v7
	v_mov_b32_e32 v3, v1
	v_pk_add_f32 v[0:1], v[2:3], v[10:11]
.LBB35_16:
	v_lshl_add_u64 v[2:3], v[4:5], 3, s[10:11]
	flat_store_dwordx2 v[2:3], v[0:1]
.LBB35_17:
	s_endpgm
	.section	.rodata,"a",@progbits
	.p2align	6, 0x0
	.amdhsa_kernel _ZL36rocblas_hemvn_kernel_upper_block_sumILi64EiPK19rocblas_complex_numIfEPKPS1_S1_EviT1_lS7_lT2_lT0_lPT3_i
		.amdhsa_group_segment_fixed_size 0
		.amdhsa_private_segment_fixed_size 0
		.amdhsa_kernarg_size 344
		.amdhsa_user_sgpr_count 2
		.amdhsa_user_sgpr_dispatch_ptr 0
		.amdhsa_user_sgpr_queue_ptr 0
		.amdhsa_user_sgpr_kernarg_segment_ptr 1
		.amdhsa_user_sgpr_dispatch_id 0
		.amdhsa_user_sgpr_kernarg_preload_length 0
		.amdhsa_user_sgpr_kernarg_preload_offset 0
		.amdhsa_user_sgpr_private_segment_size 0
		.amdhsa_uses_dynamic_stack 0
		.amdhsa_enable_private_segment 0
		.amdhsa_system_sgpr_workgroup_id_x 1
		.amdhsa_system_sgpr_workgroup_id_y 0
		.amdhsa_system_sgpr_workgroup_id_z 1
		.amdhsa_system_sgpr_workgroup_info 0
		.amdhsa_system_vgpr_workitem_id 0
		.amdhsa_next_free_vgpr 12
		.amdhsa_next_free_sgpr 20
		.amdhsa_accum_offset 12
		.amdhsa_reserve_vcc 1
		.amdhsa_float_round_mode_32 0
		.amdhsa_float_round_mode_16_64 0
		.amdhsa_float_denorm_mode_32 3
		.amdhsa_float_denorm_mode_16_64 3
		.amdhsa_dx10_clamp 1
		.amdhsa_ieee_mode 1
		.amdhsa_fp16_overflow 0
		.amdhsa_tg_split 0
		.amdhsa_exception_fp_ieee_invalid_op 0
		.amdhsa_exception_fp_denorm_src 0
		.amdhsa_exception_fp_ieee_div_zero 0
		.amdhsa_exception_fp_ieee_overflow 0
		.amdhsa_exception_fp_ieee_underflow 0
		.amdhsa_exception_fp_ieee_inexact 0
		.amdhsa_exception_int_div_zero 0
	.end_amdhsa_kernel
	.section	.text._ZL36rocblas_hemvn_kernel_upper_block_sumILi64EiPK19rocblas_complex_numIfEPKPS1_S1_EviT1_lS7_lT2_lT0_lPT3_i,"axG",@progbits,_ZL36rocblas_hemvn_kernel_upper_block_sumILi64EiPK19rocblas_complex_numIfEPKPS1_S1_EviT1_lS7_lT2_lT0_lPT3_i,comdat
.Lfunc_end35:
	.size	_ZL36rocblas_hemvn_kernel_upper_block_sumILi64EiPK19rocblas_complex_numIfEPKPS1_S1_EviT1_lS7_lT2_lT0_lPT3_i, .Lfunc_end35-_ZL36rocblas_hemvn_kernel_upper_block_sumILi64EiPK19rocblas_complex_numIfEPKPS1_S1_EviT1_lS7_lT2_lT0_lPT3_i
                                        ; -- End function
	.set _ZL36rocblas_hemvn_kernel_upper_block_sumILi64EiPK19rocblas_complex_numIfEPKPS1_S1_EviT1_lS7_lT2_lT0_lPT3_i.num_vgpr, 12
	.set _ZL36rocblas_hemvn_kernel_upper_block_sumILi64EiPK19rocblas_complex_numIfEPKPS1_S1_EviT1_lS7_lT2_lT0_lPT3_i.num_agpr, 0
	.set _ZL36rocblas_hemvn_kernel_upper_block_sumILi64EiPK19rocblas_complex_numIfEPKPS1_S1_EviT1_lS7_lT2_lT0_lPT3_i.numbered_sgpr, 20
	.set _ZL36rocblas_hemvn_kernel_upper_block_sumILi64EiPK19rocblas_complex_numIfEPKPS1_S1_EviT1_lS7_lT2_lT0_lPT3_i.num_named_barrier, 0
	.set _ZL36rocblas_hemvn_kernel_upper_block_sumILi64EiPK19rocblas_complex_numIfEPKPS1_S1_EviT1_lS7_lT2_lT0_lPT3_i.private_seg_size, 0
	.set _ZL36rocblas_hemvn_kernel_upper_block_sumILi64EiPK19rocblas_complex_numIfEPKPS1_S1_EviT1_lS7_lT2_lT0_lPT3_i.uses_vcc, 1
	.set _ZL36rocblas_hemvn_kernel_upper_block_sumILi64EiPK19rocblas_complex_numIfEPKPS1_S1_EviT1_lS7_lT2_lT0_lPT3_i.uses_flat_scratch, 0
	.set _ZL36rocblas_hemvn_kernel_upper_block_sumILi64EiPK19rocblas_complex_numIfEPKPS1_S1_EviT1_lS7_lT2_lT0_lPT3_i.has_dyn_sized_stack, 0
	.set _ZL36rocblas_hemvn_kernel_upper_block_sumILi64EiPK19rocblas_complex_numIfEPKPS1_S1_EviT1_lS7_lT2_lT0_lPT3_i.has_recursion, 0
	.set _ZL36rocblas_hemvn_kernel_upper_block_sumILi64EiPK19rocblas_complex_numIfEPKPS1_S1_EviT1_lS7_lT2_lT0_lPT3_i.has_indirect_call, 0
	.section	.AMDGPU.csdata,"",@progbits
; Kernel info:
; codeLenInByte = 704
; TotalNumSgprs: 26
; NumVgprs: 12
; NumAgprs: 0
; TotalNumVgprs: 12
; ScratchSize: 0
; MemoryBound: 0
; FloatMode: 240
; IeeeMode: 1
; LDSByteSize: 0 bytes/workgroup (compile time only)
; SGPRBlocks: 3
; VGPRBlocks: 1
; NumSGPRsForWavesPerEU: 26
; NumVGPRsForWavesPerEU: 12
; AccumOffset: 12
; Occupancy: 8
; WaveLimiterHint : 1
; COMPUTE_PGM_RSRC2:SCRATCH_EN: 0
; COMPUTE_PGM_RSRC2:USER_SGPR: 2
; COMPUTE_PGM_RSRC2:TRAP_HANDLER: 0
; COMPUTE_PGM_RSRC2:TGID_X_EN: 1
; COMPUTE_PGM_RSRC2:TGID_Y_EN: 0
; COMPUTE_PGM_RSRC2:TGID_Z_EN: 1
; COMPUTE_PGM_RSRC2:TIDIG_COMP_CNT: 0
; COMPUTE_PGM_RSRC3_GFX90A:ACCUM_OFFSET: 2
; COMPUTE_PGM_RSRC3_GFX90A:TG_SPLIT: 0
	.section	.text._ZL26rocblas_hemvn_kernel_upperILb1ELi64ELi4ELi33ELi32ELi16El19rocblas_complex_numIfEPKPKS1_PS1_EviT6_lT7_lT5_lS8_lS9_lS7_lT8_i,"axG",@progbits,_ZL26rocblas_hemvn_kernel_upperILb1ELi64ELi4ELi33ELi32ELi16El19rocblas_complex_numIfEPKPKS1_PS1_EviT6_lT7_lT5_lS8_lS9_lS7_lT8_i,comdat
	.globl	_ZL26rocblas_hemvn_kernel_upperILb1ELi64ELi4ELi33ELi32ELi16El19rocblas_complex_numIfEPKPKS1_PS1_EviT6_lT7_lT5_lS8_lS9_lS7_lT8_i ; -- Begin function _ZL26rocblas_hemvn_kernel_upperILb1ELi64ELi4ELi33ELi32ELi16El19rocblas_complex_numIfEPKPKS1_PS1_EviT6_lT7_lT5_lS8_lS9_lS7_lT8_i
	.p2align	8
	.type	_ZL26rocblas_hemvn_kernel_upperILb1ELi64ELi4ELi33ELi32ELi16El19rocblas_complex_numIfEPKPKS1_PS1_EviT6_lT7_lT5_lS8_lS9_lS7_lT8_i,@function
_ZL26rocblas_hemvn_kernel_upperILb1ELi64ELi4ELi33ELi32ELi16El19rocblas_complex_numIfEPKPKS1_PS1_EviT6_lT7_lT5_lS8_lS9_lS7_lT8_i: ; @_ZL26rocblas_hemvn_kernel_upperILb1ELi64ELi4ELi33ELi32ELi16El19rocblas_complex_numIfEPKPKS1_PS1_EviT6_lT7_lT5_lS8_lS9_lS7_lT8_i
; %bb.0:
	s_load_dwordx2 s[4:5], s[0:1], 0x84
	s_add_u32 s8, s0, 0x78
	s_mov_b32 s28, s3
	s_addc_u32 s9, s1, 0
	s_waitcnt lgkmcnt(0)
	s_and_b32 s3, s5, 0xffff
	s_lshr_b32 s5, s4, 16
	s_and_b32 s4, s4, 0xffff
	s_mul_i32 s4, s5, s4
	s_mul_i32 s4, s4, s3
	s_cmpk_lg_i32 s4, 0x100
	s_cbranch_scc1 .LBB36_195
; %bb.1:
	s_load_dwordx2 s[4:5], s[0:1], 0x4
	s_waitcnt lgkmcnt(0)
	s_or_b32 s3, s4, s5
	s_bitset0_b32 s3, 31
	s_cmp_lg_u32 s3, 0
	s_mov_b64 s[4:5], -1
	s_cbranch_scc1 .LBB36_3
; %bb.2:
	s_load_dwordx2 s[4:5], s[0:1], 0x58
	s_waitcnt lgkmcnt(0)
	v_cmp_eq_f32_e64 s[6:7], s4, 1.0
	v_cmp_eq_f32_e64 s[4:5], s5, 0
	s_and_b64 s[4:5], s[6:7], s[4:5]
	s_andn2_b64 vcc, exec, s[4:5]
	s_mov_b64 s[4:5], 0
.LBB36_3:
	s_andn2_b64 vcc, exec, s[4:5]
	s_cbranch_vccnz .LBB36_195
; %bb.4:
	s_load_dword s33, s[0:1], 0x0
	s_load_dwordx4 s[4:7], s[0:1], 0x18
	s_load_dwordx2 s[24:25], s[0:1], 0x28
	s_load_dwordx4 s[12:15], s[0:1], 0x38
	s_mov_b32 s29, 0
	s_lshl_b64 s[10:11], s[28:29], 3
	s_waitcnt lgkmcnt(0)
	s_add_u32 s16, s4, s10
	s_addc_u32 s17, s5, s11
	s_add_u32 s10, s12, s10
	s_addc_u32 s11, s13, s11
	s_load_dwordx2 s[12:13], s[10:11], 0x0
	s_load_dword s3, s[8:9], 0x0
	s_load_dwordx2 s[18:19], s[0:1], 0x48
	s_load_dwordx2 s[4:5], s[16:17], 0x0
	s_lshl_b64 s[8:9], s[14:15], 3
	s_waitcnt lgkmcnt(0)
	s_add_u32 s8, s12, s8
	s_addc_u32 s9, s13, s9
	s_ashr_i32 s36, s33, 31
	s_lshr_b32 s11, s36, 26
	v_and_b32_e32 v122, 0x3ff, v0
	s_lshl_b32 s26, s2, 6
	s_add_i32 s11, s33, s11
	s_andn2_b32 s11, s11, 63
	v_add_u32_e32 v48, s26, v122
	s_add_i32 s10, s3, -1
	s_sub_i32 s29, s33, s11
	v_ashrrev_i32_e32 v49, 31, v48
	v_bfe_u32 v123, v0, 10, 10
	s_cmp_eq_u32 s2, s10
	v_mul_lo_u32 v2, s18, v49
	v_mul_lo_u32 v3, s19, v48
	v_mad_u64_u32 v[0:1], s[10:11], s18, v48, 0
	v_add3_u32 v1, v1, v2, v3
	s_cselect_b32 s20, s29, 0
	v_lshl_add_u64 v[12:13], v[0:1], 3, s[8:9]
	v_cmp_eq_u32_e64 s[14:15], 0, v123
	s_and_saveexec_b64 s[8:9], s[14:15]
	s_cbranch_execz .LBB36_9
; %bb.5:
	s_cmp_lg_u32 s20, 0
	s_cselect_b64 s[10:11], -1, 0
	v_cmp_le_i32_e32 vcc, s20, v122
	v_mov_b32_e32 v0, 0x2380
	s_and_b64 s[10:11], s[10:11], vcc
	v_lshl_add_u32 v0, v122, 3, v0
	s_and_saveexec_b64 s[12:13], s[10:11]
	s_xor_b64 s[10:11], exec, s[12:13]
; %bb.6:
	v_mov_b32_e32 v2, 0
	v_mov_b32_e32 v3, v2
	ds_write_b64 v0, v[2:3]
                                        ; implicit-def: $vgpr0
; %bb.7:
	s_andn2_saveexec_b64 s[10:11], s[10:11]
	s_cbranch_execz .LBB36_9
; %bb.8:
	flat_load_dwordx2 v[2:3], v[12:13]
	s_waitcnt vmcnt(0) lgkmcnt(0)
	ds_write_b64 v0, v[2:3]
.LBB36_9:
	s_or_b64 exec, exec, s[8:9]
	s_lshl_b64 s[6:7], s[6:7], 3
	s_add_u32 s6, s4, s6
	s_addc_u32 s7, s5, s7
	s_ashr_i32 s27, s26, 31
	v_lshl_add_u32 v22, v123, 6, v122
	s_lshl_b64 s[4:5], s[26:27], 3
	v_and_b32_e32 v2, 31, v122
	v_lshrrev_b32_e32 v10, 5, v22
	s_add_u32 s4, s6, s4
	v_mov_b32_e32 v3, 0
	s_addc_u32 s5, s7, s5
	v_mad_u64_u32 v[14:15], s[6:7], s24, v10, v[2:3]
	v_mov_b32_e32 v0, v15
	v_mad_u64_u32 v[0:1], s[6:7], s25, v10, v[0:1]
	v_mov_b32_e32 v15, v0
	v_lshl_add_u64 v[0:1], v[14:15], 3, s[4:5]
	s_mul_hi_u32 s4, s24, s26
	s_mul_i32 s5, s24, s27
	s_add_i32 s4, s4, s5
	s_mul_i32 s5, s25, s26
	s_add_i32 s5, s4, s5
	s_cmp_eq_u32 s20, 0
	s_cselect_b64 s[22:23], -1, 0
	s_cmp_lg_u32 s20, 0
	s_mul_i32 s4, s24, s26
	s_cselect_b64 s[30:31], -1, 0
	v_lshl_add_u64 v[6:7], s[4:5], 3, v[0:1]
	s_and_b64 vcc, exec, s[30:31]
	v_cmp_gt_i32_e64 s[4:5], s20, v2
	v_lshlrev_b32_e32 v0, 3, v2
	s_cbranch_vccz .LBB36_25
; %bb.10:
	v_sub_co_u32_e32 v4, vcc, v6, v0
	s_ashr_i32 s21, s20, 31
	s_nop 0
	v_subbrev_co_u32_e32 v5, vcc, 0, v7, vcc
	v_lshl_add_u64 v[4:5], s[20:21], 3, v[4:5]
	v_lshl_add_u64 v[4:5], v[4:5], 0, -8
	v_cndmask_b32_e64 v5, v5, v7, s[4:5]
	v_cndmask_b32_e64 v4, v4, v6, s[4:5]
	v_cmp_gt_i32_e32 vcc, s20, v10
	v_mov_b32_e32 v9, 0
	s_and_saveexec_b64 s[6:7], vcc
	s_cbranch_execz .LBB36_12
; %bb.11:
	flat_load_dwordx2 v[8:9], v[4:5]
	s_waitcnt vmcnt(0) lgkmcnt(0)
	v_mov_b32_e32 v3, v8
.LBB36_12:
	s_or_b64 exec, exec, s[6:7]
	v_lshlrev_b32_e32 v1, 3, v2
	s_movk_i32 s6, 0x108
	v_mov_b32_e32 v8, v3
	v_mad_u32_u24 v3, v10, s6, v1
	v_mul_u32_u24_e32 v11, 0x108, v10
	ds_write_b64 v3, v[8:9]
	v_add_u32_e32 v3, 8, v10
	v_cmp_le_i32_e32 vcc, s20, v3
	v_add_u32_e32 v1, v11, v1
	s_and_saveexec_b64 s[6:7], vcc
	s_xor_b64 s[6:7], exec, s[6:7]
; %bb.13:
	v_mov_b32_e32 v8, 0
	v_mov_b32_e32 v9, v8
	ds_write_b64 v1, v[8:9] offset:2112
; %bb.14:
	s_andn2_saveexec_b64 s[6:7], s[6:7]
	s_cbranch_execz .LBB36_16
; %bb.15:
	s_lshl_b64 s[8:9], s[24:25], 6
	v_lshl_add_u64 v[8:9], v[4:5], 0, s[8:9]
	flat_load_dwordx2 v[8:9], v[8:9]
	s_waitcnt vmcnt(0) lgkmcnt(0)
	ds_write_b64 v1, v[8:9] offset:2112
.LBB36_16:
	s_or_b64 exec, exec, s[6:7]
	v_add_u32_e32 v3, 16, v10
	v_cmp_le_i32_e32 vcc, s20, v3
	s_and_saveexec_b64 s[6:7], vcc
	s_xor_b64 s[6:7], exec, s[6:7]
; %bb.17:
	v_mov_b32_e32 v8, 0
	v_mov_b32_e32 v9, v8
	ds_write_b64 v1, v[8:9] offset:4224
; %bb.18:
	s_andn2_saveexec_b64 s[6:7], s[6:7]
	s_cbranch_execz .LBB36_20
; %bb.19:
	s_lshl_b64 s[8:9], s[24:25], 7
	v_lshl_add_u64 v[8:9], v[4:5], 0, s[8:9]
	flat_load_dwordx2 v[8:9], v[8:9]
	s_waitcnt vmcnt(0) lgkmcnt(0)
	ds_write_b64 v1, v[8:9] offset:4224
.LBB36_20:
	s_or_b64 exec, exec, s[6:7]
	v_add_u32_e32 v3, 24, v10
	v_cmp_le_i32_e32 vcc, s20, v3
	s_and_saveexec_b64 s[6:7], vcc
	s_xor_b64 s[6:7], exec, s[6:7]
; %bb.21:
	v_mov_b32_e32 v8, 0
	v_mov_b32_e32 v9, v8
	ds_write_b64 v1, v[8:9] offset:6336
                                        ; implicit-def: $vgpr1
; %bb.22:
	s_andn2_saveexec_b64 s[6:7], s[6:7]
	s_cbranch_execz .LBB36_24
; %bb.23:
	v_mov_b32_e32 v3, 0xc0
	v_mad_u64_u32 v[8:9], s[8:9], s24, v3, v[4:5]
	s_mul_i32 s8, s25, 0xc0
	s_nop 0
	v_add_u32_e32 v9, s8, v9
	flat_load_dwordx2 v[8:9], v[8:9]
	s_waitcnt vmcnt(0) lgkmcnt(0)
	ds_write_b64 v1, v[8:9] offset:6336
.LBB36_24:
	s_or_b64 exec, exec, s[6:7]
	v_mov_b32_e32 v1, 0
	v_lshl_add_u64 v[4:5], v[4:5], 0, v[0:1]
	s_lshl_b64 s[6:7], s[20:21], 3
	v_mov_b32_e32 v1, s7
	v_subrev_co_u32_e32 v4, vcc, s6, v4
	s_nop 1
	v_subb_co_u32_e32 v5, vcc, v5, v1, vcc
	v_lshl_add_u64 v[4:5], v[4:5], 0, 8
	v_cndmask_b32_e64 v5, v5, v7, s[4:5]
	v_cndmask_b32_e64 v4, v4, v6, s[4:5]
	s_branch .LBB36_27
.LBB36_25:
                                        ; implicit-def: $vgpr4_vgpr5
	s_cbranch_execz .LBB36_27
; %bb.26:
	s_lshl_b64 s[4:5], s[24:25], 6
	v_lshl_add_u64 v[4:5], v[6:7], 0, s[4:5]
	v_lshl_add_u64 v[8:9], v[4:5], 0, s[4:5]
	;; [unrolled: 1-line block ×3, first 2 shown]
	flat_load_dwordx2 v[18:19], v[6:7]
	flat_load_dwordx2 v[20:21], v[4:5]
	;; [unrolled: 1-line block ×4, first 2 shown]
	v_mul_u32_u24_e32 v1, 0x108, v10
	v_lshl_add_u32 v1, v2, 3, v1
	v_mov_b64_e32 v[4:5], v[6:7]
	s_waitcnt vmcnt(0) lgkmcnt(0)
	ds_write_b64 v1, v[18:19]
	ds_write_b64 v1, v[20:21] offset:2112
	ds_write_b64 v1, v[24:25] offset:4224
	;; [unrolled: 1-line block ×3, first 2 shown]
.LBB36_27:
	v_lshlrev_b32_e32 v16, 2, v10
	v_lshlrev_b32_e32 v11, 3, v2
	v_mul_u32_u24_e32 v3, 0x108, v2
	v_cmp_le_u32_e64 s[6:7], v16, v2
	s_mov_b64 s[4:5], 0
	s_waitcnt lgkmcnt(0)
	s_barrier
                                        ; implicit-def: $vgpr6
	s_and_saveexec_b64 s[8:9], s[6:7]
	s_xor_b64 s[8:9], exec, s[8:9]
	s_cbranch_execz .LBB36_31
; %bb.28:
	v_cmp_eq_u32_e32 vcc, v16, v2
                                        ; implicit-def: $vgpr6
	s_and_saveexec_b64 s[10:11], vcc
	s_xor_b64 s[10:11], exec, s[10:11]
; %bb.29:
	s_mov_b64 s[4:5], exec
	v_add_u32_e32 v6, v11, v3
; %bb.30:
	s_or_b64 exec, exec, s[10:11]
	s_and_b64 s[4:5], s[4:5], exec
.LBB36_31:
	s_or_saveexec_b64 s[8:9], s[8:9]
	v_lshl_or_b32 v1, v2, 8, v11
	v_mov_b32_e32 v7, 0
	v_lshl_add_u32 v1, v16, 3, v1
	s_xor_b64 exec, exec, s[8:9]
	s_cbranch_execz .LBB36_33
; %bb.32:
	s_movk_i32 s10, 0x420
	v_mad_u32_u24 v6, v10, s10, v11
	ds_read_b64 v[6:7], v6
	s_or_b64 s[4:5], s[4:5], exec
	s_waitcnt lgkmcnt(0)
	v_xor_b32_e32 v7, 0x80000000, v7
	ds_write_b32 v1, v6
	v_mov_b32_e32 v6, v1
.LBB36_33:
	s_or_b64 exec, exec, s[8:9]
	s_and_saveexec_b64 s[8:9], s[4:5]
; %bb.34:
	ds_write_b32 v6, v7 offset:4
; %bb.35:
	s_or_b64 exec, exec, s[8:9]
	v_or_b32_e32 v17, 1, v16
	v_cmp_ge_u32_e64 s[8:9], v16, v2
	s_mov_b64 s[4:5], 0
                                        ; implicit-def: $vgpr7
                                        ; implicit-def: $vgpr6
	s_and_saveexec_b64 s[10:11], s[8:9]
	s_xor_b64 s[10:11], exec, s[10:11]
	s_cbranch_execz .LBB36_69
; %bb.36:
	s_movk_i32 s12, 0x108
	v_mad_u32_u24 v6, v17, s12, v11
	ds_read_b64 v[8:9], v6
	s_mov_b64 s[4:5], exec
	v_add_u32_e32 v6, 8, v1
	s_waitcnt lgkmcnt(0)
	v_xor_b32_e32 v7, 0x80000000, v9
	ds_write_b32 v1, v8 offset:8
	s_andn2_saveexec_b64 s[10:11], s[10:11]
	s_cbranch_execnz .LBB36_70
.LBB36_37:
	s_or_b64 exec, exec, s[10:11]
	s_and_saveexec_b64 s[10:11], s[4:5]
.LBB36_38:
	ds_write_b32 v6, v7 offset:4
.LBB36_39:
	s_or_b64 exec, exec, s[10:11]
	v_or_b32_e32 v18, 2, v16
	v_cmp_le_u32_e64 s[10:11], v18, v2
	s_mov_b64 s[4:5], 0
                                        ; implicit-def: $vgpr6
	s_and_saveexec_b64 s[12:13], s[10:11]
	s_xor_b64 s[12:13], exec, s[12:13]
	s_cbranch_execz .LBB36_73
; %bb.40:
	v_cmp_eq_u32_e32 vcc, v18, v2
                                        ; implicit-def: $vgpr6
	s_and_saveexec_b64 s[16:17], vcc
; %bb.41:
	s_mov_b64 s[4:5], exec
	v_add_u32_e32 v6, v11, v3
; %bb.42:
	s_or_b64 exec, exec, s[16:17]
	s_and_b64 s[4:5], s[4:5], exec
	s_or_saveexec_b64 s[12:13], s[12:13]
	v_mov_b32_e32 v7, 0
	s_xor_b64 exec, exec, s[12:13]
	s_cbranch_execnz .LBB36_74
.LBB36_43:
	s_or_b64 exec, exec, s[12:13]
	s_and_saveexec_b64 s[12:13], s[4:5]
.LBB36_44:
	ds_write_b32 v6, v7 offset:4
.LBB36_45:
	s_or_b64 exec, exec, s[12:13]
	v_or_b32_e32 v19, 3, v16
	v_cmp_le_u32_e64 s[12:13], v19, v2
	s_mov_b64 s[4:5], 0
                                        ; implicit-def: $vgpr6
	s_and_saveexec_b64 s[16:17], s[12:13]
	s_xor_b64 s[16:17], exec, s[16:17]
	s_cbranch_execz .LBB36_75
; %bb.46:
	v_cmp_eq_u32_e32 vcc, v19, v2
                                        ; implicit-def: $vgpr6
	s_and_saveexec_b64 s[34:35], vcc
; %bb.47:
	s_mov_b64 s[4:5], exec
	v_add_u32_e32 v6, v11, v3
; %bb.48:
	s_or_b64 exec, exec, s[34:35]
	s_and_b64 s[4:5], s[4:5], exec
                                        ; implicit-def: $vgpr1
	s_or_saveexec_b64 s[16:17], s[16:17]
	v_mov_b32_e32 v7, 0
	s_xor_b64 exec, exec, s[16:17]
	s_cbranch_execnz .LBB36_76
.LBB36_49:
	s_or_b64 exec, exec, s[16:17]
	s_and_saveexec_b64 s[16:17], s[4:5]
.LBB36_50:
	ds_write_b32 v6, v7 offset:4
.LBB36_51:
	s_or_b64 exec, exec, s[16:17]
	s_movk_i32 s4, 0x420
	v_mad_u32_u24 v1, v10, s4, v11
	s_movk_i32 s4, 0x108
	v_mad_u32_u24 v21, v17, s4, v11
	s_waitcnt lgkmcnt(0)
	s_barrier
	v_lshlrev_b32_e32 v20, 3, v16
	ds_read2_b64 v[6:9], v21 offset1:33
	ds_read_b64 v[34:35], v1
	ds_read_b128 v[26:29], v20 offset:9088
	ds_read_b64 v[36:37], v21 offset:528
	ds_read_b128 v[30:33], v20 offset:9104
	v_mul_u32_u24_e32 v23, 33, v2
	v_lshlrev_b32_e32 v23, 3, v23
	v_mov_b32_e32 v50, 0
	s_waitcnt lgkmcnt(2)
	v_pk_mul_f32 v[38:39], v[26:27], v[34:35] op_sel:[1,1] op_sel_hi:[0,1]
	v_pk_fma_f32 v[40:41], v[26:27], v[34:35], v[38:39] neg_lo:[0,0,1] neg_hi:[0,0,1]
	v_pk_fma_f32 v[26:27], v[26:27], v[34:35], v[38:39] op_sel_hi:[1,0,1]
	v_pk_mul_f32 v[34:35], v[28:29], v[6:7] op_sel:[1,1] op_sel_hi:[0,1]
	v_mov_b32_e32 v41, v27
	v_pk_fma_f32 v[38:39], v[28:29], v[6:7], v[34:35] neg_lo:[0,0,1] neg_hi:[0,0,1]
	v_pk_fma_f32 v[6:7], v[28:29], v[6:7], v[34:35] op_sel_hi:[1,0,1]
	v_pk_add_f32 v[26:27], v[40:41], 0 op_sel_hi:[1,0]
	v_mov_b32_e32 v39, v7
	v_pk_add_f32 v[6:7], v[26:27], v[38:39]
	s_waitcnt lgkmcnt(0)
	v_pk_mul_f32 v[26:27], v[30:31], v[8:9] op_sel:[1,1] op_sel_hi:[0,1]
	v_pk_fma_f32 v[28:29], v[30:31], v[8:9], v[26:27] neg_lo:[0,0,1] neg_hi:[0,0,1]
	v_pk_fma_f32 v[8:9], v[30:31], v[8:9], v[26:27] op_sel_hi:[1,0,1]
	v_lshl_add_u32 v24, v10, 3, v23
	v_mov_b32_e32 v29, v9
	v_pk_mul_f32 v[8:9], v[32:33], v[36:37] op_sel:[1,1] op_sel_hi:[0,1]
	v_pk_fma_f32 v[26:27], v[32:33], v[36:37], v[8:9] neg_lo:[0,0,1] neg_hi:[0,0,1]
	v_pk_fma_f32 v[8:9], v[32:33], v[36:37], v[8:9] op_sel_hi:[1,0,1]
	v_pk_add_f32 v[6:7], v[6:7], v[28:29]
	v_mov_b32_e32 v27, v9
	v_mov_b32_e32 v51, v50
	v_pk_add_f32 v[6:7], v[6:7], v[26:27]
	v_cmp_gt_u32_e64 s[4:5], 32, v22
	s_barrier
	ds_write_b64 v24, v[6:7]
	s_waitcnt lgkmcnt(0)
	s_barrier
	s_and_saveexec_b64 s[16:17], s[4:5]
	s_cbranch_execz .LBB36_53
; %bb.52:
	ds_read2_b64 v[6:9], v23 offset1:7
	ds_read2_b64 v[26:29], v23 offset0:1 offset1:2
	ds_read2_b64 v[30:33], v23 offset0:3 offset1:4
	s_waitcnt lgkmcnt(1)
	v_add_f32_e32 v1, v26, v6
	v_add_f32_e32 v6, v27, v7
	;; [unrolled: 1-line block ×4, first 2 shown]
	ds_read2_b64 v[26:29], v23 offset0:5 offset1:6
	s_waitcnt lgkmcnt(1)
	v_add_f32_e32 v1, v1, v30
	v_add_f32_e32 v6, v6, v31
	;; [unrolled: 1-line block ×4, first 2 shown]
	s_waitcnt lgkmcnt(0)
	v_add_f32_e32 v1, v1, v26
	v_add_f32_e32 v7, v6, v27
	v_add_f32_e32 v6, v1, v28
	v_add_f32_e32 v7, v7, v29
	v_pk_add_f32 v[50:51], v[6:7], v[8:9]
.LBB36_53:
	s_or_b64 exec, exec, s[16:17]
	s_lshl_b64 s[16:17], s[24:25], 8
	v_lshl_add_u64 v[8:9], v[4:5], 0, s[16:17]
	s_mov_b64 s[16:17], 0x100
	v_lshl_add_u64 v[6:7], v[8:9], 0, s[16:17]
	s_and_b64 vcc, exec, s[30:31]
	s_barrier
	s_cbranch_vccz .LBB36_77
; %bb.54:
	v_sub_co_u32_e32 v4, vcc, v8, v0
	s_ashr_i32 s21, s20, 31
	s_nop 0
	v_subbrev_co_u32_e32 v5, vcc, 0, v9, vcc
	v_or_b32_e32 v1, 32, v2
	v_lshl_add_u64 v[4:5], s[20:21], 3, v[4:5]
	v_mov_b32_e32 v26, 0
	v_lshl_add_u64 v[4:5], v[4:5], 0, -8
	v_cmp_gt_i32_e32 vcc, s20, v1
	s_sub_i32 s37, s20, 32
	v_cmp_gt_i32_e64 s[16:17], s37, v10
	v_cndmask_b32_e32 v5, v5, v7, vcc
	v_cndmask_b32_e32 v4, v4, v6, vcc
	v_mov_b32_e32 v27, v26
	s_and_saveexec_b64 s[34:35], s[16:17]
	s_cbranch_execz .LBB36_56
; %bb.55:
	flat_load_dwordx2 v[26:27], v[4:5]
.LBB36_56:
	s_or_b64 exec, exec, s[34:35]
	s_movk_i32 s16, 0x108
	v_mad_u32_u24 v21, v10, s16, v11
	v_mul_u32_u24_e32 v1, 0x108, v10
	s_waitcnt vmcnt(0) lgkmcnt(0)
	ds_write_b64 v21, v[26:27]
	v_add_u32_e32 v21, 8, v10
	v_cmp_le_i32_e64 s[16:17], s37, v21
	v_add_u32_e32 v1, v1, v11
	s_and_saveexec_b64 s[34:35], s[16:17]
	s_xor_b64 s[16:17], exec, s[34:35]
; %bb.57:
	v_mov_b32_e32 v26, 0
	v_mov_b32_e32 v27, v26
	ds_write_b64 v1, v[26:27] offset:2112
; %bb.58:
	s_andn2_saveexec_b64 s[16:17], s[16:17]
	s_cbranch_execz .LBB36_60
; %bb.59:
	s_lshl_b64 s[34:35], s[24:25], 6
	v_lshl_add_u64 v[26:27], v[4:5], 0, s[34:35]
	flat_load_dwordx2 v[26:27], v[26:27]
	s_waitcnt vmcnt(0) lgkmcnt(0)
	ds_write_b64 v1, v[26:27] offset:2112
.LBB36_60:
	s_or_b64 exec, exec, s[16:17]
	v_add_u32_e32 v21, 16, v10
	v_cmp_le_i32_e64 s[16:17], s37, v21
	s_and_saveexec_b64 s[34:35], s[16:17]
	s_xor_b64 s[16:17], exec, s[34:35]
; %bb.61:
	v_mov_b32_e32 v26, 0
	v_mov_b32_e32 v27, v26
	ds_write_b64 v1, v[26:27] offset:4224
; %bb.62:
	s_andn2_saveexec_b64 s[16:17], s[16:17]
	s_cbranch_execz .LBB36_64
; %bb.63:
	s_lshl_b64 s[34:35], s[24:25], 7
	v_lshl_add_u64 v[26:27], v[4:5], 0, s[34:35]
	flat_load_dwordx2 v[26:27], v[26:27]
	s_waitcnt vmcnt(0) lgkmcnt(0)
	ds_write_b64 v1, v[26:27] offset:4224
.LBB36_64:
	s_or_b64 exec, exec, s[16:17]
	v_add_u32_e32 v21, 24, v10
	v_cmp_le_i32_e64 s[16:17], s37, v21
	s_and_saveexec_b64 s[34:35], s[16:17]
	s_xor_b64 s[16:17], exec, s[34:35]
; %bb.65:
	v_mov_b32_e32 v26, 0
	v_mov_b32_e32 v27, v26
	ds_write_b64 v1, v[26:27] offset:6336
                                        ; implicit-def: $vgpr1
; %bb.66:
	s_andn2_saveexec_b64 s[16:17], s[16:17]
	s_cbranch_execz .LBB36_68
; %bb.67:
	v_mov_b32_e32 v21, 0xc0
	v_mad_u64_u32 v[26:27], s[34:35], s24, v21, v[4:5]
	s_mul_i32 s34, s25, 0xc0
	s_nop 0
	v_add_u32_e32 v27, s34, v27
	flat_load_dwordx2 v[26:27], v[26:27]
	s_waitcnt vmcnt(0) lgkmcnt(0)
	ds_write_b64 v1, v[26:27] offset:6336
.LBB36_68:
	s_or_b64 exec, exec, s[16:17]
	v_mov_b32_e32 v1, 0
	v_lshl_add_u64 v[4:5], v[4:5], 0, v[0:1]
	s_lshl_b64 s[16:17], s[20:21], 3
	v_mov_b32_e32 v1, s17
	v_subrev_co_u32_e64 v4, s[16:17], s16, v4
	s_nop 1
	v_subb_co_u32_e64 v5, s[16:17], v5, v1, s[16:17]
	s_mov_b64 s[16:17], 0x108
	s_nop 0
	v_lshl_add_u64 v[4:5], v[4:5], 0, s[16:17]
	v_cndmask_b32_e32 v5, v5, v7, vcc
	v_cndmask_b32_e32 v4, v4, v6, vcc
	s_branch .LBB36_79
.LBB36_69:
	s_andn2_saveexec_b64 s[10:11], s[10:11]
	s_cbranch_execz .LBB36_37
.LBB36_70:
	v_cmp_eq_u32_e32 vcc, v17, v2
	s_mov_b64 s[12:13], s[4:5]
                                        ; implicit-def: $vgpr6
	s_and_saveexec_b64 s[16:17], vcc
; %bb.71:
	v_add_u32_e32 v6, v11, v3
	s_or_b64 s[12:13], s[4:5], exec
; %bb.72:
	s_or_b64 exec, exec, s[16:17]
	s_andn2_b64 s[4:5], s[4:5], exec
	s_and_b64 s[12:13], s[12:13], exec
	v_mov_b32_e32 v7, 0
	s_or_b64 s[4:5], s[4:5], s[12:13]
	s_or_b64 exec, exec, s[10:11]
	s_and_saveexec_b64 s[10:11], s[4:5]
	s_cbranch_execnz .LBB36_38
	s_branch .LBB36_39
.LBB36_73:
	s_or_saveexec_b64 s[12:13], s[12:13]
	v_mov_b32_e32 v7, 0
	s_xor_b64 exec, exec, s[12:13]
	s_cbranch_execz .LBB36_43
.LBB36_74:
	s_movk_i32 s16, 0x108
	v_mad_u32_u24 v6, v18, s16, v11
	ds_read_b64 v[8:9], v6
	v_add_u32_e32 v6, 16, v1
	s_or_b64 s[4:5], s[4:5], exec
	s_waitcnt lgkmcnt(0)
	v_xor_b32_e32 v7, 0x80000000, v9
	ds_write_b32 v1, v8 offset:16
	s_or_b64 exec, exec, s[12:13]
	s_and_saveexec_b64 s[12:13], s[4:5]
	s_cbranch_execnz .LBB36_44
	s_branch .LBB36_45
.LBB36_75:
	s_or_saveexec_b64 s[16:17], s[16:17]
	v_mov_b32_e32 v7, 0
	s_xor_b64 exec, exec, s[16:17]
	s_cbranch_execz .LBB36_49
.LBB36_76:
	s_movk_i32 s21, 0x108
	v_mad_u32_u24 v6, v19, s21, v11
	ds_read_b64 v[8:9], v6
	v_add_u32_e32 v6, 24, v1
	s_or_b64 s[4:5], s[4:5], exec
	s_waitcnt lgkmcnt(0)
	v_xor_b32_e32 v7, 0x80000000, v9
	ds_write_b32 v1, v8 offset:24
	s_or_b64 exec, exec, s[16:17]
	s_and_saveexec_b64 s[16:17], s[4:5]
	s_cbranch_execnz .LBB36_50
	s_branch .LBB36_51
.LBB36_77:
                                        ; implicit-def: $vgpr4_vgpr5
	s_cbranch_execz .LBB36_79
; %bb.78:
	s_lshl_b64 s[16:17], s[24:25], 6
	v_lshl_add_u64 v[4:5], v[8:9], 0, s[16:17]
	v_lshl_add_u64 v[26:27], v[4:5], 0, s[16:17]
	v_lshl_add_u64 v[28:29], v[26:27], 0, s[16:17]
	flat_load_dwordx2 v[30:31], v[8:9] offset:256
	flat_load_dwordx2 v[32:33], v[4:5] offset:256
	;; [unrolled: 1-line block ×4, first 2 shown]
	s_movk_i32 s16, 0x108
	v_mad_u32_u24 v1, v10, s16, v11
	v_mov_b64_e32 v[4:5], v[6:7]
	s_waitcnt vmcnt(0) lgkmcnt(0)
	ds_write_b64 v1, v[30:31]
	ds_write_b64 v1, v[32:33] offset:2112
	ds_write_b64 v1, v[34:35] offset:4224
	;; [unrolled: 1-line block ×3, first 2 shown]
.LBB36_79:
	v_mul_u32_u24_e32 v1, 0x420, v10
	s_mov_b64 s[16:17], 0
	s_waitcnt lgkmcnt(0)
	s_barrier
                                        ; implicit-def: $vgpr7
	s_and_saveexec_b64 s[34:35], s[6:7]
	s_xor_b64 s[6:7], exec, s[34:35]
	s_cbranch_execz .LBB36_83
; %bb.80:
	v_cmp_eq_u32_e32 vcc, v16, v2
                                        ; implicit-def: $vgpr7
	s_and_saveexec_b64 s[34:35], vcc
	s_xor_b64 s[34:35], exec, s[34:35]
; %bb.81:
	s_mov_b64 s[16:17], exec
	v_add_u32_e32 v7, v11, v3
; %bb.82:
	s_or_b64 exec, exec, s[34:35]
	s_and_b64 s[16:17], s[16:17], exec
.LBB36_83:
	s_or_saveexec_b64 s[6:7], s[6:7]
	v_mov_b32_e32 v8, 0
	v_add_u32_e32 v6, v11, v1
	v_lshl_add_u32 v1, v16, 3, v23
	s_xor_b64 exec, exec, s[6:7]
	s_cbranch_execz .LBB36_85
; %bb.84:
	ds_read_b64 v[26:27], v6
	s_or_b64 s[16:17], s[16:17], exec
	v_mov_b32_e32 v7, v1
	s_waitcnt lgkmcnt(0)
	v_xor_b32_e32 v8, 0x80000000, v27
	ds_write_b32 v1, v26
.LBB36_85:
	s_or_b64 exec, exec, s[6:7]
	v_mul_u32_u24_e32 v9, 0x108, v17
	s_and_saveexec_b64 s[6:7], s[16:17]
; %bb.86:
	ds_write_b32 v7, v8 offset:4
; %bb.87:
	s_or_b64 exec, exec, s[6:7]
	s_mov_b64 s[6:7], 0
	v_add_u32_e32 v7, v11, v9
                                        ; implicit-def: $vgpr9
                                        ; implicit-def: $vgpr8
	s_and_saveexec_b64 s[16:17], s[8:9]
	s_xor_b64 s[8:9], exec, s[16:17]
	s_cbranch_execz .LBB36_121
; %bb.88:
	ds_read_b64 v[16:17], v7
	s_mov_b64 s[6:7], exec
	v_add_u32_e32 v8, 8, v1
	s_waitcnt lgkmcnt(0)
	v_xor_b32_e32 v9, 0x80000000, v17
	ds_write_b32 v1, v16 offset:8
                                        ; implicit-def: $vgpr17
	s_andn2_saveexec_b64 s[8:9], s[8:9]
	s_cbranch_execnz .LBB36_122
.LBB36_89:
	s_or_b64 exec, exec, s[8:9]
	s_and_saveexec_b64 s[8:9], s[6:7]
.LBB36_90:
	ds_write_b32 v8, v9 offset:4
.LBB36_91:
	s_or_b64 exec, exec, s[8:9]
	s_mov_b64 s[6:7], 0
                                        ; implicit-def: $vgpr8
	s_and_saveexec_b64 s[8:9], s[10:11]
	s_xor_b64 s[8:9], exec, s[8:9]
	s_cbranch_execz .LBB36_125
; %bb.92:
	v_cmp_eq_u32_e32 vcc, v18, v2
                                        ; implicit-def: $vgpr8
	s_and_saveexec_b64 s[10:11], vcc
; %bb.93:
	s_mov_b64 s[6:7], exec
	v_add_u32_e32 v8, v11, v3
; %bb.94:
	s_or_b64 exec, exec, s[10:11]
	s_and_b64 s[6:7], s[6:7], exec
	s_or_saveexec_b64 s[8:9], s[8:9]
	v_mov_b32_e32 v9, 0
	s_xor_b64 exec, exec, s[8:9]
	s_cbranch_execnz .LBB36_126
.LBB36_95:
	s_or_b64 exec, exec, s[8:9]
	s_and_saveexec_b64 s[8:9], s[6:7]
.LBB36_96:
	ds_write_b32 v8, v9 offset:4
.LBB36_97:
	s_or_b64 exec, exec, s[8:9]
	s_mov_b64 s[6:7], 0
                                        ; implicit-def: $vgpr8
	s_and_saveexec_b64 s[8:9], s[12:13]
	s_xor_b64 s[8:9], exec, s[8:9]
	s_cbranch_execz .LBB36_127
; %bb.98:
	v_cmp_eq_u32_e32 vcc, v19, v2
                                        ; implicit-def: $vgpr8
	s_and_saveexec_b64 s[10:11], vcc
; %bb.99:
	s_mov_b64 s[6:7], exec
	v_add_u32_e32 v8, v11, v3
; %bb.100:
	s_or_b64 exec, exec, s[10:11]
	s_and_b64 s[6:7], s[6:7], exec
                                        ; implicit-def: $vgpr1
	s_or_saveexec_b64 s[8:9], s[8:9]
	v_mov_b32_e32 v3, 0
	s_xor_b64 exec, exec, s[8:9]
	s_cbranch_execnz .LBB36_128
.LBB36_101:
	s_or_b64 exec, exec, s[8:9]
	v_add_u32_e32 v25, 0x2380, v20
	s_and_saveexec_b64 s[8:9], s[6:7]
.LBB36_102:
	ds_write_b32 v8, v3 offset:4
.LBB36_103:
	s_or_b64 exec, exec, s[8:9]
	s_waitcnt lgkmcnt(0)
	s_barrier
	ds_read_b64 v[8:9], v6
	ds_read_b128 v[16:19], v25 offset:256
	ds_read2_b64 v[26:29], v7 offset1:33
	ds_read_b64 v[20:21], v7 offset:528
	ds_read_b128 v[30:33], v25 offset:272
	v_cmp_eq_u32_e64 s[6:7], 1, v10
	s_waitcnt lgkmcnt(3)
	v_pk_mul_f32 v[34:35], v[16:17], v[8:9] op_sel:[1,1] op_sel_hi:[0,1]
	v_pk_fma_f32 v[36:37], v[16:17], v[8:9], v[34:35] neg_lo:[0,0,1] neg_hi:[0,0,1]
	v_pk_fma_f32 v[8:9], v[16:17], v[8:9], v[34:35] op_sel_hi:[1,0,1]
	s_waitcnt lgkmcnt(2)
	v_pk_mul_f32 v[16:17], v[18:19], v[26:27] op_sel:[1,1] op_sel_hi:[0,1]
	v_pk_fma_f32 v[34:35], v[18:19], v[26:27], v[16:17] neg_lo:[0,0,1] neg_hi:[0,0,1]
	v_pk_fma_f32 v[16:17], v[18:19], v[26:27], v[16:17] op_sel_hi:[1,0,1]
	v_mov_b32_e32 v37, v9
	v_mov_b32_e32 v35, v17
	s_waitcnt lgkmcnt(0)
	v_pk_mul_f32 v[16:17], v[30:31], v[28:29] op_sel:[1,1] op_sel_hi:[0,1]
	v_pk_add_f32 v[8:9], v[36:37], 0 op_sel_hi:[1,0]
	v_pk_fma_f32 v[18:19], v[30:31], v[28:29], v[16:17] neg_lo:[0,0,1] neg_hi:[0,0,1]
	v_pk_fma_f32 v[16:17], v[30:31], v[28:29], v[16:17] op_sel_hi:[1,0,1]
	v_pk_add_f32 v[8:9], v[8:9], v[34:35]
	v_mov_b32_e32 v19, v17
	v_pk_mul_f32 v[16:17], v[32:33], v[20:21] op_sel:[1,1] op_sel_hi:[0,1]
	v_pk_add_f32 v[8:9], v[8:9], v[18:19]
	v_pk_fma_f32 v[18:19], v[32:33], v[20:21], v[16:17] neg_lo:[0,0,1] neg_hi:[0,0,1]
	v_pk_fma_f32 v[16:17], v[32:33], v[20:21], v[16:17] op_sel_hi:[1,0,1]
	s_nop 0
	v_mov_b32_e32 v19, v17
	v_pk_add_f32 v[8:9], v[8:9], v[18:19]
	s_barrier
	ds_write_b64 v24, v[8:9]
	s_waitcnt lgkmcnt(0)
	s_barrier
	s_and_saveexec_b64 s[8:9], s[6:7]
	s_cbranch_execz .LBB36_105
; %bb.104:
	ds_read2_b64 v[16:19], v23 offset1:7
	ds_read2_b64 v[26:29], v23 offset0:1 offset1:2
	ds_read2_b64 v[30:33], v23 offset0:3 offset1:4
	s_waitcnt lgkmcnt(1)
	v_add_f32_e32 v1, v26, v16
	v_add_f32_e32 v3, v27, v17
	;; [unrolled: 1-line block ×4, first 2 shown]
	ds_read2_b64 v[26:29], v23 offset0:5 offset1:6
	s_waitcnt lgkmcnt(1)
	v_add_f32_e32 v1, v1, v30
	v_add_f32_e32 v3, v3, v31
	;; [unrolled: 1-line block ×4, first 2 shown]
	s_waitcnt lgkmcnt(0)
	v_add_f32_e32 v8, v1, v26
	v_add_f32_e32 v9, v3, v27
	v_pk_add_f32 v[8:9], v[8:9], v[28:29]
	s_nop 0
	v_pk_add_f32 v[50:51], v[8:9], v[18:19]
.LBB36_105:
	s_or_b64 exec, exec, s[8:9]
	s_movk_i32 s8, 0xff00
	s_mov_b32 s9, -1
	v_lshl_add_u64 v[4:5], v[4:5], 0, s[8:9]
	s_and_b64 vcc, exec, s[30:31]
	s_barrier
	s_cbranch_vccz .LBB36_129
; %bb.106:
	v_sub_co_u32_e32 v16, vcc, v4, v0
	s_ashr_i32 s21, s20, 31
	s_nop 0
	v_subbrev_co_u32_e32 v17, vcc, 0, v5, vcc
	v_lshl_add_u64 v[16:17], s[20:21], 3, v[16:17]
	v_mov_b32_e32 v8, 0
	v_lshl_add_u64 v[16:17], v[16:17], 0, -8
	v_cmp_gt_i32_e32 vcc, s20, v2
	s_sub_i32 s12, s20, 32
	v_cmp_gt_i32_e64 s[8:9], s12, v10
	v_cndmask_b32_e32 v3, v17, v5, vcc
	v_cndmask_b32_e32 v2, v16, v4, vcc
	v_mov_b32_e32 v9, v8
	s_and_saveexec_b64 s[10:11], s[8:9]
	s_cbranch_execz .LBB36_108
; %bb.107:
	flat_load_dwordx2 v[8:9], v[2:3]
.LBB36_108:
	s_or_b64 exec, exec, s[10:11]
	s_movk_i32 s8, 0x108
	v_mad_u32_u24 v16, v10, s8, v11
	v_mul_u32_u24_e32 v1, 0x108, v10
	s_waitcnt vmcnt(0) lgkmcnt(0)
	ds_write_b64 v16, v[8:9]
	v_add_u32_e32 v8, 8, v10
	v_cmp_le_i32_e64 s[8:9], s12, v8
	v_add_u32_e32 v1, v1, v11
	s_and_saveexec_b64 s[10:11], s[8:9]
	s_xor_b64 s[8:9], exec, s[10:11]
; %bb.109:
	v_mov_b32_e32 v16, 0
	v_mov_b32_e32 v17, v16
	ds_write_b64 v1, v[16:17] offset:2112
; %bb.110:
	s_andn2_saveexec_b64 s[8:9], s[8:9]
	s_cbranch_execz .LBB36_112
; %bb.111:
	s_lshl_b64 s[10:11], s[24:25], 6
	v_lshl_add_u64 v[16:17], v[2:3], 0, s[10:11]
	flat_load_dwordx2 v[16:17], v[16:17]
	s_waitcnt vmcnt(0) lgkmcnt(0)
	ds_write_b64 v1, v[16:17] offset:2112
.LBB36_112:
	s_or_b64 exec, exec, s[8:9]
	v_add_u32_e32 v9, 16, v10
	v_cmp_le_i32_e64 s[8:9], s12, v9
	s_and_saveexec_b64 s[10:11], s[8:9]
	s_xor_b64 s[8:9], exec, s[10:11]
; %bb.113:
	v_mov_b32_e32 v16, 0
	v_mov_b32_e32 v17, v16
	ds_write_b64 v1, v[16:17] offset:4224
; %bb.114:
	s_andn2_saveexec_b64 s[8:9], s[8:9]
	s_cbranch_execz .LBB36_116
; %bb.115:
	s_lshl_b64 s[10:11], s[24:25], 7
	v_lshl_add_u64 v[16:17], v[2:3], 0, s[10:11]
	flat_load_dwordx2 v[16:17], v[16:17]
	s_waitcnt vmcnt(0) lgkmcnt(0)
	ds_write_b64 v1, v[16:17] offset:4224
.LBB36_116:
	s_or_b64 exec, exec, s[8:9]
	v_add_u32_e32 v18, 24, v10
	v_cmp_le_i32_e64 s[8:9], s12, v18
	s_and_saveexec_b64 s[10:11], s[8:9]
	s_xor_b64 s[8:9], exec, s[10:11]
; %bb.117:
	v_mov_b32_e32 v16, 0
	v_mov_b32_e32 v17, v16
	ds_write_b64 v1, v[16:17] offset:6336
                                        ; implicit-def: $vgpr1
; %bb.118:
	s_andn2_saveexec_b64 s[8:9], s[8:9]
	s_cbranch_execz .LBB36_120
; %bb.119:
	v_mov_b32_e32 v16, 0xc0
	v_mad_u64_u32 v[16:17], s[10:11], s24, v16, v[2:3]
	s_mul_i32 s10, s25, 0xc0
	s_nop 0
	v_add_u32_e32 v17, s10, v17
	flat_load_dwordx2 v[16:17], v[16:17]
	s_waitcnt vmcnt(0) lgkmcnt(0)
	ds_write_b64 v1, v[16:17] offset:6336
.LBB36_120:
	s_or_b64 exec, exec, s[8:9]
	v_mov_b32_e32 v1, 0
	v_lshl_add_u64 v[0:1], v[2:3], 0, v[0:1]
	s_lshl_b64 s[8:9], s[20:21], 3
	v_mov_b32_e32 v2, s9
	v_subrev_co_u32_e64 v0, s[8:9], s8, v0
	s_nop 1
	v_subb_co_u32_e64 v1, s[8:9], v1, v2, s[8:9]
	v_lshl_add_u64 v[0:1], v[0:1], 0, 8
	v_cndmask_b32_e32 v17, v1, v5, vcc
	v_cndmask_b32_e32 v16, v0, v4, vcc
	s_branch .LBB36_131
.LBB36_121:
	s_andn2_saveexec_b64 s[8:9], s[8:9]
	s_cbranch_execz .LBB36_89
.LBB36_122:
	v_cmp_eq_u32_e32 vcc, v17, v2
	s_mov_b64 s[16:17], s[6:7]
                                        ; implicit-def: $vgpr8
	s_and_saveexec_b64 s[34:35], vcc
; %bb.123:
	v_add_u32_e32 v8, v11, v3
	s_or_b64 s[16:17], s[6:7], exec
; %bb.124:
	s_or_b64 exec, exec, s[34:35]
	s_andn2_b64 s[6:7], s[6:7], exec
	s_and_b64 s[16:17], s[16:17], exec
	v_mov_b32_e32 v9, 0
	s_or_b64 s[6:7], s[6:7], s[16:17]
	s_or_b64 exec, exec, s[8:9]
	s_and_saveexec_b64 s[8:9], s[6:7]
	s_cbranch_execnz .LBB36_90
	s_branch .LBB36_91
.LBB36_125:
	s_or_saveexec_b64 s[8:9], s[8:9]
	v_mov_b32_e32 v9, 0
	s_xor_b64 exec, exec, s[8:9]
	s_cbranch_execz .LBB36_95
.LBB36_126:
	ds_read_b64 v[16:17], v7 offset:264
	v_add_u32_e32 v8, 16, v1
	s_or_b64 s[6:7], s[6:7], exec
	s_waitcnt lgkmcnt(0)
	v_xor_b32_e32 v9, 0x80000000, v17
	ds_write_b32 v1, v16 offset:16
	s_or_b64 exec, exec, s[8:9]
	s_and_saveexec_b64 s[8:9], s[6:7]
	s_cbranch_execnz .LBB36_96
	s_branch .LBB36_97
.LBB36_127:
	s_or_saveexec_b64 s[8:9], s[8:9]
	v_mov_b32_e32 v3, 0
	s_xor_b64 exec, exec, s[8:9]
	s_cbranch_execz .LBB36_101
.LBB36_128:
	ds_read_b64 v[16:17], v7 offset:528
	v_add_u32_e32 v8, 24, v1
	s_or_b64 s[6:7], s[6:7], exec
	s_waitcnt lgkmcnt(0)
	v_xor_b32_e32 v3, 0x80000000, v17
	ds_write_b32 v1, v16 offset:24
	s_or_b64 exec, exec, s[8:9]
	v_add_u32_e32 v25, 0x2380, v20
	s_and_saveexec_b64 s[8:9], s[6:7]
	s_cbranch_execnz .LBB36_102
	s_branch .LBB36_103
.LBB36_129:
                                        ; implicit-def: $vgpr16_vgpr17
                                        ; implicit-def: $vgpr8
                                        ; implicit-def: $vgpr9
                                        ; implicit-def: $vgpr18
	s_cbranch_execz .LBB36_131
; %bb.130:
	s_lshl_b64 s[8:9], s[24:25], 6
	v_lshl_add_u64 v[0:1], v[4:5], 0, s[8:9]
	v_lshl_add_u64 v[2:3], v[0:1], 0, s[8:9]
	;; [unrolled: 1-line block ×3, first 2 shown]
	flat_load_dwordx2 v[16:17], v[4:5]
	flat_load_dwordx2 v[20:21], v[0:1]
	;; [unrolled: 1-line block ×4, first 2 shown]
	s_movk_i32 s8, 0x108
	v_mad_u32_u24 v0, v10, s8, v11
	v_add_u32_e32 v8, 8, v10
	v_add_u32_e32 v9, 16, v10
	;; [unrolled: 1-line block ×3, first 2 shown]
	s_waitcnt vmcnt(0) lgkmcnt(0)
	ds_write_b64 v0, v[16:17]
	ds_write_b64 v0, v[20:21] offset:2112
	ds_write_b64 v0, v[26:27] offset:4224
	;; [unrolled: 1-line block ×3, first 2 shown]
	v_mov_b64_e32 v[16:17], v[4:5]
.LBB36_131:
	v_lshlrev_b32_e32 v4, 3, v10
	v_lshlrev_b32_e32 v8, 3, v8
	;; [unrolled: 1-line block ×4, first 2 shown]
	v_add_u32_e32 v5, v23, v4
	v_add_u32_e32 v10, v23, v8
	;; [unrolled: 1-line block ×4, first 2 shown]
	s_waitcnt lgkmcnt(0)
	s_barrier
	ds_read2_b64 v[0:3], v7 offset1:33
	ds_read_b64 v[20:21], v6
	ds_read_b64 v[18:19], v7 offset:528
	ds_read_b64 v[26:27], v5
	ds_read_b64 v[28:29], v10
	ds_read_b64 v[30:31], v8 offset:9088
	ds_read_b64 v[32:33], v4 offset:9088
	ds_read_b64 v[34:35], v11
	ds_read_b64 v[36:37], v36
	ds_read_b64 v[38:39], v38 offset:9088
	ds_read_b64 v[40:41], v9 offset:9088
	ds_read_b128 v[8:11], v25 offset:256
	ds_read_b128 v[4:7], v25 offset:272
	s_waitcnt lgkmcnt(6)
	v_pk_mul_f32 v[42:43], v[26:27], v[32:33] op_sel:[1,1] op_sel_hi:[1,0]
	v_pk_mul_f32 v[44:45], v[28:29], v[30:31] op_sel:[1,1] op_sel_hi:[1,0]
	v_pk_fma_f32 v[54:55], v[26:27], v[32:33], v[42:43]
	v_pk_fma_f32 v[26:27], v[26:27], v[32:33], v[42:43] op_sel_hi:[0,1,1] neg_lo:[0,0,1] neg_hi:[0,0,1]
	s_waitcnt lgkmcnt(2)
	v_pk_mul_f32 v[46:47], v[34:35], v[40:41] op_sel:[1,1] op_sel_hi:[1,0]
	v_mov_b32_e32 v55, v27
	v_pk_fma_f32 v[32:33], v[28:29], v[30:31], v[44:45]
	v_pk_fma_f32 v[28:29], v[28:29], v[30:31], v[44:45] op_sel_hi:[0,1,1] neg_lo:[0,0,1] neg_hi:[0,0,1]
	v_pk_add_f32 v[26:27], v[54:55], 0 op_sel_hi:[1,0]
	v_mov_b32_e32 v33, v29
	v_pk_fma_f32 v[28:29], v[34:35], v[40:41], v[46:47]
	v_pk_fma_f32 v[30:31], v[34:35], v[40:41], v[46:47] op_sel_hi:[0,1,1] neg_lo:[0,0,1] neg_hi:[0,0,1]
	v_pk_mul_f32 v[52:53], v[36:37], v[38:39] op_sel:[1,1] op_sel_hi:[1,0]
	v_pk_add_f32 v[26:27], v[26:27], v[32:33]
	v_mov_b32_e32 v29, v31
	v_pk_add_f32 v[26:27], v[26:27], v[28:29]
	v_pk_fma_f32 v[28:29], v[36:37], v[38:39], v[52:53]
	v_pk_fma_f32 v[30:31], v[36:37], v[38:39], v[52:53] op_sel_hi:[0,1,1] neg_lo:[0,0,1] neg_hi:[0,0,1]
	v_mov_b32_e32 v29, v31
	v_pk_add_f32 v[26:27], v[26:27], v[28:29]
	s_waitcnt lgkmcnt(0)
	s_barrier
	ds_write_b64 v24, v[26:27]
	s_waitcnt lgkmcnt(0)
	s_barrier
	s_and_saveexec_b64 s[8:9], s[6:7]
	s_cbranch_execz .LBB36_133
; %bb.132:
	ds_read2_b64 v[26:29], v23 offset1:1
	ds_read2_b64 v[30:33], v23 offset0:2 offset1:3
	ds_read2_b64 v[34:37], v23 offset0:4 offset1:5
	s_waitcnt lgkmcnt(2)
	v_pk_add_f32 v[26:27], v[50:51], v[26:27]
	s_nop 0
	v_pk_add_f32 v[38:39], v[26:27], v[28:29]
	ds_read2_b64 v[26:29], v23 offset0:6 offset1:7
	s_waitcnt lgkmcnt(2)
	v_pk_add_f32 v[30:31], v[38:39], v[30:31]
	s_nop 0
	v_pk_add_f32 v[30:31], v[30:31], v[32:33]
	s_waitcnt lgkmcnt(1)
	v_pk_add_f32 v[30:31], v[30:31], v[34:35]
	s_nop 0
	v_pk_add_f32 v[30:31], v[30:31], v[36:37]
	;; [unrolled: 4-line block ×3, first 2 shown]
.LBB36_133:
	s_or_b64 exec, exec, s[8:9]
	v_pk_mul_f32 v[26:27], v[8:9], v[20:21] op_sel:[1,1] op_sel_hi:[0,1]
	v_pk_fma_f32 v[28:29], v[8:9], v[20:21], v[26:27] neg_lo:[0,0,1] neg_hi:[0,0,1]
	v_pk_fma_f32 v[8:9], v[8:9], v[20:21], v[26:27] op_sel_hi:[1,0,1]
	v_pk_mul_f32 v[20:21], v[10:11], v[0:1] op_sel:[1,1] op_sel_hi:[0,1]
	v_mov_b32_e32 v29, v9
	v_pk_fma_f32 v[26:27], v[10:11], v[0:1], v[20:21] neg_lo:[0,0,1] neg_hi:[0,0,1]
	v_pk_fma_f32 v[0:1], v[10:11], v[0:1], v[20:21] op_sel_hi:[1,0,1]
	v_pk_add_f32 v[8:9], v[28:29], 0 op_sel_hi:[1,0]
	v_mov_b32_e32 v27, v1
	v_pk_add_f32 v[0:1], v[8:9], v[26:27]
	v_pk_mul_f32 v[8:9], v[4:5], v[2:3] op_sel:[1,1] op_sel_hi:[0,1]
	v_pk_fma_f32 v[10:11], v[4:5], v[2:3], v[8:9] neg_lo:[0,0,1] neg_hi:[0,0,1]
	v_pk_fma_f32 v[2:3], v[4:5], v[2:3], v[8:9] op_sel_hi:[1,0,1]
	s_nop 0
	v_mov_b32_e32 v11, v3
	v_pk_mul_f32 v[2:3], v[6:7], v[18:19] op_sel:[1,1] op_sel_hi:[0,1]
	v_pk_fma_f32 v[4:5], v[6:7], v[18:19], v[2:3] neg_lo:[0,0,1] neg_hi:[0,0,1]
	v_pk_fma_f32 v[2:3], v[6:7], v[18:19], v[2:3] op_sel_hi:[1,0,1]
	v_pk_add_f32 v[0:1], v[0:1], v[10:11]
	v_mov_b32_e32 v5, v3
	v_pk_add_f32 v[0:1], v[0:1], v[4:5]
	s_barrier
	ds_write_b64 v24, v[0:1]
	s_waitcnt lgkmcnt(0)
	s_barrier
	s_and_saveexec_b64 s[6:7], s[4:5]
	s_cbranch_execz .LBB36_135
; %bb.134:
	ds_read2_b64 v[0:3], v23 offset1:1
	ds_read2_b64 v[4:7], v23 offset0:2 offset1:3
	ds_read2_b64 v[8:11], v23 offset0:4 offset1:5
	s_waitcnt lgkmcnt(2)
	v_pk_add_f32 v[0:1], v[50:51], v[0:1]
	s_nop 0
	v_pk_add_f32 v[18:19], v[0:1], v[2:3]
	ds_read2_b64 v[0:3], v23 offset0:6 offset1:7
	s_waitcnt lgkmcnt(2)
	v_pk_add_f32 v[4:5], v[18:19], v[4:5]
	s_nop 0
	v_pk_add_f32 v[4:5], v[4:5], v[6:7]
	s_waitcnt lgkmcnt(1)
	v_pk_add_f32 v[4:5], v[4:5], v[8:9]
	s_nop 0
	v_pk_add_f32 v[4:5], v[4:5], v[10:11]
	;; [unrolled: 4-line block ×3, first 2 shown]
.LBB36_135:
	s_or_b64 exec, exec, s[6:7]
	s_load_dwordx2 s[0:1], s[0:1], 0x68
	s_mul_hi_u32 s4, s33, s28
	s_mul_i32 s36, s36, s28
	s_add_i32 s4, s4, s36
	s_mul_i32 s6, s33, s28
	s_mul_i32 s4, s4, s3
	s_mul_hi_u32 s5, s6, s3
	s_add_i32 s5, s5, s4
	s_mul_i32 s4, s6, s3
	s_lshl_b64 s[4:5], s[4:5], 3
	s_waitcnt lgkmcnt(0)
	s_add_u32 s4, s0, s4
	s_addc_u32 s5, s1, s5
	s_mul_hi_i32 s1, s33, s2
	s_mul_i32 s0, s33, s2
	s_lshl_b64 s[0:1], s[0:1], 3
	s_add_u32 s6, s4, s0
	s_addc_u32 s7, s5, s1
	s_add_i32 s0, s2, 1
	s_cmp_ge_u32 s0, s3
	v_lshlrev_b32_e32 v52, 3, v122
	s_barrier
	s_cbranch_scc1 .LBB36_193
; %bb.136:
	s_mul_i32 s0, s18, s27
	s_mul_hi_u32 s1, s18, s26
	s_add_i32 s0, s1, s0
	s_mul_i32 s1, s19, s26
	s_add_i32 s1, s0, s1
	s_mul_i32 s0, s18, s26
	s_lshl_b64 s[0:1], s[0:1], 3
	v_mov_b32_e32 v0, s1
	v_subrev_co_u32_e32 v54, vcc, s0, v12
	v_and_b32_e32 v1, 15, v122
	s_nop 0
	v_subb_co_u32_e32 v55, vcc, v13, v0, vcc
	v_lshrrev_b32_e32 v0, 4, v22
	v_lshlrev_b32_e32 v2, 5, v0
	v_mul_i32_i24_e32 v38, 0xffffffe8, v0
	v_and_b32_e32 v0, 48, v122
	v_lshlrev_b32_e32 v36, 5, v123
	s_movk_i32 s4, 0x218
	v_lshlrev_b32_e32 v0, 3, v0
	v_mad_u32_u24 v130, v1, s4, v0
	v_or_b32_e32 v0, 0x78, v52
	v_add_u32_e32 v3, 0x100, v36
	v_mad_u32_u24 v129, v1, s4, v2
	v_mad_u32_u24 v131, v1, s4, v0
	v_mad_u64_u32 v[0:1], s[4:5], s24, v3, 0
	v_mov_b32_e32 v2, v1
	v_lshlrev_b64 v[4:5], 3, v[14:15]
	v_mad_u64_u32 v[2:3], s[4:5], s25, v3, v[2:3]
	v_sub_co_u32_e32 v0, vcc, v0, v4
	v_add_u32_e32 v7, 0x110, v36
	s_nop 0
	v_subb_co_u32_e32 v1, vcc, v2, v5, vcc
	v_mad_u64_u32 v[2:3], s[4:5], s24, v7, 0
	v_mov_b32_e32 v6, v3
	v_mad_u64_u32 v[6:7], s[4:5], s25, v7, v[6:7]
	v_sub_co_u32_e32 v2, vcc, v2, v4
	v_add_u32_e32 v9, 0x108, v36
	s_nop 0
	v_subb_co_u32_e32 v3, vcc, v6, v5, vcc
	v_mad_u64_u32 v[6:7], s[4:5], s24, v9, 0
	v_mov_b32_e32 v8, v7
	v_mad_u64_u32 v[8:9], s[4:5], s25, v9, v[8:9]
	v_sub_co_u32_e32 v6, vcc, v6, v4
	v_add_u32_e32 v11, 0x118, v36
	s_nop 0
	v_subb_co_u32_e32 v7, vcc, v8, v5, vcc
	v_mad_u64_u32 v[8:9], s[4:5], s24, v11, 0
	v_mov_b32_e32 v10, v9
	v_mad_u64_u32 v[10:11], s[4:5], s25, v11, v[10:11]
	v_sub_co_u32_e32 v8, vcc, v8, v4
	v_add_u32_e32 v13, 0x180, v36
	s_nop 0
	v_subb_co_u32_e32 v9, vcc, v10, v5, vcc
	v_mad_u64_u32 v[10:11], s[4:5], s24, v13, 0
	v_mov_b32_e32 v12, v11
	v_mad_u64_u32 v[12:13], s[4:5], s25, v13, v[12:13]
	v_sub_co_u32_e32 v10, vcc, v10, v4
	v_add_u32_e32 v15, 0x190, v36
	s_nop 0
	v_subb_co_u32_e32 v11, vcc, v12, v5, vcc
	v_mad_u64_u32 v[12:13], s[4:5], s24, v15, 0
	v_mov_b32_e32 v14, v13
	v_mad_u64_u32 v[14:15], s[4:5], s25, v15, v[14:15]
	v_sub_co_u32_e32 v12, vcc, v12, v4
	v_add_u32_e32 v19, 0x188, v36
	s_nop 0
	v_subb_co_u32_e32 v13, vcc, v14, v5, vcc
	v_mad_u64_u32 v[14:15], s[4:5], s24, v19, 0
	v_mov_b32_e32 v18, v15
	v_mad_u64_u32 v[18:19], s[4:5], s25, v19, v[18:19]
	v_sub_co_u32_e32 v14, vcc, v14, v4
	v_add_u32_e32 v21, 0x198, v36
	s_nop 0
	v_subb_co_u32_e32 v15, vcc, v18, v5, vcc
	v_mad_u64_u32 v[18:19], s[4:5], s24, v21, 0
	v_mov_b32_e32 v20, v19
	v_mad_u64_u32 v[20:21], s[4:5], s25, v21, v[20:21]
	v_sub_co_u32_e32 v18, vcc, v18, v4
	v_add_u32_e32 v23, 0x200, v36
	s_movk_i32 s0, 0x860
	v_subb_co_u32_e32 v19, vcc, v20, v5, vcc
	v_mad_u64_u32 v[20:21], s[4:5], s24, v23, 0
	v_mad_u32_u24 v128, v123, s0, v52
	v_cmp_gt_u32_e64 s[0:1], 64, v22
	v_mov_b32_e32 v22, v21
	v_mad_u64_u32 v[22:23], s[4:5], s25, v23, v[22:23]
	v_sub_co_u32_e32 v20, vcc, v20, v4
	v_add_u32_e32 v25, 0x210, v36
	s_nop 0
	v_subb_co_u32_e32 v21, vcc, v22, v5, vcc
	v_mad_u64_u32 v[22:23], s[4:5], s24, v25, 0
	v_mov_b32_e32 v24, v23
	v_mad_u64_u32 v[24:25], s[4:5], s25, v25, v[24:25]
	v_sub_co_u32_e32 v22, vcc, v22, v4
	v_add_u32_e32 v27, 0x208, v36
	s_nop 0
	v_subb_co_u32_e32 v23, vcc, v24, v5, vcc
	v_mad_u64_u32 v[24:25], s[4:5], s24, v27, 0
	;; [unrolled: 7-line block ×7, first 2 shown]
	v_add_u32_e32 v126, 0x2180, v36
	v_mov_b32_e32 v36, v35
	v_mad_u64_u32 v[36:37], s[4:5], s25, v37, v[36:37]
	v_sub_co_u32_e32 v4, vcc, v34, v4
	v_lshlrev_b32_e32 v124, 2, v123
	s_nop 0
	v_subb_co_u32_e32 v5, vcc, v36, v5, vcc
	v_mov_b32_e32 v148, 0
	s_add_i32 s21, s3, -2
	v_add_u32_e32 v125, 0x2180, v52
	v_add_u32_e32 v127, 0x2380, v52
	v_or_b32_e32 v132, 1, v124
	v_or_b32_e32 v133, 2, v124
	;; [unrolled: 1-line block ×3, first 2 shown]
	v_add_u32_e32 v135, 16, v124
	v_add_u32_e32 v136, 17, v124
	;; [unrolled: 1-line block ×8, first 2 shown]
	s_add_i32 s26, s26, 64
	v_mov_b32_e32 v53, v148
	v_lshl_add_u64 v[56:57], v[16:17], 0, v[0:1]
	s_lshl_b64 s[8:9], s[24:25], 9
	v_lshl_add_u64 v[58:59], v[16:17], 0, v[2:3]
	v_lshl_add_u64 v[60:61], v[16:17], 0, v[6:7]
	;; [unrolled: 1-line block ×15, first 2 shown]
	v_add_u32_e32 v143, v129, v38
	v_mov_b32_e32 v88, 0
	v_mov_b32_e32 v89, v148
	v_add_u32_e32 v144, 48, v124
	v_add_u32_e32 v145, 49, v124
	;; [unrolled: 1-line block ×4, first 2 shown]
	s_cmp_eq_u32 s21, s2
	s_cselect_b32 s24, s29, 0
	s_and_saveexec_b64 s[4:5], s[14:15]
	s_cbranch_execz .LBB36_142
	s_branch .LBB36_138
.LBB36_137:                             ;   in Loop: Header=BB36_142 Depth=1
	s_mov_b32 s2, s4
	s_cmp_eq_u32 s21, s2
	s_cselect_b32 s24, s29, 0
	s_and_saveexec_b64 s[4:5], s[14:15]
	s_cbranch_execz .LBB36_142
.LBB36_138:
	s_cmp_lg_u32 s24, 0
	s_cselect_b64 s[10:11], -1, 0
	v_cmp_le_i32_e32 vcc, s24, v122
	s_and_b64 s[10:11], s[10:11], vcc
	s_and_saveexec_b64 s[12:13], s[10:11]
	s_xor_b64 s[10:11], exec, s[12:13]
; %bb.139:
	ds_write_b64 v125, v[88:89]
; %bb.140:
	s_andn2_saveexec_b64 s[10:11], s[10:11]
	s_cbranch_execz .LBB36_142
; %bb.141:
	s_ashr_i32 s10, s26, 31
	s_mul_hi_u32 s11, s18, s26
	s_mul_i32 s10, s18, s10
	s_add_i32 s10, s11, s10
	s_mul_i32 s11, s19, s26
	s_add_i32 s11, s10, s11
	s_mul_i32 s10, s18, s26
	v_lshl_add_u64 v[0:1], s[10:11], 3, v[54:55]
	flat_load_dwordx2 v[0:1], v[0:1]
	s_waitcnt vmcnt(0) lgkmcnt(0)
	ds_write_b64 v125, v[0:1]
.LBB36_142:                             ; =>This Inner Loop Header: Depth=1
	s_or_b64 exec, exec, s[4:5]
	s_cmp_eq_u32 s24, 0
	s_cselect_b64 s[10:11], -1, 0
	s_cmp_lg_u32 s24, 0
	s_cselect_b64 s[12:13], -1, 0
	v_lshl_add_u64 v[0:1], v[56:57], 0, v[52:53]
	s_and_b64 vcc, exec, s[12:13]
	s_waitcnt lgkmcnt(0)
	s_barrier
	s_cbranch_vccz .LBB36_150
; %bb.143:                              ;   in Loop: Header=BB36_142 Depth=1
	v_mov_b32_e32 v90, 0
	v_mov_b32_e32 v91, v148
	v_cmp_gt_i32_e32 vcc, s24, v124
	v_mov_b64_e32 v[92:93], v[90:91]
	s_and_saveexec_b64 s[4:5], vcc
	s_cbranch_execz .LBB36_145
; %bb.144:                              ;   in Loop: Header=BB36_142 Depth=1
	flat_load_dwordx2 v[92:93], v[0:1]
.LBB36_145:                             ;   in Loop: Header=BB36_142 Depth=1
	s_or_b64 exec, exec, s[4:5]
	v_cmp_gt_i32_e32 vcc, s24, v132
	s_and_saveexec_b64 s[4:5], vcc
	s_cbranch_execz .LBB36_147
; %bb.146:                              ;   in Loop: Header=BB36_142 Depth=1
	v_lshl_add_u64 v[2:3], v[60:61], 0, v[52:53]
	flat_load_dwordx2 v[90:91], v[2:3]
.LBB36_147:                             ;   in Loop: Header=BB36_142 Depth=1
	s_or_b64 exec, exec, s[4:5]
	v_mov_b32_e32 v149, v148
	v_cmp_gt_i32_e32 vcc, s24, v133
	v_mov_b64_e32 v[94:95], v[148:149]
	s_and_saveexec_b64 s[4:5], vcc
	s_cbranch_execz .LBB36_149
; %bb.148:                              ;   in Loop: Header=BB36_142 Depth=1
	v_lshl_add_u64 v[2:3], v[58:59], 0, v[52:53]
	flat_load_dwordx2 v[94:95], v[2:3]
.LBB36_149:                             ;   in Loop: Header=BB36_142 Depth=1
	s_or_b64 exec, exec, s[4:5]
	v_cmp_gt_i32_e64 s[4:5], s24, v134
	s_branch .LBB36_152
.LBB36_150:                             ;   in Loop: Header=BB36_142 Depth=1
	s_mov_b64 s[4:5], 0
                                        ; implicit-def: $vgpr94_vgpr95
                                        ; implicit-def: $vgpr90_vgpr91
                                        ; implicit-def: $vgpr92_vgpr93
	s_cbranch_execz .LBB36_152
; %bb.151:                              ;   in Loop: Header=BB36_142 Depth=1
	s_waitcnt vmcnt(0) lgkmcnt(0)
	flat_load_dwordx2 v[92:93], v[0:1]
	v_lshl_add_u64 v[0:1], v[60:61], 0, v[52:53]
	flat_load_dwordx2 v[90:91], v[0:1]
	v_lshl_add_u64 v[0:1], v[58:59], 0, v[52:53]
	flat_load_dwordx2 v[94:95], v[0:1]
	s_or_b64 s[4:5], s[4:5], exec
.LBB36_152:                             ;   in Loop: Header=BB36_142 Depth=1
	v_mov_b32_e32 v96, 0
	v_mov_b32_e32 v97, 0
	s_and_saveexec_b64 s[16:17], s[4:5]
	s_cbranch_execz .LBB36_154
; %bb.153:                              ;   in Loop: Header=BB36_142 Depth=1
	v_lshl_add_u64 v[0:1], v[62:63], 0, v[52:53]
	flat_load_dwordx2 v[96:97], v[0:1]
.LBB36_154:                             ;   in Loop: Header=BB36_142 Depth=1
	s_or_b64 exec, exec, s[16:17]
	ds_read_b64 v[0:1], v127
	s_andn2_b64 vcc, exec, s[12:13]
	s_waitcnt vmcnt(0) lgkmcnt(0)
	v_pk_mul_f32 v[2:3], v[92:93], v[0:1] op_sel:[1,0]
	v_pk_mul_f32 v[4:5], v[90:91], v[0:1] op_sel:[1,0]
	v_pk_fma_f32 v[6:7], v[92:93], v[0:1], v[2:3] op_sel:[0,0,1] op_sel_hi:[1,1,0]
	v_pk_fma_f32 v[2:3], v[92:93], v[0:1], v[2:3] op_sel:[0,0,1] op_sel_hi:[0,1,0] neg_lo:[0,0,1] neg_hi:[0,0,1]
	v_pk_fma_f32 v[8:9], v[90:91], v[0:1], v[4:5] op_sel:[0,0,1] op_sel_hi:[1,1,0]
	v_pk_fma_f32 v[4:5], v[90:91], v[0:1], v[4:5] op_sel:[0,0,1] op_sel_hi:[0,1,0] neg_lo:[0,0,1] neg_hi:[0,0,1]
	v_mov_b32_e32 v7, v3
	v_pk_mul_f32 v[2:3], v[94:95], v[0:1] op_sel:[1,0]
	v_mov_b32_e32 v9, v5
	v_pk_fma_f32 v[4:5], v[94:95], v[0:1], v[2:3] op_sel:[0,0,1] op_sel_hi:[1,1,0]
	v_pk_fma_f32 v[2:3], v[94:95], v[0:1], v[2:3] op_sel:[0,0,1] op_sel_hi:[0,1,0] neg_lo:[0,0,1] neg_hi:[0,0,1]
	v_mov_b32_e32 v5, v3
	v_pk_mul_f32 v[2:3], v[96:97], v[0:1] op_sel:[1,0]
	ds_write2_b64 v128, v[6:7], v[8:9] offset1:67
	v_pk_fma_f32 v[6:7], v[96:97], v[0:1], v[2:3] op_sel:[0,0,1] op_sel_hi:[1,1,0]
	v_pk_fma_f32 v[0:1], v[96:97], v[0:1], v[2:3] op_sel:[0,0,1] op_sel_hi:[0,1,0] neg_lo:[0,0,1] neg_hi:[0,0,1]
	v_mov_b32_e32 v7, v1
	ds_write2_b64 v128, v[4:5], v[6:7] offset0:134 offset1:201
	ds_read_b128 v[4:7], v126
	ds_read_b128 v[0:3], v126 offset:16
	s_waitcnt lgkmcnt(0)
	s_barrier
	ds_read2_b64 v[20:23], v129 offset1:1
	ds_read2_b64 v[16:19], v129 offset0:2 offset1:3
	v_cndmask_b32_e64 v8, 0, 1, s[12:13]
	v_cmp_ne_u32_e64 s[4:5], 1, v8
	v_lshl_add_u64 v[8:9], v[64:65], 0, v[52:53]
	s_waitcnt lgkmcnt(0)
	s_barrier
	s_cbranch_vccnz .LBB36_162
; %bb.155:                              ;   in Loop: Header=BB36_142 Depth=1
	v_mov_b32_e32 v98, 0
	v_mov_b32_e32 v99, v148
	v_cmp_gt_i32_e32 vcc, s24, v135
	v_mov_b64_e32 v[100:101], v[98:99]
	s_and_saveexec_b64 s[12:13], vcc
	s_cbranch_execz .LBB36_157
; %bb.156:                              ;   in Loop: Header=BB36_142 Depth=1
	flat_load_dwordx2 v[100:101], v[8:9]
.LBB36_157:                             ;   in Loop: Header=BB36_142 Depth=1
	s_or_b64 exec, exec, s[12:13]
	v_cmp_gt_i32_e32 vcc, s24, v136
	s_and_saveexec_b64 s[12:13], vcc
	s_cbranch_execz .LBB36_159
; %bb.158:                              ;   in Loop: Header=BB36_142 Depth=1
	v_lshl_add_u64 v[10:11], v[68:69], 0, v[52:53]
	flat_load_dwordx2 v[98:99], v[10:11]
.LBB36_159:                             ;   in Loop: Header=BB36_142 Depth=1
	s_or_b64 exec, exec, s[12:13]
	v_mov_b32_e32 v149, v148
	v_cmp_gt_i32_e32 vcc, s24, v137
	v_mov_b64_e32 v[102:103], v[148:149]
	s_and_saveexec_b64 s[12:13], vcc
	s_cbranch_execz .LBB36_161
; %bb.160:                              ;   in Loop: Header=BB36_142 Depth=1
	v_lshl_add_u64 v[10:11], v[66:67], 0, v[52:53]
	flat_load_dwordx2 v[102:103], v[10:11]
.LBB36_161:                             ;   in Loop: Header=BB36_142 Depth=1
	s_or_b64 exec, exec, s[12:13]
	v_cmp_gt_i32_e64 s[12:13], s24, v138
	s_branch .LBB36_164
.LBB36_162:                             ;   in Loop: Header=BB36_142 Depth=1
	s_mov_b64 s[12:13], 0
                                        ; implicit-def: $vgpr102_vgpr103
                                        ; implicit-def: $vgpr98_vgpr99
                                        ; implicit-def: $vgpr100_vgpr101
	s_cbranch_execz .LBB36_164
; %bb.163:                              ;   in Loop: Header=BB36_142 Depth=1
	s_waitcnt vmcnt(0) lgkmcnt(0)
	flat_load_dwordx2 v[100:101], v[8:9]
	v_lshl_add_u64 v[8:9], v[68:69], 0, v[52:53]
	flat_load_dwordx2 v[98:99], v[8:9]
	v_lshl_add_u64 v[8:9], v[66:67], 0, v[52:53]
	flat_load_dwordx2 v[102:103], v[8:9]
	s_or_b64 s[12:13], s[12:13], exec
.LBB36_164:                             ;   in Loop: Header=BB36_142 Depth=1
	v_mov_b32_e32 v104, 0
	v_mov_b32_e32 v105, 0
	s_and_saveexec_b64 s[16:17], s[12:13]
	s_cbranch_execz .LBB36_166
; %bb.165:                              ;   in Loop: Header=BB36_142 Depth=1
	v_lshl_add_u64 v[8:9], v[70:71], 0, v[52:53]
	flat_load_dwordx2 v[104:105], v[8:9]
.LBB36_166:                             ;   in Loop: Header=BB36_142 Depth=1
	s_or_b64 exec, exec, s[16:17]
	ds_read_b64 v[24:25], v127
	ds_read_b128 v[12:15], v126 offset:128
	ds_read_b128 v[8:11], v126 offset:144
	s_and_b64 vcc, exec, s[4:5]
	s_waitcnt vmcnt(0) lgkmcnt(0)
	v_pk_mul_f32 v[26:27], v[100:101], v[24:25] op_sel:[1,1] op_sel_hi:[1,0]
	v_pk_mul_f32 v[28:29], v[98:99], v[24:25] op_sel:[1,1] op_sel_hi:[1,0]
	v_pk_fma_f32 v[30:31], v[100:101], v[24:25], v[26:27]
	v_pk_fma_f32 v[26:27], v[100:101], v[24:25], v[26:27] op_sel_hi:[0,1,1] neg_lo:[0,0,1] neg_hi:[0,0,1]
	v_mov_b32_e32 v31, v27
	v_pk_fma_f32 v[26:27], v[98:99], v[24:25], v[28:29]
	v_pk_fma_f32 v[28:29], v[98:99], v[24:25], v[28:29] op_sel_hi:[0,1,1] neg_lo:[0,0,1] neg_hi:[0,0,1]
	v_mov_b32_e32 v27, v29
	ds_write2_b64 v128, v[30:31], v[26:27] offset1:67
	v_pk_mul_f32 v[26:27], v[102:103], v[24:25] op_sel:[1,1] op_sel_hi:[1,0]
	s_nop 0
	v_pk_fma_f32 v[28:29], v[102:103], v[24:25], v[26:27]
	v_pk_fma_f32 v[26:27], v[102:103], v[24:25], v[26:27] op_sel_hi:[0,1,1] neg_lo:[0,0,1] neg_hi:[0,0,1]
	v_mov_b32_e32 v29, v27
	v_pk_mul_f32 v[26:27], v[104:105], v[24:25] op_sel:[1,1] op_sel_hi:[1,0]
	s_nop 0
	v_pk_fma_f32 v[30:31], v[104:105], v[24:25], v[26:27]
	v_pk_fma_f32 v[24:25], v[104:105], v[24:25], v[26:27] op_sel_hi:[0,1,1] neg_lo:[0,0,1] neg_hi:[0,0,1]
	v_mov_b32_e32 v31, v25
	ds_write2_b64 v128, v[28:29], v[30:31] offset0:134 offset1:201
	s_waitcnt lgkmcnt(0)
	s_barrier
	ds_read2_b64 v[36:39], v129 offset1:1
	ds_read2_b64 v[32:35], v129 offset0:2 offset1:3
	v_lshl_add_u64 v[24:25], v[72:73], 0, v[52:53]
	s_waitcnt lgkmcnt(0)
	s_barrier
	s_cbranch_vccnz .LBB36_174
; %bb.167:                              ;   in Loop: Header=BB36_142 Depth=1
	v_mov_b32_e32 v106, 0
	v_mov_b32_e32 v107, v148
	v_cmp_gt_i32_e32 vcc, s24, v139
	v_mov_b64_e32 v[108:109], v[106:107]
	s_and_saveexec_b64 s[12:13], vcc
	s_cbranch_execz .LBB36_169
; %bb.168:                              ;   in Loop: Header=BB36_142 Depth=1
	flat_load_dwordx2 v[108:109], v[24:25]
.LBB36_169:                             ;   in Loop: Header=BB36_142 Depth=1
	s_or_b64 exec, exec, s[12:13]
	v_cmp_gt_i32_e32 vcc, s24, v140
	s_and_saveexec_b64 s[12:13], vcc
	s_cbranch_execz .LBB36_171
; %bb.170:                              ;   in Loop: Header=BB36_142 Depth=1
	v_lshl_add_u64 v[26:27], v[76:77], 0, v[52:53]
	flat_load_dwordx2 v[106:107], v[26:27]
.LBB36_171:                             ;   in Loop: Header=BB36_142 Depth=1
	s_or_b64 exec, exec, s[12:13]
	v_mov_b32_e32 v149, v148
	v_cmp_gt_i32_e32 vcc, s24, v141
	v_mov_b64_e32 v[110:111], v[148:149]
	s_and_saveexec_b64 s[12:13], vcc
	s_cbranch_execz .LBB36_173
; %bb.172:                              ;   in Loop: Header=BB36_142 Depth=1
	v_lshl_add_u64 v[26:27], v[74:75], 0, v[52:53]
	flat_load_dwordx2 v[110:111], v[26:27]
.LBB36_173:                             ;   in Loop: Header=BB36_142 Depth=1
	s_or_b64 exec, exec, s[12:13]
	v_cmp_gt_i32_e64 s[12:13], s24, v142
	s_branch .LBB36_176
.LBB36_174:                             ;   in Loop: Header=BB36_142 Depth=1
	s_mov_b64 s[12:13], 0
                                        ; implicit-def: $vgpr110_vgpr111
                                        ; implicit-def: $vgpr106_vgpr107
                                        ; implicit-def: $vgpr108_vgpr109
	s_cbranch_execz .LBB36_176
; %bb.175:                              ;   in Loop: Header=BB36_142 Depth=1
	s_waitcnt vmcnt(0) lgkmcnt(0)
	flat_load_dwordx2 v[108:109], v[24:25]
	v_lshl_add_u64 v[24:25], v[76:77], 0, v[52:53]
	flat_load_dwordx2 v[106:107], v[24:25]
	v_lshl_add_u64 v[24:25], v[74:75], 0, v[52:53]
	flat_load_dwordx2 v[110:111], v[24:25]
	s_or_b64 s[12:13], s[12:13], exec
.LBB36_176:                             ;   in Loop: Header=BB36_142 Depth=1
	v_mov_b32_e32 v112, 0
	v_mov_b32_e32 v113, 0
	s_and_saveexec_b64 s[16:17], s[12:13]
	s_cbranch_execz .LBB36_178
; %bb.177:                              ;   in Loop: Header=BB36_142 Depth=1
	v_lshl_add_u64 v[24:25], v[78:79], 0, v[52:53]
	flat_load_dwordx2 v[112:113], v[24:25]
.LBB36_178:                             ;   in Loop: Header=BB36_142 Depth=1
	s_or_b64 exec, exec, s[16:17]
	ds_read_b64 v[24:25], v127
	s_and_b64 vcc, exec, s[4:5]
	v_lshl_add_u64 v[120:121], v[80:81], 0, v[52:53]
	s_waitcnt vmcnt(0) lgkmcnt(0)
	v_pk_mul_f32 v[26:27], v[108:109], v[24:25] op_sel:[1,0]
	v_pk_mul_f32 v[28:29], v[106:107], v[24:25] op_sel:[1,0]
	v_pk_fma_f32 v[30:31], v[108:109], v[24:25], v[26:27] op_sel:[0,0,1] op_sel_hi:[1,1,0]
	v_pk_fma_f32 v[26:27], v[108:109], v[24:25], v[26:27] op_sel:[0,0,1] op_sel_hi:[0,1,0] neg_lo:[0,0,1] neg_hi:[0,0,1]
	v_pk_fma_f32 v[40:41], v[106:107], v[24:25], v[28:29] op_sel:[0,0,1] op_sel_hi:[1,1,0]
	v_pk_fma_f32 v[28:29], v[106:107], v[24:25], v[28:29] op_sel:[0,0,1] op_sel_hi:[0,1,0] neg_lo:[0,0,1] neg_hi:[0,0,1]
	v_mov_b32_e32 v31, v27
	v_pk_mul_f32 v[26:27], v[110:111], v[24:25] op_sel:[1,0]
	v_mov_b32_e32 v41, v29
	v_pk_fma_f32 v[28:29], v[110:111], v[24:25], v[26:27] op_sel:[0,0,1] op_sel_hi:[1,1,0]
	v_pk_fma_f32 v[26:27], v[110:111], v[24:25], v[26:27] op_sel:[0,0,1] op_sel_hi:[0,1,0] neg_lo:[0,0,1] neg_hi:[0,0,1]
	v_mov_b32_e32 v29, v27
	v_pk_mul_f32 v[26:27], v[112:113], v[24:25] op_sel:[1,0]
	ds_write2_b64 v128, v[30:31], v[40:41] offset1:67
	v_pk_fma_f32 v[30:31], v[112:113], v[24:25], v[26:27] op_sel:[0,0,1] op_sel_hi:[1,1,0]
	v_pk_fma_f32 v[24:25], v[112:113], v[24:25], v[26:27] op_sel:[0,0,1] op_sel_hi:[0,1,0] neg_lo:[0,0,1] neg_hi:[0,0,1]
	v_mov_b32_e32 v31, v25
	ds_write2_b64 v128, v[28:29], v[30:31] offset0:134 offset1:201
	ds_read_b128 v[28:31], v126 offset:256
	ds_read_b128 v[24:27], v126 offset:272
	s_waitcnt lgkmcnt(0)
	s_barrier
	ds_read2_b64 v[44:47], v129 offset1:1
	ds_read2_b64 v[40:43], v129 offset0:2 offset1:3
	s_waitcnt lgkmcnt(0)
	s_barrier
	s_cbranch_vccnz .LBB36_186
; %bb.179:                              ;   in Loop: Header=BB36_142 Depth=1
	v_mov_b32_e32 v114, 0
	v_mov_b32_e32 v115, v148
	v_cmp_gt_i32_e32 vcc, s24, v144
	v_mov_b64_e32 v[116:117], v[114:115]
	s_and_saveexec_b64 s[4:5], vcc
	s_cbranch_execz .LBB36_181
; %bb.180:                              ;   in Loop: Header=BB36_142 Depth=1
	flat_load_dwordx2 v[116:117], v[120:121]
.LBB36_181:                             ;   in Loop: Header=BB36_142 Depth=1
	s_or_b64 exec, exec, s[4:5]
	v_cmp_gt_i32_e32 vcc, s24, v145
	s_and_saveexec_b64 s[4:5], vcc
	s_cbranch_execz .LBB36_183
; %bb.182:                              ;   in Loop: Header=BB36_142 Depth=1
	v_lshl_add_u64 v[114:115], v[84:85], 0, v[52:53]
	flat_load_dwordx2 v[114:115], v[114:115]
.LBB36_183:                             ;   in Loop: Header=BB36_142 Depth=1
	s_or_b64 exec, exec, s[4:5]
	v_mov_b32_e32 v149, v148
	v_cmp_gt_i32_e32 vcc, s24, v146
	v_mov_b64_e32 v[118:119], v[148:149]
	s_and_saveexec_b64 s[4:5], vcc
	s_cbranch_execz .LBB36_185
; %bb.184:                              ;   in Loop: Header=BB36_142 Depth=1
	v_lshl_add_u64 v[118:119], v[82:83], 0, v[52:53]
	flat_load_dwordx2 v[118:119], v[118:119]
.LBB36_185:                             ;   in Loop: Header=BB36_142 Depth=1
	s_or_b64 exec, exec, s[4:5]
	v_cmp_gt_i32_e64 s[4:5], s24, v147
	s_branch .LBB36_188
.LBB36_186:                             ;   in Loop: Header=BB36_142 Depth=1
	s_mov_b64 s[4:5], 0
                                        ; implicit-def: $vgpr118_vgpr119
                                        ; implicit-def: $vgpr114_vgpr115
                                        ; implicit-def: $vgpr116_vgpr117
	s_cbranch_execz .LBB36_188
; %bb.187:                              ;   in Loop: Header=BB36_142 Depth=1
	s_waitcnt vmcnt(0) lgkmcnt(0)
	v_lshl_add_u64 v[114:115], v[84:85], 0, v[52:53]
	v_lshl_add_u64 v[118:119], v[82:83], 0, v[52:53]
	flat_load_dwordx2 v[116:117], v[120:121]
	s_or_b64 s[4:5], s[4:5], exec
	flat_load_dwordx2 v[114:115], v[114:115]
	s_nop 0
	flat_load_dwordx2 v[118:119], v[118:119]
.LBB36_188:                             ;   in Loop: Header=BB36_142 Depth=1
	v_mov_b32_e32 v120, 0
	v_mov_b32_e32 v121, 0
	s_and_saveexec_b64 s[12:13], s[4:5]
	s_cbranch_execz .LBB36_190
; %bb.189:                              ;   in Loop: Header=BB36_142 Depth=1
	v_lshl_add_u64 v[120:121], v[86:87], 0, v[52:53]
	flat_load_dwordx2 v[120:121], v[120:121]
.LBB36_190:                             ;   in Loop: Header=BB36_142 Depth=1
	s_or_b64 exec, exec, s[12:13]
	v_pk_add_f32 v[44:45], v[44:45], 0 op_sel_hi:[1,0]
	v_pk_add_f32 v[36:37], v[36:37], 0 op_sel_hi:[1,0]
	v_pk_add_f32 v[44:45], v[44:45], v[46:47]
	v_pk_add_f32 v[36:37], v[36:37], v[38:39]
	v_pk_add_f32 v[40:41], v[44:45], v[40:41]
	v_pk_add_f32 v[32:33], v[36:37], v[32:33]
	v_pk_add_f32 v[44:45], v[40:41], v[42:43]
	ds_read_b64 v[40:41], v127
	v_pk_add_f32 v[46:47], v[32:33], v[34:35]
	v_pk_add_f32 v[20:21], v[20:21], 0 op_sel_hi:[1,0]
	v_cmp_gt_i32_e32 vcc, s24, v122
	v_pk_add_f32 v[150:151], v[20:21], v[22:23]
	s_waitcnt vmcnt(0) lgkmcnt(0)
	v_pk_mul_f32 v[32:33], v[116:117], v[40:41] op_sel:[1,0]
	v_pk_add_f32 v[16:17], v[150:151], v[16:17]
	v_pk_fma_f32 v[34:35], v[116:117], v[40:41], v[32:33] op_sel:[0,0,1] op_sel_hi:[1,1,0]
	v_pk_fma_f32 v[32:33], v[116:117], v[40:41], v[32:33] op_sel:[0,0,1] op_sel_hi:[0,1,0] neg_lo:[0,0,1] neg_hi:[0,0,1]
	v_mov_b32_e32 v35, v33
	v_pk_mul_f32 v[32:33], v[114:115], v[40:41] op_sel:[1,0]
	v_pk_add_f32 v[16:17], v[16:17], v[18:19]
	v_pk_fma_f32 v[36:37], v[114:115], v[40:41], v[32:33] op_sel:[0,0,1] op_sel_hi:[1,1,0]
	v_pk_fma_f32 v[32:33], v[114:115], v[40:41], v[32:33] op_sel:[0,0,1] op_sel_hi:[0,1,0] neg_lo:[0,0,1] neg_hi:[0,0,1]
	v_mov_b32_e32 v37, v33
	v_pk_mul_f32 v[32:33], v[118:119], v[40:41] op_sel:[1,0]
	ds_write2_b64 v128, v[34:35], v[36:37] offset1:67
	v_pk_fma_f32 v[34:35], v[118:119], v[40:41], v[32:33] op_sel:[0,0,1] op_sel_hi:[1,1,0]
	v_pk_fma_f32 v[32:33], v[118:119], v[40:41], v[32:33] op_sel:[0,0,1] op_sel_hi:[0,1,0] neg_lo:[0,0,1] neg_hi:[0,0,1]
	v_mov_b32_e32 v35, v33
	v_pk_mul_f32 v[32:33], v[120:121], v[40:41] op_sel:[1,0]
	s_or_b64 s[4:5], s[10:11], vcc
	v_pk_fma_f32 v[36:37], v[120:121], v[40:41], v[32:33] op_sel:[0,0,1] op_sel_hi:[1,1,0]
	v_pk_fma_f32 v[32:33], v[120:121], v[40:41], v[32:33] op_sel:[0,0,1] op_sel_hi:[0,1,0] neg_lo:[0,0,1] neg_hi:[0,0,1]
	v_mov_b32_e32 v37, v33
	ds_write2_b64 v128, v[34:35], v[36:37] offset0:134 offset1:201
	ds_read_b128 v[36:39], v126 offset:384
	ds_read_b128 v[32:35], v126 offset:400
	s_waitcnt lgkmcnt(0)
	s_barrier
	ds_read2_b64 v[40:43], v129 offset1:1
	ds_read2_b64 v[20:23], v129 offset0:2 offset1:3
	s_and_b64 s[10:11], s[0:1], s[4:5]
	s_waitcnt lgkmcnt(0)
	s_barrier
	v_pk_add_f32 v[18:19], v[40:41], 0 op_sel_hi:[1,0]
	s_nop 0
	v_pk_add_f32 v[18:19], v[18:19], v[42:43]
	s_nop 0
	v_pk_add_f32 v[18:19], v[18:19], v[20:21]
	;; [unrolled: 2-line block ×3, first 2 shown]
	ds_write2_b64 v143, v[16:17], v[46:47] offset1:16
	ds_write2_b64 v143, v[44:45], v[18:19] offset0:32 offset1:48
	s_waitcnt lgkmcnt(0)
	s_barrier
	s_and_saveexec_b64 s[4:5], s[10:11]
	s_cbranch_execz .LBB36_192
; %bb.191:                              ;   in Loop: Header=BB36_142 Depth=1
	ds_read_b64 v[40:41], v130
	ds_read2_b64 v[16:19], v130 offset0:1 offset1:2
	ds_read2_b64 v[20:23], v130 offset0:3 offset1:4
	v_add_u32_e32 v42, s26, v122
	v_ashrrev_i32_e32 v43, 31, v42
	v_lshl_add_u64 v[44:45], v[42:43], 3, s[6:7]
	s_waitcnt lgkmcnt(1)
	v_add_f32_e32 v16, v16, v40
	v_add_f32_e32 v17, v17, v41
	;; [unrolled: 1-line block ×4, first 2 shown]
	ds_read2_b64 v[16:19], v130 offset0:5 offset1:6
	s_waitcnt lgkmcnt(1)
	v_add_f32_e32 v20, v40, v20
	v_add_f32_e32 v21, v41, v21
	;; [unrolled: 1-line block ×4, first 2 shown]
	ds_read2_b64 v[20:23], v130 offset0:7 offset1:8
	s_waitcnt lgkmcnt(1)
	v_pk_add_f32 v[16:17], v[40:41], v[16:17]
	ds_read2_b64 v[40:43], v130 offset0:9 offset1:10
	v_pk_add_f32 v[16:17], v[16:17], v[18:19]
	s_waitcnt lgkmcnt(1)
	v_pk_add_f32 v[16:17], v[16:17], v[20:21]
	s_nop 0
	v_pk_add_f32 v[20:21], v[16:17], v[22:23]
	ds_read2_b64 v[16:19], v130 offset0:11 offset1:12
	s_waitcnt lgkmcnt(1)
	v_pk_add_f32 v[40:41], v[20:21], v[40:41]
	ds_read2_b64 v[20:23], v130 offset0:13 offset1:14
	v_pk_add_f32 v[40:41], v[40:41], v[42:43]
	ds_read_b64 v[42:43], v131
	s_waitcnt lgkmcnt(2)
	v_pk_add_f32 v[16:17], v[40:41], v[16:17]
	s_nop 0
	v_pk_add_f32 v[16:17], v[16:17], v[18:19]
	s_waitcnt lgkmcnt(1)
	v_pk_add_f32 v[16:17], v[16:17], v[20:21]
	s_nop 0
	v_pk_add_f32 v[16:17], v[16:17], v[22:23]
	s_waitcnt lgkmcnt(0)
	v_pk_add_f32 v[16:17], v[16:17], v[42:43]
	global_store_dwordx2 v[44:45], v[16:17], off
.LBB36_192:                             ;   in Loop: Header=BB36_142 Depth=1
	s_or_b64 exec, exec, s[4:5]
	v_mov_b32_e32 v16, v92
	v_mov_b32_e32 v17, v92
	;; [unrolled: 1-line block ×3, first 2 shown]
	v_pk_mul_f32 v[92:93], v[92:93], v[4:5]
	v_mov_b32_e32 v18, v90
	v_mov_b32_e32 v19, v90
	;; [unrolled: 1-line block ×3, first 2 shown]
	v_pk_fma_f32 v[158:159], v[16:17], v[4:5], v[92:93] op_sel:[0,0,1] op_sel_hi:[1,1,0] neg_lo:[0,0,1] neg_hi:[0,0,1]
	v_pk_fma_f32 v[4:5], v[16:17], v[4:5], v[92:93] op_sel:[0,0,1] op_sel_hi:[1,1,0]
	v_pk_mul_f32 v[16:17], v[90:91], v[6:7]
	v_mov_b32_e32 v159, v5
	v_mov_b32_e32 v20, v94
	;; [unrolled: 1-line block ×4, first 2 shown]
	v_pk_add_f32 v[4:5], v[50:51], v[158:159]
	v_pk_fma_f32 v[50:51], v[18:19], v[6:7], v[16:17] op_sel:[0,0,1] op_sel_hi:[1,1,0] neg_lo:[0,0,1] neg_hi:[0,0,1]
	v_pk_fma_f32 v[6:7], v[18:19], v[6:7], v[16:17] op_sel:[0,0,1] op_sel_hi:[1,1,0]
	v_mov_b32_e32 v22, v96
	v_mov_b32_e32 v51, v7
	v_pk_mul_f32 v[6:7], v[94:95], v[0:1]
	v_mov_b32_e32 v23, v96
	v_pk_fma_f32 v[16:17], v[20:21], v[0:1], v[6:7] op_sel:[0,0,1] op_sel_hi:[1,1,0] neg_lo:[0,0,1] neg_hi:[0,0,1]
	v_pk_fma_f32 v[0:1], v[20:21], v[0:1], v[6:7] op_sel:[0,0,1] op_sel_hi:[1,1,0]
	v_mov_b32_e32 v96, v97
	v_pk_add_f32 v[4:5], v[4:5], v[50:51]
	v_mov_b32_e32 v17, v1
	v_pk_add_f32 v[0:1], v[4:5], v[16:17]
	v_pk_mul_f32 v[4:5], v[96:97], v[2:3]
	v_mov_b32_e32 v40, v108
	v_pk_fma_f32 v[6:7], v[22:23], v[2:3], v[4:5] op_sel:[0,0,1] op_sel_hi:[1,1,0] neg_lo:[0,0,1] neg_hi:[0,0,1]
	v_pk_fma_f32 v[2:3], v[22:23], v[2:3], v[4:5] op_sel:[0,0,1] op_sel_hi:[1,1,0]
	v_mov_b32_e32 v4, v15
	v_mov_b32_e32 v7, v3
	v_pk_mul_f32 v[2:3], v[100:101], v[12:13] op_sel:[1,1] op_sel_hi:[0,1]
	v_pk_add_f32 v[0:1], v[0:1], v[6:7]
	v_pk_mul_f32 v[4:5], v[98:99], v[4:5] op_sel:[1,0] op_sel_hi:[0,0]
	v_pk_fma_f32 v[6:7], v[100:101], v[12:13], v[2:3] neg_lo:[0,0,1] neg_hi:[0,0,1]
	v_pk_fma_f32 v[2:3], v[100:101], v[12:13], v[2:3] op_sel_hi:[1,0,1]
	v_mov_b32_e32 v41, v108
	v_mov_b32_e32 v7, v3
	v_pk_fma_f32 v[2:3], v[98:99], v[14:15], v[4:5] neg_lo:[0,0,1] neg_hi:[0,0,1]
	v_pk_fma_f32 v[4:5], v[98:99], v[14:15], v[4:5] op_sel_hi:[1,0,1]
	v_pk_add_f32 v[0:1], v[0:1], v[6:7]
	v_mov_b32_e32 v3, v5
	v_pk_add_f32 v[0:1], v[0:1], v[2:3]
	v_pk_mul_f32 v[2:3], v[102:103], v[8:9] op_sel:[1,1] op_sel_hi:[0,1]
	v_pk_fma_f32 v[4:5], v[102:103], v[8:9], v[2:3] neg_lo:[0,0,1] neg_hi:[0,0,1]
	v_pk_fma_f32 v[2:3], v[102:103], v[8:9], v[2:3] op_sel_hi:[1,0,1]
	v_mov_b32_e32 v108, v109
	v_mov_b32_e32 v2, v11
	;; [unrolled: 1-line block ×3, first 2 shown]
	v_pk_mul_f32 v[2:3], v[104:105], v[2:3] op_sel:[1,0] op_sel_hi:[0,0]
	v_pk_add_f32 v[0:1], v[0:1], v[4:5]
	v_pk_fma_f32 v[4:5], v[104:105], v[10:11], v[2:3] neg_lo:[0,0,1] neg_hi:[0,0,1]
	v_pk_fma_f32 v[2:3], v[104:105], v[10:11], v[2:3] op_sel_hi:[1,0,1]
	v_mov_b32_e32 v42, v106
	v_mov_b32_e32 v5, v3
	v_pk_mul_f32 v[2:3], v[108:109], v[28:29]
	v_mov_b32_e32 v43, v106
	v_mov_b32_e32 v106, v107
	v_pk_add_f32 v[0:1], v[0:1], v[4:5]
	v_pk_fma_f32 v[4:5], v[40:41], v[28:29], v[2:3] op_sel:[0,0,1] op_sel_hi:[1,1,0] neg_lo:[0,0,1] neg_hi:[0,0,1]
	v_pk_fma_f32 v[2:3], v[40:41], v[28:29], v[2:3] op_sel:[0,0,1] op_sel_hi:[1,1,0]
	v_mov_b32_e32 v44, v110
	v_mov_b32_e32 v5, v3
	v_pk_mul_f32 v[2:3], v[106:107], v[30:31]
	v_mov_b32_e32 v45, v110
	v_mov_b32_e32 v110, v111
	v_pk_add_f32 v[0:1], v[0:1], v[4:5]
	v_pk_fma_f32 v[4:5], v[42:43], v[30:31], v[2:3] op_sel:[0,0,1] op_sel_hi:[1,1,0] neg_lo:[0,0,1] neg_hi:[0,0,1]
	v_pk_fma_f32 v[2:3], v[42:43], v[30:31], v[2:3] op_sel:[0,0,1] op_sel_hi:[1,1,0]
	;; [unrolled: 8-line block ×5, first 2 shown]
	v_mov_b32_e32 v154, v118
	v_mov_b32_e32 v5, v3
	v_pk_mul_f32 v[2:3], v[114:115], v[38:39]
	v_mov_b32_e32 v155, v118
	v_mov_b32_e32 v118, v119
	v_pk_fma_f32 v[6:7], v[152:153], v[38:39], v[2:3] op_sel:[0,0,1] op_sel_hi:[1,1,0] neg_lo:[0,0,1] neg_hi:[0,0,1]
	v_pk_fma_f32 v[2:3], v[152:153], v[38:39], v[2:3] op_sel:[0,0,1] op_sel_hi:[1,1,0]
	v_mov_b32_e32 v156, v120
	v_mov_b32_e32 v7, v3
	v_pk_mul_f32 v[2:3], v[118:119], v[32:33]
	v_mov_b32_e32 v157, v120
	v_mov_b32_e32 v120, v121
	v_pk_fma_f32 v[8:9], v[154:155], v[32:33], v[2:3] op_sel:[0,0,1] op_sel_hi:[1,1,0] neg_lo:[0,0,1] neg_hi:[0,0,1]
	v_pk_fma_f32 v[2:3], v[154:155], v[32:33], v[2:3] op_sel:[0,0,1] op_sel_hi:[1,1,0]
	v_pk_add_f32 v[0:1], v[0:1], v[4:5]
	v_mov_b32_e32 v9, v3
	v_pk_mul_f32 v[2:3], v[120:121], v[34:35]
	v_pk_add_f32 v[0:1], v[0:1], v[6:7]
	v_pk_fma_f32 v[10:11], v[156:157], v[34:35], v[2:3] op_sel:[0,0,1] op_sel_hi:[1,1,0] neg_lo:[0,0,1] neg_hi:[0,0,1]
	v_pk_fma_f32 v[2:3], v[156:157], v[34:35], v[2:3] op_sel:[0,0,1] op_sel_hi:[1,1,0]
	v_pk_add_f32 v[0:1], v[0:1], v[8:9]
	v_mov_b32_e32 v11, v3
	s_add_i32 s4, s2, 1
	s_add_i32 s26, s26, 64
	s_add_i32 s2, s2, 2
	v_pk_add_f32 v[50:51], v[0:1], v[10:11]
	v_lshl_add_u64 v[56:57], v[56:57], 0, s[8:9]
	v_lshl_add_u64 v[58:59], v[58:59], 0, s[8:9]
	;; [unrolled: 1-line block ×15, first 2 shown]
	s_cmp_ge_u32 s2, s3
	v_lshl_add_u64 v[86:87], v[86:87], 0, s[8:9]
	s_barrier
	s_cbranch_scc0 .LBB36_137
.LBB36_193:
	s_movk_i32 s0, 0x218
	v_cmp_gt_i32_e32 vcc, s20, v122
	v_mad_u32_u24 v0, v123, s0, v52
	s_or_b64 s[0:1], s[22:23], vcc
	s_and_b64 s[0:1], s[14:15], s[0:1]
	ds_write_b64 v0, v[50:51]
	s_waitcnt lgkmcnt(0)
	s_barrier
	s_and_saveexec_b64 s[2:3], s[0:1]
	s_cbranch_execz .LBB36_195
; %bb.194:
	ds_read2_b64 v[0:3], v52 offset1:67
	ds_read2_b64 v[4:7], v52 offset0:134 offset1:201
	v_lshl_add_u64 v[8:9], v[48:49], 3, s[6:7]
	s_waitcnt lgkmcnt(1)
	v_pk_add_f32 v[0:1], v[2:3], v[0:1]
	s_waitcnt lgkmcnt(0)
	v_pk_add_f32 v[0:1], v[4:5], v[0:1]
	s_nop 0
	v_pk_add_f32 v[0:1], v[0:1], v[6:7]
	global_store_dwordx2 v[8:9], v[0:1], off
.LBB36_195:
	s_endpgm
	.section	.rodata,"a",@progbits
	.p2align	6, 0x0
	.amdhsa_kernel _ZL26rocblas_hemvn_kernel_upperILb1ELi64ELi4ELi33ELi32ELi16El19rocblas_complex_numIfEPKPKS1_PS1_EviT6_lT7_lT5_lS8_lS9_lS7_lT8_i
		.amdhsa_group_segment_fixed_size 9600
		.amdhsa_private_segment_fixed_size 0
		.amdhsa_kernarg_size 376
		.amdhsa_user_sgpr_count 2
		.amdhsa_user_sgpr_dispatch_ptr 0
		.amdhsa_user_sgpr_queue_ptr 0
		.amdhsa_user_sgpr_kernarg_segment_ptr 1
		.amdhsa_user_sgpr_dispatch_id 0
		.amdhsa_user_sgpr_kernarg_preload_length 0
		.amdhsa_user_sgpr_kernarg_preload_offset 0
		.amdhsa_user_sgpr_private_segment_size 0
		.amdhsa_uses_dynamic_stack 0
		.amdhsa_enable_private_segment 0
		.amdhsa_system_sgpr_workgroup_id_x 1
		.amdhsa_system_sgpr_workgroup_id_y 0
		.amdhsa_system_sgpr_workgroup_id_z 1
		.amdhsa_system_sgpr_workgroup_info 0
		.amdhsa_system_vgpr_workitem_id 1
		.amdhsa_next_free_vgpr 160
		.amdhsa_next_free_sgpr 38
		.amdhsa_accum_offset 160
		.amdhsa_reserve_vcc 1
		.amdhsa_float_round_mode_32 0
		.amdhsa_float_round_mode_16_64 0
		.amdhsa_float_denorm_mode_32 3
		.amdhsa_float_denorm_mode_16_64 3
		.amdhsa_dx10_clamp 1
		.amdhsa_ieee_mode 1
		.amdhsa_fp16_overflow 0
		.amdhsa_tg_split 0
		.amdhsa_exception_fp_ieee_invalid_op 0
		.amdhsa_exception_fp_denorm_src 0
		.amdhsa_exception_fp_ieee_div_zero 0
		.amdhsa_exception_fp_ieee_overflow 0
		.amdhsa_exception_fp_ieee_underflow 0
		.amdhsa_exception_fp_ieee_inexact 0
		.amdhsa_exception_int_div_zero 0
	.end_amdhsa_kernel
	.section	.text._ZL26rocblas_hemvn_kernel_upperILb1ELi64ELi4ELi33ELi32ELi16El19rocblas_complex_numIfEPKPKS1_PS1_EviT6_lT7_lT5_lS8_lS9_lS7_lT8_i,"axG",@progbits,_ZL26rocblas_hemvn_kernel_upperILb1ELi64ELi4ELi33ELi32ELi16El19rocblas_complex_numIfEPKPKS1_PS1_EviT6_lT7_lT5_lS8_lS9_lS7_lT8_i,comdat
.Lfunc_end36:
	.size	_ZL26rocblas_hemvn_kernel_upperILb1ELi64ELi4ELi33ELi32ELi16El19rocblas_complex_numIfEPKPKS1_PS1_EviT6_lT7_lT5_lS8_lS9_lS7_lT8_i, .Lfunc_end36-_ZL26rocblas_hemvn_kernel_upperILb1ELi64ELi4ELi33ELi32ELi16El19rocblas_complex_numIfEPKPKS1_PS1_EviT6_lT7_lT5_lS8_lS9_lS7_lT8_i
                                        ; -- End function
	.set _ZL26rocblas_hemvn_kernel_upperILb1ELi64ELi4ELi33ELi32ELi16El19rocblas_complex_numIfEPKPKS1_PS1_EviT6_lT7_lT5_lS8_lS9_lS7_lT8_i.num_vgpr, 160
	.set _ZL26rocblas_hemvn_kernel_upperILb1ELi64ELi4ELi33ELi32ELi16El19rocblas_complex_numIfEPKPKS1_PS1_EviT6_lT7_lT5_lS8_lS9_lS7_lT8_i.num_agpr, 0
	.set _ZL26rocblas_hemvn_kernel_upperILb1ELi64ELi4ELi33ELi32ELi16El19rocblas_complex_numIfEPKPKS1_PS1_EviT6_lT7_lT5_lS8_lS9_lS7_lT8_i.numbered_sgpr, 38
	.set _ZL26rocblas_hemvn_kernel_upperILb1ELi64ELi4ELi33ELi32ELi16El19rocblas_complex_numIfEPKPKS1_PS1_EviT6_lT7_lT5_lS8_lS9_lS7_lT8_i.num_named_barrier, 0
	.set _ZL26rocblas_hemvn_kernel_upperILb1ELi64ELi4ELi33ELi32ELi16El19rocblas_complex_numIfEPKPKS1_PS1_EviT6_lT7_lT5_lS8_lS9_lS7_lT8_i.private_seg_size, 0
	.set _ZL26rocblas_hemvn_kernel_upperILb1ELi64ELi4ELi33ELi32ELi16El19rocblas_complex_numIfEPKPKS1_PS1_EviT6_lT7_lT5_lS8_lS9_lS7_lT8_i.uses_vcc, 1
	.set _ZL26rocblas_hemvn_kernel_upperILb1ELi64ELi4ELi33ELi32ELi16El19rocblas_complex_numIfEPKPKS1_PS1_EviT6_lT7_lT5_lS8_lS9_lS7_lT8_i.uses_flat_scratch, 0
	.set _ZL26rocblas_hemvn_kernel_upperILb1ELi64ELi4ELi33ELi32ELi16El19rocblas_complex_numIfEPKPKS1_PS1_EviT6_lT7_lT5_lS8_lS9_lS7_lT8_i.has_dyn_sized_stack, 0
	.set _ZL26rocblas_hemvn_kernel_upperILb1ELi64ELi4ELi33ELi32ELi16El19rocblas_complex_numIfEPKPKS1_PS1_EviT6_lT7_lT5_lS8_lS9_lS7_lT8_i.has_recursion, 0
	.set _ZL26rocblas_hemvn_kernel_upperILb1ELi64ELi4ELi33ELi32ELi16El19rocblas_complex_numIfEPKPKS1_PS1_EviT6_lT7_lT5_lS8_lS9_lS7_lT8_i.has_indirect_call, 0
	.section	.AMDGPU.csdata,"",@progbits
; Kernel info:
; codeLenInByte = 9584
; TotalNumSgprs: 44
; NumVgprs: 160
; NumAgprs: 0
; TotalNumVgprs: 160
; ScratchSize: 0
; MemoryBound: 1
; FloatMode: 240
; IeeeMode: 1
; LDSByteSize: 9600 bytes/workgroup (compile time only)
; SGPRBlocks: 5
; VGPRBlocks: 19
; NumSGPRsForWavesPerEU: 44
; NumVGPRsForWavesPerEU: 160
; AccumOffset: 160
; Occupancy: 3
; WaveLimiterHint : 1
; COMPUTE_PGM_RSRC2:SCRATCH_EN: 0
; COMPUTE_PGM_RSRC2:USER_SGPR: 2
; COMPUTE_PGM_RSRC2:TRAP_HANDLER: 0
; COMPUTE_PGM_RSRC2:TGID_X_EN: 1
; COMPUTE_PGM_RSRC2:TGID_Y_EN: 0
; COMPUTE_PGM_RSRC2:TGID_Z_EN: 1
; COMPUTE_PGM_RSRC2:TIDIG_COMP_CNT: 1
; COMPUTE_PGM_RSRC3_GFX90A:ACCUM_OFFSET: 39
; COMPUTE_PGM_RSRC3_GFX90A:TG_SPLIT: 0
	.section	.text._ZL36rocblas_hemvn_kernel_upper_block_sumILi64El19rocblas_complex_numIfEPKPS1_S1_EviT1_lS5_lT2_lT0_lPT3_i,"axG",@progbits,_ZL36rocblas_hemvn_kernel_upper_block_sumILi64El19rocblas_complex_numIfEPKPS1_S1_EviT1_lS5_lT2_lT0_lPT3_i,comdat
	.globl	_ZL36rocblas_hemvn_kernel_upper_block_sumILi64El19rocblas_complex_numIfEPKPS1_S1_EviT1_lS5_lT2_lT0_lPT3_i ; -- Begin function _ZL36rocblas_hemvn_kernel_upper_block_sumILi64El19rocblas_complex_numIfEPKPS1_S1_EviT1_lS5_lT2_lT0_lPT3_i
	.p2align	8
	.type	_ZL36rocblas_hemvn_kernel_upper_block_sumILi64El19rocblas_complex_numIfEPKPS1_S1_EviT1_lS5_lT2_lT0_lPT3_i,@function
_ZL36rocblas_hemvn_kernel_upper_block_sumILi64El19rocblas_complex_numIfEPKPS1_S1_EviT1_lS5_lT2_lT0_lPT3_i: ; @_ZL36rocblas_hemvn_kernel_upper_block_sumILi64El19rocblas_complex_numIfEPKPS1_S1_EviT1_lS5_lT2_lT0_lPT3_i
; %bb.0:
	s_load_dwordx4 s[8:11], s[0:1], 0x0
	s_load_dwordx2 s[12:13], s[0:1], 0x18
	s_mov_b32 s16, s3
	s_mov_b32 s17, 0
	s_waitcnt lgkmcnt(0)
	s_or_b32 s3, s9, s10
	s_bitset0_b32 s3, 31
	s_cmp_eq_u32 s3, 0
	v_cmp_eq_f32_e64 s[4:5], s12, 1.0
	v_cmp_eq_f32_e64 s[6:7], s13, 0
	s_cselect_b64 s[18:19], -1, 0
	s_and_b64 s[4:5], s[4:5], s[6:7]
	s_and_b64 s[4:5], s[18:19], s[4:5]
	s_and_b64 vcc, exec, s[4:5]
	s_cbranch_vccnz .LBB37_17
; %bb.1:
	s_mov_b32 s15, s10
	s_load_dwordx2 s[10:11], s[0:1], 0x28
	s_load_dwordx4 s[4:7], s[0:1], 0x30
	s_lshl_b64 s[20:21], s[16:17], 3
	v_lshl_or_b32 v0, s2, 6, v0
	s_mov_b32 s14, s9
	s_waitcnt lgkmcnt(0)
	s_add_u32 s10, s10, s20
	s_addc_u32 s11, s11, s21
	s_load_dwordx2 s[10:11], s[10:11], 0x0
	s_lshl_b64 s[4:5], s[4:5], 3
	s_mov_b64 s[20:21], -1
	s_waitcnt lgkmcnt(0)
	s_add_u32 s10, s10, s4
	s_addc_u32 s11, s11, s5
	s_andn2_b64 vcc, exec, s[18:19]
	v_cmp_gt_i32_e64 s[4:5], s8, v0
	s_cbranch_vccnz .LBB37_7
; %bb.2:
	s_and_saveexec_b64 s[18:19], s[4:5]
	s_cbranch_execz .LBB37_6
; %bb.3:
	v_ashrrev_i32_e32 v1, 31, v0
	v_cmp_neq_f32_e64 s[4:5], s12, 0
	v_cmp_neq_f32_e64 s[20:21], s13, 0
	v_mul_lo_u32 v2, s7, v0
	v_mul_lo_u32 v1, s6, v1
	v_mad_u64_u32 v[4:5], s[22:23], s6, v0, 0
	v_add3_u32 v5, v5, v1, v2
	s_or_b64 s[4:5], s[4:5], s[20:21]
	v_mov_b32_e32 v2, 0
	s_andn2_b64 vcc, exec, s[4:5]
	v_lshl_add_u64 v[4:5], v[4:5], 3, s[10:11]
	v_mov_b32_e32 v3, 0
	s_cbranch_vccnz .LBB37_5
; %bb.4:
	flat_load_dwordx2 v[6:7], v[4:5]
	s_waitcnt vmcnt(0) lgkmcnt(0)
	v_pk_mul_f32 v[8:9], v[6:7], s[12:13] op_sel:[1,1] op_sel_hi:[1,0]
	s_nop 0
	v_pk_fma_f32 v[2:3], v[6:7], s[12:13], v[8:9] neg_lo:[0,0,1] neg_hi:[0,0,1]
	v_pk_fma_f32 v[6:7], v[6:7], s[12:13], v[8:9] op_sel_hi:[0,1,1]
	v_mov_b32_e32 v3, v7
.LBB37_5:
	flat_store_dwordx2 v[4:5], v[2:3]
.LBB37_6:
	s_or_b64 exec, exec, s[18:19]
	s_mov_b64 s[20:21], 0
.LBB37_7:
	s_andn2_b64 vcc, exec, s[20:21]
	s_cbranch_vccnz .LBB37_17
; %bb.8:
	v_cmp_gt_i32_e32 vcc, s8, v0
	s_and_saveexec_b64 s[4:5], vcc
	s_cbranch_execz .LBB37_17
; %bb.9:
	v_mov_b32_e32 v3, 0
	v_ashrrev_i32_e32 v1, 31, v0
	s_cmp_lt_i32 s2, 0
	v_mov_b32_e32 v2, v3
	s_cbranch_scc1 .LBB37_12
; %bb.10:
	s_load_dwordx2 s[4:5], s[0:1], 0x48
	s_load_dword s3, s[0:1], 0x58
	s_ashr_i32 s9, s8, 31
	s_mul_hi_u32 s0, s8, s16
	s_mul_i32 s1, s9, s16
	s_add_i32 s0, s0, s1
	s_mul_i32 s16, s8, s16
	s_waitcnt lgkmcnt(0)
	s_mul_i32 s0, s0, s3
	s_mul_hi_u32 s1, s16, s3
	s_add_i32 s1, s1, s0
	s_mul_i32 s0, s16, s3
	s_lshl_b64 s[0:1], s[0:1], 3
	s_add_u32 s0, s4, s0
	s_addc_u32 s1, s5, s1
	v_mov_b32_e32 v2, 0
	v_lshl_add_u64 v[4:5], v[0:1], 3, s[0:1]
	s_add_i32 s2, s2, 1
	s_lshl_b64 s[0:1], s[8:9], 3
	v_mov_b32_e32 v3, v2
.LBB37_11:                              ; =>This Inner Loop Header: Depth=1
	global_load_dwordx2 v[6:7], v[4:5], off
	s_add_i32 s2, s2, -1
	v_lshl_add_u64 v[4:5], v[4:5], 0, s[0:1]
	s_cmp_eq_u32 s2, 0
	s_waitcnt vmcnt(0)
	v_pk_add_f32 v[2:3], v[2:3], v[6:7]
	s_cbranch_scc0 .LBB37_11
.LBB37_12:
	v_cmp_neq_f32_e64 s[0:1], s12, 0
	v_cmp_neq_f32_e64 s[2:3], s13, 0
	s_or_b64 s[0:1], s[0:1], s[2:3]
	v_pk_mul_f32 v[8:9], v[2:3], s[14:15] op_sel:[1,1] op_sel_hi:[1,0]
	s_andn2_b64 vcc, exec, s[0:1]
	v_pk_fma_f32 v[4:5], v[2:3], s[14:15], v[8:9] op_sel_hi:[0,1,1]
	v_mul_lo_u32 v10, s7, v0
	v_mul_lo_u32 v1, s6, v1
	s_cbranch_vccz .LBB37_14
; %bb.13:
	v_pk_mul_f32 v[12:13], v[2:3], s[14:15]
	v_mad_u64_u32 v[6:7], s[0:1], s6, v0, 0
	v_add3_u32 v7, v7, v1, v10
	v_sub_f32_e32 v4, v12, v8
	s_cbranch_execz .LBB37_15
	s_branch .LBB37_16
.LBB37_14:
                                        ; implicit-def: $vgpr6_vgpr7
.LBB37_15:
	v_mad_u64_u32 v[6:7], s[0:1], s6, v0, 0
	v_add3_u32 v7, v7, v1, v10
	v_lshl_add_u64 v[0:1], v[6:7], 3, s[10:11]
	flat_load_dwordx2 v[0:1], v[0:1]
	v_pk_fma_f32 v[2:3], v[2:3], s[14:15], v[8:9] neg_lo:[0,0,1] neg_hi:[0,0,1]
	s_waitcnt vmcnt(0) lgkmcnt(0)
	v_pk_mul_f32 v[8:9], v[0:1], s[12:13] op_sel:[1,1] op_sel_hi:[1,0]
	s_nop 0
	v_pk_fma_f32 v[10:11], v[0:1], s[12:13], v[8:9] neg_lo:[0,0,1] neg_hi:[0,0,1]
	v_pk_fma_f32 v[0:1], v[0:1], s[12:13], v[8:9] op_sel_hi:[0,1,1]
	v_mov_b32_e32 v11, v1
	v_mov_b32_e32 v3, v5
	v_pk_add_f32 v[4:5], v[2:3], v[10:11]
.LBB37_16:
	v_lshl_add_u64 v[0:1], v[6:7], 3, s[10:11]
	flat_store_dwordx2 v[0:1], v[4:5]
.LBB37_17:
	s_endpgm
	.section	.rodata,"a",@progbits
	.p2align	6, 0x0
	.amdhsa_kernel _ZL36rocblas_hemvn_kernel_upper_block_sumILi64El19rocblas_complex_numIfEPKPS1_S1_EviT1_lS5_lT2_lT0_lPT3_i
		.amdhsa_group_segment_fixed_size 0
		.amdhsa_private_segment_fixed_size 0
		.amdhsa_kernarg_size 344
		.amdhsa_user_sgpr_count 2
		.amdhsa_user_sgpr_dispatch_ptr 0
		.amdhsa_user_sgpr_queue_ptr 0
		.amdhsa_user_sgpr_kernarg_segment_ptr 1
		.amdhsa_user_sgpr_dispatch_id 0
		.amdhsa_user_sgpr_kernarg_preload_length 0
		.amdhsa_user_sgpr_kernarg_preload_offset 0
		.amdhsa_user_sgpr_private_segment_size 0
		.amdhsa_uses_dynamic_stack 0
		.amdhsa_enable_private_segment 0
		.amdhsa_system_sgpr_workgroup_id_x 1
		.amdhsa_system_sgpr_workgroup_id_y 0
		.amdhsa_system_sgpr_workgroup_id_z 1
		.amdhsa_system_sgpr_workgroup_info 0
		.amdhsa_system_vgpr_workitem_id 0
		.amdhsa_next_free_vgpr 14
		.amdhsa_next_free_sgpr 24
		.amdhsa_accum_offset 16
		.amdhsa_reserve_vcc 1
		.amdhsa_float_round_mode_32 0
		.amdhsa_float_round_mode_16_64 0
		.amdhsa_float_denorm_mode_32 3
		.amdhsa_float_denorm_mode_16_64 3
		.amdhsa_dx10_clamp 1
		.amdhsa_ieee_mode 1
		.amdhsa_fp16_overflow 0
		.amdhsa_tg_split 0
		.amdhsa_exception_fp_ieee_invalid_op 0
		.amdhsa_exception_fp_denorm_src 0
		.amdhsa_exception_fp_ieee_div_zero 0
		.amdhsa_exception_fp_ieee_overflow 0
		.amdhsa_exception_fp_ieee_underflow 0
		.amdhsa_exception_fp_ieee_inexact 0
		.amdhsa_exception_int_div_zero 0
	.end_amdhsa_kernel
	.section	.text._ZL36rocblas_hemvn_kernel_upper_block_sumILi64El19rocblas_complex_numIfEPKPS1_S1_EviT1_lS5_lT2_lT0_lPT3_i,"axG",@progbits,_ZL36rocblas_hemvn_kernel_upper_block_sumILi64El19rocblas_complex_numIfEPKPS1_S1_EviT1_lS5_lT2_lT0_lPT3_i,comdat
.Lfunc_end37:
	.size	_ZL36rocblas_hemvn_kernel_upper_block_sumILi64El19rocblas_complex_numIfEPKPS1_S1_EviT1_lS5_lT2_lT0_lPT3_i, .Lfunc_end37-_ZL36rocblas_hemvn_kernel_upper_block_sumILi64El19rocblas_complex_numIfEPKPS1_S1_EviT1_lS5_lT2_lT0_lPT3_i
                                        ; -- End function
	.set _ZL36rocblas_hemvn_kernel_upper_block_sumILi64El19rocblas_complex_numIfEPKPS1_S1_EviT1_lS5_lT2_lT0_lPT3_i.num_vgpr, 14
	.set _ZL36rocblas_hemvn_kernel_upper_block_sumILi64El19rocblas_complex_numIfEPKPS1_S1_EviT1_lS5_lT2_lT0_lPT3_i.num_agpr, 0
	.set _ZL36rocblas_hemvn_kernel_upper_block_sumILi64El19rocblas_complex_numIfEPKPS1_S1_EviT1_lS5_lT2_lT0_lPT3_i.numbered_sgpr, 24
	.set _ZL36rocblas_hemvn_kernel_upper_block_sumILi64El19rocblas_complex_numIfEPKPS1_S1_EviT1_lS5_lT2_lT0_lPT3_i.num_named_barrier, 0
	.set _ZL36rocblas_hemvn_kernel_upper_block_sumILi64El19rocblas_complex_numIfEPKPS1_S1_EviT1_lS5_lT2_lT0_lPT3_i.private_seg_size, 0
	.set _ZL36rocblas_hemvn_kernel_upper_block_sumILi64El19rocblas_complex_numIfEPKPS1_S1_EviT1_lS5_lT2_lT0_lPT3_i.uses_vcc, 1
	.set _ZL36rocblas_hemvn_kernel_upper_block_sumILi64El19rocblas_complex_numIfEPKPS1_S1_EviT1_lS5_lT2_lT0_lPT3_i.uses_flat_scratch, 0
	.set _ZL36rocblas_hemvn_kernel_upper_block_sumILi64El19rocblas_complex_numIfEPKPS1_S1_EviT1_lS5_lT2_lT0_lPT3_i.has_dyn_sized_stack, 0
	.set _ZL36rocblas_hemvn_kernel_upper_block_sumILi64El19rocblas_complex_numIfEPKPS1_S1_EviT1_lS5_lT2_lT0_lPT3_i.has_recursion, 0
	.set _ZL36rocblas_hemvn_kernel_upper_block_sumILi64El19rocblas_complex_numIfEPKPS1_S1_EviT1_lS5_lT2_lT0_lPT3_i.has_indirect_call, 0
	.section	.AMDGPU.csdata,"",@progbits
; Kernel info:
; codeLenInByte = 692
; TotalNumSgprs: 30
; NumVgprs: 14
; NumAgprs: 0
; TotalNumVgprs: 14
; ScratchSize: 0
; MemoryBound: 0
; FloatMode: 240
; IeeeMode: 1
; LDSByteSize: 0 bytes/workgroup (compile time only)
; SGPRBlocks: 3
; VGPRBlocks: 1
; NumSGPRsForWavesPerEU: 30
; NumVGPRsForWavesPerEU: 14
; AccumOffset: 16
; Occupancy: 8
; WaveLimiterHint : 1
; COMPUTE_PGM_RSRC2:SCRATCH_EN: 0
; COMPUTE_PGM_RSRC2:USER_SGPR: 2
; COMPUTE_PGM_RSRC2:TRAP_HANDLER: 0
; COMPUTE_PGM_RSRC2:TGID_X_EN: 1
; COMPUTE_PGM_RSRC2:TGID_Y_EN: 0
; COMPUTE_PGM_RSRC2:TGID_Z_EN: 1
; COMPUTE_PGM_RSRC2:TIDIG_COMP_CNT: 0
; COMPUTE_PGM_RSRC3_GFX90A:ACCUM_OFFSET: 3
; COMPUTE_PGM_RSRC3_GFX90A:TG_SPLIT: 0
	.section	.text._ZL26rocblas_hemvn_kernel_upperILb1ELi64ELi4ELi33ELi32ELi16Ei19rocblas_complex_numIfEPKPKS1_PS1_EviT6_lT7_lT5_lS8_lS9_lS7_lT8_i,"axG",@progbits,_ZL26rocblas_hemvn_kernel_upperILb1ELi64ELi4ELi33ELi32ELi16Ei19rocblas_complex_numIfEPKPKS1_PS1_EviT6_lT7_lT5_lS8_lS9_lS7_lT8_i,comdat
	.globl	_ZL26rocblas_hemvn_kernel_upperILb1ELi64ELi4ELi33ELi32ELi16Ei19rocblas_complex_numIfEPKPKS1_PS1_EviT6_lT7_lT5_lS8_lS9_lS7_lT8_i ; -- Begin function _ZL26rocblas_hemvn_kernel_upperILb1ELi64ELi4ELi33ELi32ELi16Ei19rocblas_complex_numIfEPKPKS1_PS1_EviT6_lT7_lT5_lS8_lS9_lS7_lT8_i
	.p2align	8
	.type	_ZL26rocblas_hemvn_kernel_upperILb1ELi64ELi4ELi33ELi32ELi16Ei19rocblas_complex_numIfEPKPKS1_PS1_EviT6_lT7_lT5_lS8_lS9_lS7_lT8_i,@function
_ZL26rocblas_hemvn_kernel_upperILb1ELi64ELi4ELi33ELi32ELi16Ei19rocblas_complex_numIfEPKPKS1_PS1_EviT6_lT7_lT5_lS8_lS9_lS7_lT8_i: ; @_ZL26rocblas_hemvn_kernel_upperILb1ELi64ELi4ELi33ELi32ELi16Ei19rocblas_complex_numIfEPKPKS1_PS1_EviT6_lT7_lT5_lS8_lS9_lS7_lT8_i
; %bb.0:
	s_load_dwordx2 s[4:5], s[0:1], 0x84
	s_add_u32 s8, s0, 0x78
	s_mov_b32 s24, s3
	s_addc_u32 s9, s1, 0
	s_waitcnt lgkmcnt(0)
	s_and_b32 s3, s5, 0xffff
	s_lshr_b32 s5, s4, 16
	s_and_b32 s4, s4, 0xffff
	s_mul_i32 s4, s5, s4
	s_mul_i32 s4, s4, s3
	s_cmpk_lg_i32 s4, 0x100
	s_cbranch_scc1 .LBB38_195
; %bb.1:
	s_load_dwordx2 s[4:5], s[0:1], 0x4
	s_waitcnt lgkmcnt(0)
	s_or_b32 s3, s4, s5
	s_bitset0_b32 s3, 31
	s_cmp_lg_u32 s3, 0
	s_mov_b64 s[4:5], -1
	s_cbranch_scc1 .LBB38_3
; %bb.2:
	s_load_dwordx2 s[4:5], s[0:1], 0x58
	s_waitcnt lgkmcnt(0)
	v_cmp_eq_f32_e64 s[6:7], s4, 1.0
	v_cmp_eq_f32_e64 s[4:5], s5, 0
	s_and_b64 s[4:5], s[6:7], s[4:5]
	s_andn2_b64 vcc, exec, s[4:5]
	s_mov_b64 s[4:5], 0
.LBB38_3:
	s_andn2_b64 vcc, exec, s[4:5]
	s_cbranch_vccnz .LBB38_195
; %bb.4:
	s_load_dwordx4 s[4:7], s[0:1], 0x18
	s_load_dwordx4 s[12:15], s[0:1], 0x38
	s_load_dword s33, s[0:1], 0x48
	s_mov_b32 s25, 0
	s_lshl_b64 s[10:11], s[24:25], 3
	s_waitcnt lgkmcnt(0)
	s_add_u32 s16, s4, s10
	s_addc_u32 s17, s5, s11
	s_add_u32 s10, s12, s10
	s_addc_u32 s11, s13, s11
	s_load_dwordx2 s[12:13], s[10:11], 0x0
	s_load_dword s36, s[0:1], 0x0
	s_load_dword s3, s[8:9], 0x0
	s_load_dwordx2 s[4:5], s[16:17], 0x0
	s_lshl_b64 s[8:9], s[14:15], 3
	s_waitcnt lgkmcnt(0)
	s_add_u32 s8, s12, s8
	s_addc_u32 s9, s13, s9
	s_ashr_i32 s37, s36, 31
	s_lshr_b32 s11, s37, 26
	v_and_b32_e32 v50, 0x3ff, v0
	s_lshl_b32 s26, s2, 6
	s_add_i32 s11, s36, s11
	s_andn2_b32 s11, s11, 63
	v_add_u32_e32 v48, s26, v50
	v_bfe_u32 v49, v0, 10, 10
	s_add_i32 s10, s3, -1
	s_sub_i32 s25, s36, s11
	v_mul_lo_u32 v0, s33, v48
	s_cmp_eq_u32 s2, s10
	v_ashrrev_i32_e32 v1, 31, v0
	s_cselect_b32 s18, s25, 0
	v_lshl_add_u64 v[14:15], v[0:1], 3, s[8:9]
	v_cmp_eq_u32_e64 s[14:15], 0, v49
	s_and_saveexec_b64 s[8:9], s[14:15]
	s_cbranch_execz .LBB38_9
; %bb.5:
	s_cmp_lg_u32 s18, 0
	s_cselect_b64 s[10:11], -1, 0
	v_cmp_le_i32_e32 vcc, s18, v50
	v_mov_b32_e32 v0, 0x2380
	s_and_b64 s[10:11], s[10:11], vcc
	v_lshl_add_u32 v0, v50, 3, v0
	s_and_saveexec_b64 s[12:13], s[10:11]
	s_xor_b64 s[10:11], exec, s[12:13]
; %bb.6:
	v_mov_b32_e32 v2, 0
	v_mov_b32_e32 v3, v2
	ds_write_b64 v0, v[2:3]
                                        ; implicit-def: $vgpr0
; %bb.7:
	s_andn2_saveexec_b64 s[10:11], s[10:11]
	s_cbranch_execz .LBB38_9
; %bb.8:
	flat_load_dwordx2 v[2:3], v[14:15]
	s_waitcnt vmcnt(0) lgkmcnt(0)
	ds_write_b64 v0, v[2:3]
.LBB38_9:
	s_or_b64 exec, exec, s[8:9]
	s_lshl_b64 s[6:7], s[6:7], 3
	s_load_dword s22, s[0:1], 0x28
	s_add_u32 s6, s4, s6
	s_addc_u32 s7, s5, s7
	s_ashr_i32 s27, s26, 31
	v_lshl_add_u32 v22, v49, 6, v50
	s_lshl_b64 s[4:5], s[26:27], 3
	v_and_b32_e32 v2, 31, v50
	v_lshrrev_b32_e32 v10, 5, v22
	s_add_u32 s4, s6, s4
	s_addc_u32 s5, s7, s5
	s_waitcnt lgkmcnt(0)
	v_mad_u64_u32 v[12:13], s[6:7], s22, v10, v[2:3]
	v_ashrrev_i32_e32 v13, 31, v12
	v_lshl_add_u64 v[0:1], v[12:13], 3, s[4:5]
	s_mul_i32 s4, s22, s26
	s_ashr_i32 s5, s4, 31
	s_cmp_eq_u32 s18, 0
	s_cselect_b64 s[20:21], -1, 0
	s_cmp_lg_u32 s18, 0
	s_cselect_b64 s[28:29], -1, 0
	v_lshl_add_u64 v[6:7], s[4:5], 3, v[0:1]
	s_and_b64 vcc, exec, s[28:29]
	v_cmp_gt_i32_e64 s[4:5], s18, v2
	v_lshlrev_b32_e32 v0, 3, v2
	s_cbranch_vccz .LBB38_25
; %bb.10:
	v_sub_co_u32_e32 v4, vcc, v6, v0
	s_ashr_i32 s19, s18, 31
	s_nop 0
	v_subbrev_co_u32_e32 v5, vcc, 0, v7, vcc
	v_lshl_add_u64 v[4:5], s[18:19], 3, v[4:5]
	v_mov_b32_e32 v8, 0
	v_lshl_add_u64 v[4:5], v[4:5], 0, -8
	v_cndmask_b32_e64 v5, v5, v7, s[4:5]
	v_cndmask_b32_e64 v4, v4, v6, s[4:5]
	v_cmp_gt_i32_e32 vcc, s18, v10
	v_mov_b32_e32 v9, v8
	s_and_saveexec_b64 s[6:7], vcc
	s_cbranch_execz .LBB38_12
; %bb.11:
	flat_load_dwordx2 v[8:9], v[4:5]
.LBB38_12:
	s_or_b64 exec, exec, s[6:7]
	s_movk_i32 s6, 0x108
	v_mad_u32_u24 v3, v10, s6, v0
	v_mul_u32_u24_e32 v1, 0x108, v10
	s_waitcnt vmcnt(0) lgkmcnt(0)
	ds_write_b64 v3, v[8:9]
	v_add_u32_e32 v3, 8, v10
	v_cmp_le_i32_e32 vcc, s18, v3
	v_add_u32_e32 v1, v1, v0
	s_and_saveexec_b64 s[6:7], vcc
	s_xor_b64 s[6:7], exec, s[6:7]
; %bb.13:
	v_mov_b32_e32 v8, 0
	v_mov_b32_e32 v9, v8
	ds_write_b64 v1, v[8:9] offset:2112
; %bb.14:
	s_andn2_saveexec_b64 s[6:7], s[6:7]
	s_cbranch_execz .LBB38_16
; %bb.15:
	s_lshl_b32 s8, s22, 3
	s_ashr_i32 s9, s8, 31
	v_lshl_add_u64 v[8:9], s[8:9], 3, v[4:5]
	flat_load_dwordx2 v[8:9], v[8:9]
	s_waitcnt vmcnt(0) lgkmcnt(0)
	ds_write_b64 v1, v[8:9] offset:2112
.LBB38_16:
	s_or_b64 exec, exec, s[6:7]
	v_add_u32_e32 v3, 16, v10
	v_cmp_le_i32_e32 vcc, s18, v3
	s_and_saveexec_b64 s[6:7], vcc
	s_xor_b64 s[6:7], exec, s[6:7]
; %bb.17:
	v_mov_b32_e32 v8, 0
	v_mov_b32_e32 v9, v8
	ds_write_b64 v1, v[8:9] offset:4224
; %bb.18:
	s_andn2_saveexec_b64 s[6:7], s[6:7]
	s_cbranch_execz .LBB38_20
; %bb.19:
	s_lshl_b32 s8, s22, 4
	s_ashr_i32 s9, s8, 31
	v_lshl_add_u64 v[8:9], s[8:9], 3, v[4:5]
	flat_load_dwordx2 v[8:9], v[8:9]
	s_waitcnt vmcnt(0) lgkmcnt(0)
	ds_write_b64 v1, v[8:9] offset:4224
.LBB38_20:
	s_or_b64 exec, exec, s[6:7]
	v_add_u32_e32 v3, 24, v10
	v_cmp_le_i32_e32 vcc, s18, v3
	s_and_saveexec_b64 s[6:7], vcc
	s_xor_b64 s[6:7], exec, s[6:7]
; %bb.21:
	v_mov_b32_e32 v8, 0
	v_mov_b32_e32 v9, v8
	ds_write_b64 v1, v[8:9] offset:6336
                                        ; implicit-def: $vgpr1
; %bb.22:
	s_andn2_saveexec_b64 s[6:7], s[6:7]
	s_cbranch_execz .LBB38_24
; %bb.23:
	s_mul_i32 s8, s22, 24
	s_ashr_i32 s9, s8, 31
	v_lshl_add_u64 v[8:9], s[8:9], 3, v[4:5]
	flat_load_dwordx2 v[8:9], v[8:9]
	s_waitcnt vmcnt(0) lgkmcnt(0)
	ds_write_b64 v1, v[8:9] offset:6336
.LBB38_24:
	s_or_b64 exec, exec, s[6:7]
	v_mov_b32_e32 v1, 0
	v_lshl_add_u64 v[4:5], v[4:5], 0, v[0:1]
	s_lshl_b64 s[6:7], s[18:19], 3
	v_mov_b32_e32 v1, s7
	v_subrev_co_u32_e32 v4, vcc, s6, v4
	s_nop 1
	v_subb_co_u32_e32 v5, vcc, v5, v1, vcc
	v_lshl_add_u64 v[4:5], v[4:5], 0, 8
	v_cndmask_b32_e64 v5, v5, v7, s[4:5]
	v_cndmask_b32_e64 v4, v4, v6, s[4:5]
	s_branch .LBB38_27
.LBB38_25:
                                        ; implicit-def: $vgpr4_vgpr5
	s_cbranch_execz .LBB38_27
; %bb.26:
	s_lshl_b32 s4, s22, 3
	s_ashr_i32 s5, s4, 31
	s_ashr_i32 s23, s22, 31
	v_lshl_add_u64 v[4:5], s[4:5], 3, v[6:7]
	s_lshl_b64 s[4:5], s[22:23], 6
	v_lshl_add_u64 v[8:9], v[4:5], 0, s[4:5]
	v_lshl_add_u64 v[16:17], v[8:9], 0, s[4:5]
	flat_load_dwordx2 v[18:19], v[6:7]
	flat_load_dwordx2 v[20:21], v[4:5]
	;; [unrolled: 1-line block ×4, first 2 shown]
	v_mul_u32_u24_e32 v1, 0x108, v10
	v_lshl_add_u32 v1, v2, 3, v1
	v_mov_b64_e32 v[4:5], v[6:7]
	s_waitcnt vmcnt(0) lgkmcnt(0)
	ds_write_b64 v1, v[18:19]
	ds_write_b64 v1, v[20:21] offset:2112
	ds_write_b64 v1, v[24:25] offset:4224
	;; [unrolled: 1-line block ×3, first 2 shown]
.LBB38_27:
	v_lshlrev_b32_e32 v11, 2, v10
	v_mul_u32_u24_e32 v3, 0x108, v2
	v_cmp_le_u32_e64 s[6:7], v11, v2
	s_mov_b64 s[4:5], 0
	s_waitcnt lgkmcnt(0)
	s_barrier
                                        ; implicit-def: $vgpr6
	s_and_saveexec_b64 s[8:9], s[6:7]
	s_xor_b64 s[8:9], exec, s[8:9]
	s_cbranch_execz .LBB38_31
; %bb.28:
	v_cmp_eq_u32_e32 vcc, v11, v2
                                        ; implicit-def: $vgpr6
	s_and_saveexec_b64 s[10:11], vcc
	s_xor_b64 s[10:11], exec, s[10:11]
; %bb.29:
	s_mov_b64 s[4:5], exec
	v_add_u32_e32 v6, v0, v3
; %bb.30:
	s_or_b64 exec, exec, s[10:11]
	s_and_b64 s[4:5], s[4:5], exec
.LBB38_31:
	s_or_saveexec_b64 s[8:9], s[8:9]
	v_lshl_or_b32 v1, v2, 8, v0
	v_mov_b32_e32 v7, 0
	v_lshl_add_u32 v1, v11, 3, v1
	s_xor_b64 exec, exec, s[8:9]
	s_cbranch_execz .LBB38_33
; %bb.32:
	s_movk_i32 s10, 0x420
	v_mad_u32_u24 v6, v10, s10, v0
	ds_read_b64 v[6:7], v6
	s_or_b64 s[4:5], s[4:5], exec
	s_waitcnt lgkmcnt(0)
	v_xor_b32_e32 v7, 0x80000000, v7
	ds_write_b32 v1, v6
	v_mov_b32_e32 v6, v1
.LBB38_33:
	s_or_b64 exec, exec, s[8:9]
	s_and_saveexec_b64 s[8:9], s[4:5]
; %bb.34:
	ds_write_b32 v6, v7 offset:4
; %bb.35:
	s_or_b64 exec, exec, s[8:9]
	v_or_b32_e32 v16, 1, v11
	v_cmp_ge_u32_e64 s[8:9], v11, v2
	s_mov_b64 s[4:5], 0
                                        ; implicit-def: $vgpr7
                                        ; implicit-def: $vgpr6
	s_and_saveexec_b64 s[10:11], s[8:9]
	s_xor_b64 s[10:11], exec, s[10:11]
	s_cbranch_execz .LBB38_69
; %bb.36:
	s_movk_i32 s12, 0x108
	v_mad_u32_u24 v6, v16, s12, v0
	ds_read_b64 v[8:9], v6
	s_mov_b64 s[4:5], exec
	v_add_u32_e32 v6, 8, v1
	s_waitcnt lgkmcnt(0)
	v_xor_b32_e32 v7, 0x80000000, v9
	ds_write_b32 v1, v8 offset:8
	s_andn2_saveexec_b64 s[10:11], s[10:11]
	s_cbranch_execnz .LBB38_70
.LBB38_37:
	s_or_b64 exec, exec, s[10:11]
	s_and_saveexec_b64 s[10:11], s[4:5]
.LBB38_38:
	ds_write_b32 v6, v7 offset:4
.LBB38_39:
	s_or_b64 exec, exec, s[10:11]
	v_or_b32_e32 v17, 2, v11
	v_cmp_le_u32_e64 s[10:11], v17, v2
	s_mov_b64 s[4:5], 0
                                        ; implicit-def: $vgpr6
	s_and_saveexec_b64 s[12:13], s[10:11]
	s_xor_b64 s[12:13], exec, s[12:13]
	s_cbranch_execz .LBB38_73
; %bb.40:
	v_cmp_eq_u32_e32 vcc, v17, v2
                                        ; implicit-def: $vgpr6
	s_and_saveexec_b64 s[16:17], vcc
; %bb.41:
	s_mov_b64 s[4:5], exec
	v_add_u32_e32 v6, v0, v3
; %bb.42:
	s_or_b64 exec, exec, s[16:17]
	s_and_b64 s[4:5], s[4:5], exec
	s_or_saveexec_b64 s[12:13], s[12:13]
	v_mov_b32_e32 v7, 0
	s_xor_b64 exec, exec, s[12:13]
	s_cbranch_execnz .LBB38_74
.LBB38_43:
	s_or_b64 exec, exec, s[12:13]
	s_and_saveexec_b64 s[12:13], s[4:5]
.LBB38_44:
	ds_write_b32 v6, v7 offset:4
.LBB38_45:
	s_or_b64 exec, exec, s[12:13]
	v_or_b32_e32 v18, 3, v11
	v_cmp_le_u32_e64 s[12:13], v18, v2
	s_mov_b64 s[4:5], 0
                                        ; implicit-def: $vgpr6
	s_and_saveexec_b64 s[16:17], s[12:13]
	s_xor_b64 s[16:17], exec, s[16:17]
	s_cbranch_execz .LBB38_75
; %bb.46:
	v_cmp_eq_u32_e32 vcc, v18, v2
                                        ; implicit-def: $vgpr6
	s_and_saveexec_b64 s[30:31], vcc
; %bb.47:
	s_mov_b64 s[4:5], exec
	v_add_u32_e32 v6, v0, v3
; %bb.48:
	s_or_b64 exec, exec, s[30:31]
	s_and_b64 s[4:5], s[4:5], exec
                                        ; implicit-def: $vgpr1
	s_or_saveexec_b64 s[16:17], s[16:17]
	v_mov_b32_e32 v7, 0
	s_xor_b64 exec, exec, s[16:17]
	s_cbranch_execnz .LBB38_76
.LBB38_49:
	s_or_b64 exec, exec, s[16:17]
	s_and_saveexec_b64 s[16:17], s[4:5]
.LBB38_50:
	ds_write_b32 v6, v7 offset:4
.LBB38_51:
	s_or_b64 exec, exec, s[16:17]
	s_movk_i32 s4, 0x420
	v_mad_u32_u24 v1, v10, s4, v0
	s_movk_i32 s4, 0x108
	v_mad_u32_u24 v25, v16, s4, v0
	s_waitcnt lgkmcnt(0)
	s_barrier
	v_lshlrev_b32_e32 v19, 3, v11
	ds_read2_b64 v[6:9], v25 offset1:33
	ds_read_b64 v[20:21], v1
	ds_read_b128 v[26:29], v19 offset:9088
	ds_read_b64 v[34:35], v25 offset:528
	ds_read_b128 v[30:33], v19 offset:9104
	v_mul_u32_u24_e32 v23, 33, v2
	v_lshlrev_b32_e32 v23, 3, v23
	v_mov_b32_e32 v52, 0
	s_waitcnt lgkmcnt(2)
	v_pk_mul_f32 v[36:37], v[26:27], v[20:21] op_sel:[1,1] op_sel_hi:[0,1]
	v_pk_fma_f32 v[38:39], v[26:27], v[20:21], v[36:37] neg_lo:[0,0,1] neg_hi:[0,0,1]
	v_pk_fma_f32 v[20:21], v[26:27], v[20:21], v[36:37] op_sel_hi:[1,0,1]
	v_pk_mul_f32 v[26:27], v[28:29], v[6:7] op_sel:[1,1] op_sel_hi:[0,1]
	v_mov_b32_e32 v39, v21
	v_pk_fma_f32 v[36:37], v[28:29], v[6:7], v[26:27] neg_lo:[0,0,1] neg_hi:[0,0,1]
	v_pk_fma_f32 v[6:7], v[28:29], v[6:7], v[26:27] op_sel_hi:[1,0,1]
	v_pk_add_f32 v[20:21], v[38:39], 0 op_sel_hi:[1,0]
	v_mov_b32_e32 v37, v7
	v_pk_add_f32 v[6:7], v[20:21], v[36:37]
	s_waitcnt lgkmcnt(0)
	v_pk_mul_f32 v[20:21], v[30:31], v[8:9] op_sel:[1,1] op_sel_hi:[0,1]
	v_pk_fma_f32 v[26:27], v[30:31], v[8:9], v[20:21] neg_lo:[0,0,1] neg_hi:[0,0,1]
	v_pk_fma_f32 v[8:9], v[30:31], v[8:9], v[20:21] op_sel_hi:[1,0,1]
	v_lshl_add_u32 v24, v10, 3, v23
	v_mov_b32_e32 v27, v9
	v_pk_mul_f32 v[8:9], v[32:33], v[34:35] op_sel:[1,1] op_sel_hi:[0,1]
	v_pk_fma_f32 v[20:21], v[32:33], v[34:35], v[8:9] neg_lo:[0,0,1] neg_hi:[0,0,1]
	v_pk_fma_f32 v[8:9], v[32:33], v[34:35], v[8:9] op_sel_hi:[1,0,1]
	v_pk_add_f32 v[6:7], v[6:7], v[26:27]
	v_mov_b32_e32 v21, v9
	v_mov_b32_e32 v53, v52
	v_pk_add_f32 v[6:7], v[6:7], v[20:21]
	v_cmp_gt_u32_e64 s[4:5], 32, v22
	s_barrier
	ds_write_b64 v24, v[6:7]
	s_waitcnt lgkmcnt(0)
	s_barrier
	s_and_saveexec_b64 s[16:17], s[4:5]
	s_cbranch_execz .LBB38_53
; %bb.52:
	ds_read2_b64 v[6:9], v23 offset1:7
	ds_read2_b64 v[26:29], v23 offset0:1 offset1:2
	ds_read2_b64 v[30:33], v23 offset0:3 offset1:4
	s_waitcnt lgkmcnt(1)
	v_add_f32_e32 v1, v26, v6
	v_add_f32_e32 v6, v27, v7
	;; [unrolled: 1-line block ×4, first 2 shown]
	ds_read2_b64 v[26:29], v23 offset0:5 offset1:6
	s_waitcnt lgkmcnt(1)
	v_add_f32_e32 v1, v1, v30
	v_add_f32_e32 v6, v6, v31
	;; [unrolled: 1-line block ×4, first 2 shown]
	s_waitcnt lgkmcnt(0)
	v_add_f32_e32 v1, v1, v26
	v_add_f32_e32 v7, v6, v27
	;; [unrolled: 1-line block ×4, first 2 shown]
	v_pk_add_f32 v[52:53], v[6:7], v[8:9]
.LBB38_53:
	s_or_b64 exec, exec, s[16:17]
	s_lshl_b32 s30, s22, 5
	s_ashr_i32 s31, s30, 31
	v_lshl_add_u64 v[8:9], s[30:31], 3, v[4:5]
	s_mov_b64 s[16:17], 0x100
	v_lshl_add_u64 v[6:7], v[8:9], 0, s[16:17]
	s_and_b64 vcc, exec, s[28:29]
	s_barrier
	s_cbranch_vccz .LBB38_77
; %bb.54:
	v_sub_co_u32_e32 v4, vcc, v8, v0
	s_ashr_i32 s19, s18, 31
	s_nop 0
	v_subbrev_co_u32_e32 v5, vcc, 0, v9, vcc
	v_or_b32_e32 v1, 32, v2
	v_lshl_add_u64 v[4:5], s[18:19], 3, v[4:5]
	v_mov_b32_e32 v20, 0
	v_lshl_add_u64 v[4:5], v[4:5], 0, -8
	v_cmp_gt_i32_e32 vcc, s18, v1
	s_sub_i32 s23, s18, 32
	v_cmp_gt_i32_e64 s[16:17], s23, v10
	v_cndmask_b32_e32 v5, v5, v7, vcc
	v_cndmask_b32_e32 v4, v4, v6, vcc
	v_mov_b32_e32 v21, v20
	s_and_saveexec_b64 s[34:35], s[16:17]
	s_cbranch_execz .LBB38_56
; %bb.55:
	flat_load_dwordx2 v[20:21], v[4:5]
.LBB38_56:
	s_or_b64 exec, exec, s[34:35]
	s_movk_i32 s16, 0x108
	v_mad_u32_u24 v25, v10, s16, v0
	v_mul_u32_u24_e32 v1, 0x108, v10
	s_waitcnt vmcnt(0) lgkmcnt(0)
	ds_write_b64 v25, v[20:21]
	v_add_u32_e32 v20, 8, v10
	v_cmp_le_i32_e64 s[16:17], s23, v20
	v_add_u32_e32 v1, v1, v0
	s_and_saveexec_b64 s[34:35], s[16:17]
	s_xor_b64 s[16:17], exec, s[34:35]
; %bb.57:
	v_mov_b32_e32 v20, 0
	v_mov_b32_e32 v21, v20
	ds_write_b64 v1, v[20:21] offset:2112
; %bb.58:
	s_andn2_saveexec_b64 s[16:17], s[16:17]
	s_cbranch_execz .LBB38_60
; %bb.59:
	s_lshl_b32 s34, s22, 3
	s_ashr_i32 s35, s34, 31
	v_lshl_add_u64 v[20:21], s[34:35], 3, v[4:5]
	flat_load_dwordx2 v[20:21], v[20:21]
	s_waitcnt vmcnt(0) lgkmcnt(0)
	ds_write_b64 v1, v[20:21] offset:2112
.LBB38_60:
	s_or_b64 exec, exec, s[16:17]
	v_add_u32_e32 v20, 16, v10
	v_cmp_le_i32_e64 s[16:17], s23, v20
	s_and_saveexec_b64 s[34:35], s[16:17]
	s_xor_b64 s[16:17], exec, s[34:35]
; %bb.61:
	v_mov_b32_e32 v20, 0
	v_mov_b32_e32 v21, v20
	ds_write_b64 v1, v[20:21] offset:4224
; %bb.62:
	s_andn2_saveexec_b64 s[16:17], s[16:17]
	s_cbranch_execz .LBB38_64
; %bb.63:
	s_lshl_b32 s34, s22, 4
	s_ashr_i32 s35, s34, 31
	v_lshl_add_u64 v[20:21], s[34:35], 3, v[4:5]
	flat_load_dwordx2 v[20:21], v[20:21]
	s_waitcnt vmcnt(0) lgkmcnt(0)
	ds_write_b64 v1, v[20:21] offset:4224
.LBB38_64:
	s_or_b64 exec, exec, s[16:17]
	v_add_u32_e32 v20, 24, v10
	v_cmp_le_i32_e64 s[16:17], s23, v20
	s_and_saveexec_b64 s[34:35], s[16:17]
	s_xor_b64 s[16:17], exec, s[34:35]
; %bb.65:
	v_mov_b32_e32 v20, 0
	v_mov_b32_e32 v21, v20
	ds_write_b64 v1, v[20:21] offset:6336
                                        ; implicit-def: $vgpr1
; %bb.66:
	s_andn2_saveexec_b64 s[16:17], s[16:17]
	s_cbranch_execz .LBB38_68
; %bb.67:
	s_mul_i32 s34, s22, 24
	s_ashr_i32 s35, s34, 31
	v_lshl_add_u64 v[20:21], s[34:35], 3, v[4:5]
	flat_load_dwordx2 v[20:21], v[20:21]
	s_waitcnt vmcnt(0) lgkmcnt(0)
	ds_write_b64 v1, v[20:21] offset:6336
.LBB38_68:
	s_or_b64 exec, exec, s[16:17]
	v_mov_b32_e32 v1, 0
	v_lshl_add_u64 v[4:5], v[4:5], 0, v[0:1]
	s_lshl_b64 s[16:17], s[18:19], 3
	v_mov_b32_e32 v1, s17
	v_subrev_co_u32_e64 v4, s[16:17], s16, v4
	s_nop 1
	v_subb_co_u32_e64 v5, s[16:17], v5, v1, s[16:17]
	s_mov_b64 s[16:17], 0x108
	s_nop 0
	v_lshl_add_u64 v[4:5], v[4:5], 0, s[16:17]
	v_cndmask_b32_e32 v5, v5, v7, vcc
	v_cndmask_b32_e32 v4, v4, v6, vcc
	s_branch .LBB38_79
.LBB38_69:
	s_andn2_saveexec_b64 s[10:11], s[10:11]
	s_cbranch_execz .LBB38_37
.LBB38_70:
	v_cmp_eq_u32_e32 vcc, v16, v2
	s_mov_b64 s[12:13], s[4:5]
                                        ; implicit-def: $vgpr6
	s_and_saveexec_b64 s[16:17], vcc
; %bb.71:
	v_add_u32_e32 v6, v0, v3
	s_or_b64 s[12:13], s[4:5], exec
; %bb.72:
	s_or_b64 exec, exec, s[16:17]
	s_andn2_b64 s[4:5], s[4:5], exec
	s_and_b64 s[12:13], s[12:13], exec
	v_mov_b32_e32 v7, 0
	s_or_b64 s[4:5], s[4:5], s[12:13]
	s_or_b64 exec, exec, s[10:11]
	s_and_saveexec_b64 s[10:11], s[4:5]
	s_cbranch_execnz .LBB38_38
	s_branch .LBB38_39
.LBB38_73:
	s_or_saveexec_b64 s[12:13], s[12:13]
	v_mov_b32_e32 v7, 0
	s_xor_b64 exec, exec, s[12:13]
	s_cbranch_execz .LBB38_43
.LBB38_74:
	s_movk_i32 s16, 0x108
	v_mad_u32_u24 v6, v17, s16, v0
	ds_read_b64 v[8:9], v6
	v_add_u32_e32 v6, 16, v1
	s_or_b64 s[4:5], s[4:5], exec
	s_waitcnt lgkmcnt(0)
	v_xor_b32_e32 v7, 0x80000000, v9
	ds_write_b32 v1, v8 offset:16
	s_or_b64 exec, exec, s[12:13]
	s_and_saveexec_b64 s[12:13], s[4:5]
	s_cbranch_execnz .LBB38_44
	s_branch .LBB38_45
.LBB38_75:
	s_or_saveexec_b64 s[16:17], s[16:17]
	v_mov_b32_e32 v7, 0
	s_xor_b64 exec, exec, s[16:17]
	s_cbranch_execz .LBB38_49
.LBB38_76:
	s_movk_i32 s19, 0x108
	v_mad_u32_u24 v6, v18, s19, v0
	ds_read_b64 v[8:9], v6
	v_add_u32_e32 v6, 24, v1
	s_or_b64 s[4:5], s[4:5], exec
	s_waitcnt lgkmcnt(0)
	v_xor_b32_e32 v7, 0x80000000, v9
	ds_write_b32 v1, v8 offset:24
	s_or_b64 exec, exec, s[16:17]
	s_and_saveexec_b64 s[16:17], s[4:5]
	s_cbranch_execnz .LBB38_50
	s_branch .LBB38_51
.LBB38_77:
                                        ; implicit-def: $vgpr4_vgpr5
	s_cbranch_execz .LBB38_79
; %bb.78:
	s_lshl_b32 s16, s22, 3
	s_ashr_i32 s17, s16, 31
	s_ashr_i32 s23, s22, 31
	v_lshl_add_u64 v[4:5], s[16:17], 3, v[8:9]
	s_lshl_b64 s[16:17], s[22:23], 6
	v_lshl_add_u64 v[20:21], v[4:5], 0, s[16:17]
	v_lshl_add_u64 v[26:27], v[20:21], 0, s[16:17]
	flat_load_dwordx2 v[28:29], v[8:9] offset:256
	flat_load_dwordx2 v[30:31], v[4:5] offset:256
	;; [unrolled: 1-line block ×4, first 2 shown]
	s_movk_i32 s16, 0x108
	v_mad_u32_u24 v1, v10, s16, v0
	v_mov_b64_e32 v[4:5], v[6:7]
	s_waitcnt vmcnt(0) lgkmcnt(0)
	ds_write_b64 v1, v[28:29]
	ds_write_b64 v1, v[30:31] offset:2112
	ds_write_b64 v1, v[32:33] offset:4224
	;; [unrolled: 1-line block ×3, first 2 shown]
.LBB38_79:
	v_mul_u32_u24_e32 v1, 0x420, v10
	s_mov_b64 s[16:17], 0
	s_waitcnt lgkmcnt(0)
	s_barrier
                                        ; implicit-def: $vgpr7
	s_and_saveexec_b64 s[34:35], s[6:7]
	s_xor_b64 s[6:7], exec, s[34:35]
	s_cbranch_execz .LBB38_83
; %bb.80:
	v_cmp_eq_u32_e32 vcc, v11, v2
                                        ; implicit-def: $vgpr7
	s_and_saveexec_b64 s[34:35], vcc
	s_xor_b64 s[34:35], exec, s[34:35]
; %bb.81:
	s_mov_b64 s[16:17], exec
	v_add_u32_e32 v7, v0, v3
; %bb.82:
	s_or_b64 exec, exec, s[34:35]
	s_and_b64 s[16:17], s[16:17], exec
.LBB38_83:
	s_or_saveexec_b64 s[6:7], s[6:7]
	v_mov_b32_e32 v8, 0
	v_add_u32_e32 v6, v0, v1
	v_lshl_add_u32 v1, v11, 3, v23
	s_xor_b64 exec, exec, s[6:7]
	s_cbranch_execz .LBB38_85
; %bb.84:
	ds_read_b64 v[20:21], v6
	s_or_b64 s[16:17], s[16:17], exec
	v_mov_b32_e32 v7, v1
	s_waitcnt lgkmcnt(0)
	v_xor_b32_e32 v8, 0x80000000, v21
	ds_write_b32 v1, v20
.LBB38_85:
	s_or_b64 exec, exec, s[6:7]
	v_mul_u32_u24_e32 v9, 0x108, v16
	s_and_saveexec_b64 s[6:7], s[16:17]
; %bb.86:
	ds_write_b32 v7, v8 offset:4
; %bb.87:
	s_or_b64 exec, exec, s[6:7]
	s_mov_b64 s[6:7], 0
	v_add_u32_e32 v7, v0, v9
                                        ; implicit-def: $vgpr9
                                        ; implicit-def: $vgpr8
	s_and_saveexec_b64 s[16:17], s[8:9]
	s_xor_b64 s[8:9], exec, s[16:17]
	s_cbranch_execz .LBB38_121
; %bb.88:
	ds_read_b64 v[20:21], v7
	s_mov_b64 s[6:7], exec
	v_add_u32_e32 v8, 8, v1
                                        ; implicit-def: $vgpr16
	s_waitcnt lgkmcnt(0)
	v_xor_b32_e32 v9, 0x80000000, v21
	ds_write_b32 v1, v20 offset:8
	s_andn2_saveexec_b64 s[8:9], s[8:9]
	s_cbranch_execnz .LBB38_122
.LBB38_89:
	s_or_b64 exec, exec, s[8:9]
	s_and_saveexec_b64 s[8:9], s[6:7]
.LBB38_90:
	ds_write_b32 v8, v9 offset:4
.LBB38_91:
	s_or_b64 exec, exec, s[8:9]
	s_mov_b64 s[6:7], 0
                                        ; implicit-def: $vgpr8
	s_and_saveexec_b64 s[8:9], s[10:11]
	s_xor_b64 s[8:9], exec, s[8:9]
	s_cbranch_execz .LBB38_125
; %bb.92:
	v_cmp_eq_u32_e32 vcc, v17, v2
                                        ; implicit-def: $vgpr8
	s_and_saveexec_b64 s[10:11], vcc
; %bb.93:
	s_mov_b64 s[6:7], exec
	v_add_u32_e32 v8, v0, v3
; %bb.94:
	s_or_b64 exec, exec, s[10:11]
	s_and_b64 s[6:7], s[6:7], exec
	s_or_saveexec_b64 s[8:9], s[8:9]
	v_mov_b32_e32 v9, 0
	s_xor_b64 exec, exec, s[8:9]
	s_cbranch_execnz .LBB38_126
.LBB38_95:
	s_or_b64 exec, exec, s[8:9]
	s_and_saveexec_b64 s[8:9], s[6:7]
.LBB38_96:
	ds_write_b32 v8, v9 offset:4
.LBB38_97:
	s_or_b64 exec, exec, s[8:9]
	s_mov_b64 s[6:7], 0
                                        ; implicit-def: $vgpr8
	s_and_saveexec_b64 s[8:9], s[12:13]
	s_xor_b64 s[8:9], exec, s[8:9]
	s_cbranch_execz .LBB38_127
; %bb.98:
	v_cmp_eq_u32_e32 vcc, v18, v2
                                        ; implicit-def: $vgpr8
	s_and_saveexec_b64 s[10:11], vcc
; %bb.99:
	s_mov_b64 s[6:7], exec
	v_add_u32_e32 v8, v0, v3
; %bb.100:
	s_or_b64 exec, exec, s[10:11]
	s_and_b64 s[6:7], s[6:7], exec
                                        ; implicit-def: $vgpr1
	s_or_saveexec_b64 s[8:9], s[8:9]
	v_mov_b32_e32 v3, 0
	s_xor_b64 exec, exec, s[8:9]
	s_cbranch_execnz .LBB38_128
.LBB38_101:
	s_or_b64 exec, exec, s[8:9]
	v_add_u32_e32 v25, 0x2380, v19
	s_and_saveexec_b64 s[8:9], s[6:7]
.LBB38_102:
	ds_write_b32 v8, v3 offset:4
.LBB38_103:
	s_or_b64 exec, exec, s[8:9]
	s_waitcnt lgkmcnt(0)
	s_barrier
	ds_read_b64 v[8:9], v6
	ds_read_b128 v[16:19], v25 offset:256
	ds_read2_b64 v[26:29], v7 offset1:33
	ds_read_b64 v[20:21], v7 offset:528
	ds_read_b128 v[30:33], v25 offset:272
	v_cmp_eq_u32_e64 s[6:7], 1, v10
	s_waitcnt lgkmcnt(3)
	v_pk_mul_f32 v[34:35], v[16:17], v[8:9] op_sel:[1,1] op_sel_hi:[0,1]
	v_pk_fma_f32 v[36:37], v[16:17], v[8:9], v[34:35] neg_lo:[0,0,1] neg_hi:[0,0,1]
	v_pk_fma_f32 v[8:9], v[16:17], v[8:9], v[34:35] op_sel_hi:[1,0,1]
	s_waitcnt lgkmcnt(2)
	v_pk_mul_f32 v[16:17], v[18:19], v[26:27] op_sel:[1,1] op_sel_hi:[0,1]
	v_pk_fma_f32 v[34:35], v[18:19], v[26:27], v[16:17] neg_lo:[0,0,1] neg_hi:[0,0,1]
	v_pk_fma_f32 v[16:17], v[18:19], v[26:27], v[16:17] op_sel_hi:[1,0,1]
	v_mov_b32_e32 v37, v9
	v_mov_b32_e32 v35, v17
	s_waitcnt lgkmcnt(0)
	v_pk_mul_f32 v[16:17], v[30:31], v[28:29] op_sel:[1,1] op_sel_hi:[0,1]
	v_pk_add_f32 v[8:9], v[36:37], 0 op_sel_hi:[1,0]
	v_pk_fma_f32 v[18:19], v[30:31], v[28:29], v[16:17] neg_lo:[0,0,1] neg_hi:[0,0,1]
	v_pk_fma_f32 v[16:17], v[30:31], v[28:29], v[16:17] op_sel_hi:[1,0,1]
	v_pk_add_f32 v[8:9], v[8:9], v[34:35]
	v_mov_b32_e32 v19, v17
	v_pk_mul_f32 v[16:17], v[32:33], v[20:21] op_sel:[1,1] op_sel_hi:[0,1]
	v_pk_add_f32 v[8:9], v[8:9], v[18:19]
	v_pk_fma_f32 v[18:19], v[32:33], v[20:21], v[16:17] neg_lo:[0,0,1] neg_hi:[0,0,1]
	v_pk_fma_f32 v[16:17], v[32:33], v[20:21], v[16:17] op_sel_hi:[1,0,1]
	s_nop 0
	v_mov_b32_e32 v19, v17
	v_pk_add_f32 v[8:9], v[8:9], v[18:19]
	s_barrier
	ds_write_b64 v24, v[8:9]
	s_waitcnt lgkmcnt(0)
	s_barrier
	s_and_saveexec_b64 s[8:9], s[6:7]
	s_cbranch_execz .LBB38_105
; %bb.104:
	ds_read2_b64 v[16:19], v23 offset1:7
	ds_read2_b64 v[26:29], v23 offset0:1 offset1:2
	ds_read2_b64 v[30:33], v23 offset0:3 offset1:4
	s_waitcnt lgkmcnt(1)
	v_add_f32_e32 v1, v26, v16
	v_add_f32_e32 v3, v27, v17
	;; [unrolled: 1-line block ×4, first 2 shown]
	ds_read2_b64 v[26:29], v23 offset0:5 offset1:6
	s_waitcnt lgkmcnt(1)
	v_add_f32_e32 v1, v1, v30
	v_add_f32_e32 v3, v3, v31
	;; [unrolled: 1-line block ×4, first 2 shown]
	s_waitcnt lgkmcnt(0)
	v_add_f32_e32 v8, v1, v26
	v_add_f32_e32 v9, v3, v27
	v_pk_add_f32 v[8:9], v[8:9], v[28:29]
	s_nop 0
	v_pk_add_f32 v[52:53], v[8:9], v[18:19]
.LBB38_105:
	s_or_b64 exec, exec, s[8:9]
	s_movk_i32 s8, 0xff00
	s_mov_b32 s9, -1
	v_lshl_add_u64 v[4:5], v[4:5], 0, s[8:9]
	s_and_b64 vcc, exec, s[28:29]
	s_barrier
	s_cbranch_vccz .LBB38_129
; %bb.106:
	v_sub_co_u32_e32 v16, vcc, v4, v0
	s_ashr_i32 s19, s18, 31
	s_nop 0
	v_subbrev_co_u32_e32 v17, vcc, 0, v5, vcc
	v_lshl_add_u64 v[16:17], s[18:19], 3, v[16:17]
	v_mov_b32_e32 v8, 0
	v_lshl_add_u64 v[16:17], v[16:17], 0, -8
	v_cmp_gt_i32_e32 vcc, s18, v2
	s_sub_i32 s12, s18, 32
	v_cmp_gt_i32_e64 s[8:9], s12, v10
	v_cndmask_b32_e32 v3, v17, v5, vcc
	v_cndmask_b32_e32 v2, v16, v4, vcc
	v_mov_b32_e32 v9, v8
	s_and_saveexec_b64 s[10:11], s[8:9]
	s_cbranch_execz .LBB38_108
; %bb.107:
	flat_load_dwordx2 v[8:9], v[2:3]
.LBB38_108:
	s_or_b64 exec, exec, s[10:11]
	s_movk_i32 s8, 0x108
	v_mad_u32_u24 v11, v10, s8, v0
	v_mul_u32_u24_e32 v1, 0x108, v10
	s_waitcnt vmcnt(0) lgkmcnt(0)
	ds_write_b64 v11, v[8:9]
	v_add_u32_e32 v8, 8, v10
	v_cmp_le_i32_e64 s[8:9], s12, v8
	v_add_u32_e32 v1, v1, v0
	s_and_saveexec_b64 s[10:11], s[8:9]
	s_xor_b64 s[8:9], exec, s[10:11]
; %bb.109:
	v_mov_b32_e32 v16, 0
	v_mov_b32_e32 v17, v16
	ds_write_b64 v1, v[16:17] offset:2112
; %bb.110:
	s_andn2_saveexec_b64 s[8:9], s[8:9]
	s_cbranch_execz .LBB38_112
; %bb.111:
	s_lshl_b32 s10, s22, 3
	s_ashr_i32 s11, s10, 31
	v_lshl_add_u64 v[16:17], s[10:11], 3, v[2:3]
	flat_load_dwordx2 v[16:17], v[16:17]
	s_waitcnt vmcnt(0) lgkmcnt(0)
	ds_write_b64 v1, v[16:17] offset:2112
.LBB38_112:
	s_or_b64 exec, exec, s[8:9]
	v_add_u32_e32 v9, 16, v10
	v_cmp_le_i32_e64 s[8:9], s12, v9
	s_and_saveexec_b64 s[10:11], s[8:9]
	s_xor_b64 s[8:9], exec, s[10:11]
; %bb.113:
	v_mov_b32_e32 v16, 0
	v_mov_b32_e32 v17, v16
	ds_write_b64 v1, v[16:17] offset:4224
; %bb.114:
	s_andn2_saveexec_b64 s[8:9], s[8:9]
	s_cbranch_execz .LBB38_116
; %bb.115:
	s_lshl_b32 s10, s22, 4
	s_ashr_i32 s11, s10, 31
	v_lshl_add_u64 v[16:17], s[10:11], 3, v[2:3]
	flat_load_dwordx2 v[16:17], v[16:17]
	s_waitcnt vmcnt(0) lgkmcnt(0)
	ds_write_b64 v1, v[16:17] offset:4224
.LBB38_116:
	s_or_b64 exec, exec, s[8:9]
	v_add_u32_e32 v11, 24, v10
	v_cmp_le_i32_e64 s[8:9], s12, v11
	s_and_saveexec_b64 s[10:11], s[8:9]
	s_xor_b64 s[8:9], exec, s[10:11]
; %bb.117:
	v_mov_b32_e32 v16, 0
	v_mov_b32_e32 v17, v16
	ds_write_b64 v1, v[16:17] offset:6336
                                        ; implicit-def: $vgpr1
; %bb.118:
	s_andn2_saveexec_b64 s[8:9], s[8:9]
	s_cbranch_execz .LBB38_120
; %bb.119:
	s_mul_i32 s10, s22, 24
	s_ashr_i32 s11, s10, 31
	v_lshl_add_u64 v[16:17], s[10:11], 3, v[2:3]
	flat_load_dwordx2 v[16:17], v[16:17]
	s_waitcnt vmcnt(0) lgkmcnt(0)
	ds_write_b64 v1, v[16:17] offset:6336
.LBB38_120:
	s_or_b64 exec, exec, s[8:9]
	v_mov_b32_e32 v1, 0
	v_lshl_add_u64 v[2:3], v[2:3], 0, v[0:1]
	s_lshl_b64 s[8:9], s[18:19], 3
	v_mov_b32_e32 v1, s9
	v_subrev_co_u32_e64 v2, s[8:9], s8, v2
	s_nop 1
	v_subb_co_u32_e64 v3, s[8:9], v3, v1, s[8:9]
	v_lshl_add_u64 v[2:3], v[2:3], 0, 8
	v_cndmask_b32_e32 v17, v3, v5, vcc
	v_cndmask_b32_e32 v16, v2, v4, vcc
	s_branch .LBB38_131
.LBB38_121:
	s_andn2_saveexec_b64 s[8:9], s[8:9]
	s_cbranch_execz .LBB38_89
.LBB38_122:
	v_cmp_eq_u32_e32 vcc, v16, v2
	s_mov_b64 s[16:17], s[6:7]
                                        ; implicit-def: $vgpr8
	s_and_saveexec_b64 s[34:35], vcc
; %bb.123:
	v_add_u32_e32 v8, v0, v3
	s_or_b64 s[16:17], s[6:7], exec
; %bb.124:
	s_or_b64 exec, exec, s[34:35]
	s_andn2_b64 s[6:7], s[6:7], exec
	s_and_b64 s[16:17], s[16:17], exec
	v_mov_b32_e32 v9, 0
	s_or_b64 s[6:7], s[6:7], s[16:17]
	s_or_b64 exec, exec, s[8:9]
	s_and_saveexec_b64 s[8:9], s[6:7]
	s_cbranch_execnz .LBB38_90
	s_branch .LBB38_91
.LBB38_125:
	s_or_saveexec_b64 s[8:9], s[8:9]
	v_mov_b32_e32 v9, 0
	s_xor_b64 exec, exec, s[8:9]
	s_cbranch_execz .LBB38_95
.LBB38_126:
	ds_read_b64 v[16:17], v7 offset:264
	v_add_u32_e32 v8, 16, v1
	s_or_b64 s[6:7], s[6:7], exec
	s_waitcnt lgkmcnt(0)
	v_xor_b32_e32 v9, 0x80000000, v17
	ds_write_b32 v1, v16 offset:16
	s_or_b64 exec, exec, s[8:9]
	s_and_saveexec_b64 s[8:9], s[6:7]
	s_cbranch_execnz .LBB38_96
	s_branch .LBB38_97
.LBB38_127:
	s_or_saveexec_b64 s[8:9], s[8:9]
	v_mov_b32_e32 v3, 0
	s_xor_b64 exec, exec, s[8:9]
	s_cbranch_execz .LBB38_101
.LBB38_128:
	ds_read_b64 v[16:17], v7 offset:528
	v_add_u32_e32 v8, 24, v1
	s_or_b64 s[6:7], s[6:7], exec
	s_waitcnt lgkmcnt(0)
	v_xor_b32_e32 v3, 0x80000000, v17
	ds_write_b32 v1, v16 offset:24
	s_or_b64 exec, exec, s[8:9]
	v_add_u32_e32 v25, 0x2380, v19
	s_and_saveexec_b64 s[8:9], s[6:7]
	s_cbranch_execnz .LBB38_102
	s_branch .LBB38_103
.LBB38_129:
                                        ; implicit-def: $vgpr16_vgpr17
                                        ; implicit-def: $vgpr8
                                        ; implicit-def: $vgpr9
                                        ; implicit-def: $vgpr11
	s_cbranch_execz .LBB38_131
; %bb.130:
	s_lshl_b32 s8, s22, 3
	s_ashr_i32 s9, s8, 31
	s_ashr_i32 s23, s22, 31
	v_lshl_add_u64 v[2:3], s[8:9], 3, v[4:5]
	s_lshl_b64 s[8:9], s[22:23], 6
	v_lshl_add_u64 v[8:9], v[2:3], 0, s[8:9]
	v_lshl_add_u64 v[16:17], v[8:9], 0, s[8:9]
	flat_load_dwordx2 v[18:19], v[4:5]
	flat_load_dwordx2 v[20:21], v[2:3]
	;; [unrolled: 1-line block ×4, first 2 shown]
	s_movk_i32 s8, 0x108
	v_add_u32_e32 v8, 8, v10
	v_add_u32_e32 v9, 16, v10
	;; [unrolled: 1-line block ×3, first 2 shown]
	v_mad_u32_u24 v0, v10, s8, v0
	v_mov_b64_e32 v[16:17], v[4:5]
	s_waitcnt vmcnt(0) lgkmcnt(0)
	ds_write_b64 v0, v[18:19]
	ds_write_b64 v0, v[20:21] offset:2112
	ds_write_b64 v0, v[26:27] offset:4224
	;; [unrolled: 1-line block ×3, first 2 shown]
.LBB38_131:
	v_lshlrev_b32_e32 v4, 3, v10
	v_lshlrev_b32_e32 v8, 3, v8
	;; [unrolled: 1-line block ×4, first 2 shown]
	v_add_u32_e32 v5, v23, v4
	v_add_u32_e32 v10, v23, v8
	;; [unrolled: 1-line block ×4, first 2 shown]
	s_waitcnt lgkmcnt(0)
	s_barrier
	ds_read2_b64 v[0:3], v7 offset1:33
	ds_read_b64 v[20:21], v6
	ds_read_b64 v[18:19], v7 offset:528
	ds_read_b64 v[26:27], v5
	ds_read_b64 v[28:29], v10
	ds_read_b64 v[30:31], v8 offset:9088
	ds_read_b64 v[32:33], v4 offset:9088
	ds_read_b64 v[34:35], v34
	ds_read_b64 v[36:37], v36
	ds_read_b64 v[38:39], v11 offset:9088
	ds_read_b64 v[40:41], v9 offset:9088
	ds_read_b128 v[8:11], v25 offset:256
	ds_read_b128 v[4:7], v25 offset:272
	s_waitcnt lgkmcnt(6)
	v_pk_mul_f32 v[42:43], v[26:27], v[32:33] op_sel:[1,1] op_sel_hi:[1,0]
	v_pk_mul_f32 v[44:45], v[28:29], v[30:31] op_sel:[1,1] op_sel_hi:[1,0]
	v_pk_fma_f32 v[56:57], v[26:27], v[32:33], v[42:43]
	v_pk_fma_f32 v[26:27], v[26:27], v[32:33], v[42:43] op_sel_hi:[0,1,1] neg_lo:[0,0,1] neg_hi:[0,0,1]
	s_waitcnt lgkmcnt(2)
	v_pk_mul_f32 v[46:47], v[34:35], v[40:41] op_sel:[1,1] op_sel_hi:[1,0]
	v_mov_b32_e32 v57, v27
	v_pk_fma_f32 v[32:33], v[28:29], v[30:31], v[44:45]
	v_pk_fma_f32 v[28:29], v[28:29], v[30:31], v[44:45] op_sel_hi:[0,1,1] neg_lo:[0,0,1] neg_hi:[0,0,1]
	v_pk_add_f32 v[26:27], v[56:57], 0 op_sel_hi:[1,0]
	v_mov_b32_e32 v33, v29
	v_pk_fma_f32 v[28:29], v[34:35], v[40:41], v[46:47]
	v_pk_fma_f32 v[30:31], v[34:35], v[40:41], v[46:47] op_sel_hi:[0,1,1] neg_lo:[0,0,1] neg_hi:[0,0,1]
	v_pk_mul_f32 v[54:55], v[36:37], v[38:39] op_sel:[1,1] op_sel_hi:[1,0]
	v_pk_add_f32 v[26:27], v[26:27], v[32:33]
	v_mov_b32_e32 v29, v31
	v_pk_add_f32 v[26:27], v[26:27], v[28:29]
	v_pk_fma_f32 v[28:29], v[36:37], v[38:39], v[54:55]
	v_pk_fma_f32 v[30:31], v[36:37], v[38:39], v[54:55] op_sel_hi:[0,1,1] neg_lo:[0,0,1] neg_hi:[0,0,1]
	v_mov_b32_e32 v29, v31
	v_pk_add_f32 v[26:27], v[26:27], v[28:29]
	s_waitcnt lgkmcnt(0)
	s_barrier
	ds_write_b64 v24, v[26:27]
	s_waitcnt lgkmcnt(0)
	s_barrier
	s_and_saveexec_b64 s[8:9], s[6:7]
	s_cbranch_execz .LBB38_133
; %bb.132:
	ds_read2_b64 v[26:29], v23 offset1:1
	ds_read2_b64 v[30:33], v23 offset0:2 offset1:3
	ds_read2_b64 v[34:37], v23 offset0:4 offset1:5
	s_waitcnt lgkmcnt(2)
	v_pk_add_f32 v[26:27], v[52:53], v[26:27]
	s_nop 0
	v_pk_add_f32 v[38:39], v[26:27], v[28:29]
	ds_read2_b64 v[26:29], v23 offset0:6 offset1:7
	s_waitcnt lgkmcnt(2)
	v_pk_add_f32 v[30:31], v[38:39], v[30:31]
	s_nop 0
	v_pk_add_f32 v[30:31], v[30:31], v[32:33]
	s_waitcnt lgkmcnt(1)
	v_pk_add_f32 v[30:31], v[30:31], v[34:35]
	s_nop 0
	v_pk_add_f32 v[30:31], v[30:31], v[36:37]
	;; [unrolled: 4-line block ×3, first 2 shown]
.LBB38_133:
	s_or_b64 exec, exec, s[8:9]
	v_pk_mul_f32 v[26:27], v[8:9], v[20:21] op_sel:[1,1] op_sel_hi:[0,1]
	v_pk_fma_f32 v[28:29], v[8:9], v[20:21], v[26:27] neg_lo:[0,0,1] neg_hi:[0,0,1]
	v_pk_fma_f32 v[8:9], v[8:9], v[20:21], v[26:27] op_sel_hi:[1,0,1]
	v_pk_mul_f32 v[20:21], v[10:11], v[0:1] op_sel:[1,1] op_sel_hi:[0,1]
	v_mov_b32_e32 v29, v9
	v_pk_fma_f32 v[26:27], v[10:11], v[0:1], v[20:21] neg_lo:[0,0,1] neg_hi:[0,0,1]
	v_pk_fma_f32 v[0:1], v[10:11], v[0:1], v[20:21] op_sel_hi:[1,0,1]
	v_pk_add_f32 v[8:9], v[28:29], 0 op_sel_hi:[1,0]
	v_mov_b32_e32 v27, v1
	v_pk_add_f32 v[0:1], v[8:9], v[26:27]
	v_pk_mul_f32 v[8:9], v[4:5], v[2:3] op_sel:[1,1] op_sel_hi:[0,1]
	v_pk_fma_f32 v[10:11], v[4:5], v[2:3], v[8:9] neg_lo:[0,0,1] neg_hi:[0,0,1]
	v_pk_fma_f32 v[2:3], v[4:5], v[2:3], v[8:9] op_sel_hi:[1,0,1]
	s_nop 0
	v_mov_b32_e32 v11, v3
	v_pk_mul_f32 v[2:3], v[6:7], v[18:19] op_sel:[1,1] op_sel_hi:[0,1]
	v_pk_fma_f32 v[4:5], v[6:7], v[18:19], v[2:3] neg_lo:[0,0,1] neg_hi:[0,0,1]
	v_pk_fma_f32 v[2:3], v[6:7], v[18:19], v[2:3] op_sel_hi:[1,0,1]
	v_pk_add_f32 v[0:1], v[0:1], v[10:11]
	v_mov_b32_e32 v5, v3
	v_pk_add_f32 v[0:1], v[0:1], v[4:5]
	s_barrier
	ds_write_b64 v24, v[0:1]
	s_waitcnt lgkmcnt(0)
	s_barrier
	s_and_saveexec_b64 s[6:7], s[4:5]
	s_cbranch_execz .LBB38_135
; %bb.134:
	ds_read2_b64 v[0:3], v23 offset1:1
	ds_read2_b64 v[4:7], v23 offset0:2 offset1:3
	ds_read2_b64 v[8:11], v23 offset0:4 offset1:5
	s_waitcnt lgkmcnt(2)
	v_pk_add_f32 v[0:1], v[52:53], v[0:1]
	s_nop 0
	v_pk_add_f32 v[18:19], v[0:1], v[2:3]
	ds_read2_b64 v[0:3], v23 offset0:6 offset1:7
	s_waitcnt lgkmcnt(2)
	v_pk_add_f32 v[4:5], v[18:19], v[4:5]
	s_nop 0
	v_pk_add_f32 v[4:5], v[4:5], v[6:7]
	s_waitcnt lgkmcnt(1)
	v_pk_add_f32 v[4:5], v[4:5], v[8:9]
	s_nop 0
	v_pk_add_f32 v[4:5], v[4:5], v[10:11]
	;; [unrolled: 4-line block ×3, first 2 shown]
.LBB38_135:
	s_or_b64 exec, exec, s[6:7]
	s_load_dwordx2 s[0:1], s[0:1], 0x68
	s_mul_hi_u32 s4, s36, s24
	s_mul_i32 s37, s37, s24
	s_add_i32 s4, s4, s37
	s_mul_i32 s6, s36, s24
	s_mul_i32 s4, s4, s3
	s_mul_hi_u32 s5, s6, s3
	s_add_i32 s5, s5, s4
	s_mul_i32 s4, s6, s3
	s_lshl_b64 s[4:5], s[4:5], 3
	s_waitcnt lgkmcnt(0)
	s_add_u32 s4, s0, s4
	s_addc_u32 s5, s1, s5
	s_mul_hi_i32 s1, s36, s2
	s_mul_i32 s0, s36, s2
	s_lshl_b64 s[0:1], s[0:1], 3
	s_add_u32 s6, s4, s0
	s_addc_u32 s7, s5, s1
	s_add_i32 s8, s2, 1
	s_cmp_ge_u32 s8, s3
	v_lshlrev_b32_e32 v51, 3, v50
	s_barrier
	s_cbranch_scc1 .LBB38_193
; %bb.136:
	v_lshrrev_b32_e32 v2, 4, v22
	v_mov_b32_e32 v4, 0x2180
	s_mul_i32 s0, s33, s26
	v_lshl_add_u32 v136, v49, 5, v4
	v_lshlrev_b32_e32 v4, 5, v2
	v_mul_i32_i24_e32 v6, 0xffffffe8, v2
	v_and_b32_e32 v2, 48, v50
	s_ashr_i32 s1, s0, 31
	v_and_b32_e32 v3, 15, v50
	s_movk_i32 s10, 0x218
	s_lshl_b32 s4, s22, 4
	v_lshlrev_b32_e32 v2, 3, v2
	s_lshl_b64 s[0:1], s[0:1], 3
	s_lshl_b32 s24, s33, 6
	s_ashr_i32 s5, s4, 31
	v_mad_u32_u24 v139, v3, s10, v2
	v_or_b32_e32 v2, 0x78, v51
	s_ashr_i32 s23, s22, 31
	s_lshl_b32 s16, s22, 1
	s_mul_i32 s26, s22, 3
	s_mul_i32 s33, s33, s8
	v_lshlrev_b32_e32 v134, 2, v49
	v_mov_b32_e32 v0, s1
	v_subrev_co_u32_e32 v54, vcc, s0, v14
	s_add_i32 s19, s3, -2
	v_mad_u32_u24 v138, v3, s10, v4
	v_mad_u32_u24 v140, v3, s10, v2
	s_ashr_i32 s17, s16, 31
	s_ashr_i32 s27, s26, 31
	s_lshl_b64 s[12:13], s[22:23], 3
	s_lshl_b32 s8, s33, 6
	s_lshl_b64 s[28:29], s[30:31], 3
	s_lshl_b64 s[10:11], s[4:5], 5
	;; [unrolled: 1-line block ×3, first 2 shown]
	v_subb_co_u32_e32 v55, vcc, v15, v0, vcc
	v_mad_u64_u32 v[0:1], s[0:1], s22, v134, v[50:51]
	v_lshlrev_b64 v[2:3], 3, v[12:13]
	s_add_u32 s36, s34, s28
	v_ashrrev_i32_e32 v1, 31, v0
	v_sub_co_u32_e32 v56, vcc, 0, v2
	s_addc_u32 s37, s35, s29
	s_nop 0
	v_subb_co_u32_e32 v57, vcc, 0, v3, vcc
	v_lshlrev_b64 v[2:3], 3, v[0:1]
	s_add_u32 s38, s12, s28
	v_lshl_add_u64 v[4:5], s[28:29], 0, v[2:3]
	s_addc_u32 s39, s13, s29
	s_lshl_b64 s[16:17], s[16:17], 3
	v_lshl_add_u64 v[58:59], v[16:17], 0, v[4:5]
	v_lshl_add_u64 v[4:5], s[36:37], 0, v[2:3]
	s_add_u32 s40, s28, s16
	v_lshl_add_u64 v[60:61], v[16:17], 0, v[4:5]
	v_lshl_add_u64 v[4:5], s[38:39], 0, v[2:3]
	s_addc_u32 s41, s29, s17
	s_lshl_b64 s[26:27], s[26:27], 3
	v_lshl_add_u64 v[62:63], v[16:17], 0, v[4:5]
	v_lshl_add_u64 v[4:5], s[40:41], 0, v[2:3]
	s_add_u32 s40, s28, s26
	s_addc_u32 s41, s29, s27
	v_lshl_add_u64 v[64:65], v[16:17], 0, v[4:5]
	v_lshl_add_u64 v[4:5], s[40:41], 0, v[2:3]
	s_lshl_b64 s[40:41], s[4:5], 3
	s_add_u32 s42, s28, s40
	s_addc_u32 s43, s29, s41
	s_add_u32 s44, s36, s40
	s_addc_u32 s45, s37, s41
	v_lshl_add_u64 v[66:67], v[16:17], 0, v[4:5]
	v_lshl_add_u64 v[4:5], s[42:43], 0, v[2:3]
	s_add_u32 s38, s38, s40
	v_lshl_add_u64 v[68:69], v[16:17], 0, v[4:5]
	v_lshl_add_u64 v[4:5], s[44:45], 0, v[2:3]
	s_addc_u32 s39, s39, s41
	v_lshl_add_u64 v[70:71], v[16:17], 0, v[4:5]
	v_lshl_add_u64 v[4:5], s[38:39], 0, v[2:3]
	s_add_u32 s38, s42, s16
	s_addc_u32 s39, s43, s17
	v_lshl_add_u64 v[72:73], v[16:17], 0, v[4:5]
	v_lshl_add_u64 v[4:5], s[38:39], 0, v[2:3]
	s_add_u32 s38, s42, s26
	s_addc_u32 s39, s43, s27
	v_lshl_add_u64 v[74:75], v[16:17], 0, v[4:5]
	v_lshl_add_u64 v[4:5], s[38:39], 0, v[2:3]
	s_lshl_b64 s[38:39], s[4:5], 4
	s_add_u32 s28, s38, s28
	s_addc_u32 s29, s39, s29
	s_add_u32 s36, s36, s38
	v_lshl_add_u64 v[76:77], v[16:17], 0, v[4:5]
	v_lshl_add_u64 v[4:5], s[28:29], 0, v[2:3]
	s_addc_u32 s37, s37, s39
	v_lshl_add_u64 v[78:79], v[16:17], 0, v[4:5]
	v_lshl_add_u64 v[4:5], s[36:37], 0, v[2:3]
	s_add_u32 s36, s28, s12
	s_addc_u32 s37, s29, s13
	v_lshl_add_u64 v[80:81], v[16:17], 0, v[4:5]
	v_lshl_add_u64 v[4:5], s[36:37], 0, v[2:3]
	s_add_u32 s36, s28, s16
	s_addc_u32 s37, s29, s17
	s_add_u32 s28, s28, s26
	s_addc_u32 s29, s29, s27
	v_lshl_add_u64 v[0:1], s[30:31], 0, v[0:1]
	v_lshl_add_u64 v[82:83], v[16:17], 0, v[4:5]
	;; [unrolled: 1-line block ×4, first 2 shown]
	v_lshlrev_b64 v[0:1], 3, v[0:1]
	v_lshl_add_u64 v[86:87], v[16:17], 0, v[2:3]
	s_mulk_i32 s22, 0x180
	s_mul_hi_i32 s23, s4, 24
	v_mad_i64_i32 v[2:3], s[4:5], s4, 24, v[0:1]
	s_add_u32 s4, s22, s34
	s_addc_u32 s5, s23, s35
	v_lshl_add_u64 v[0:1], s[4:5], 0, v[0:1]
	v_lshl_add_u64 v[90:91], v[16:17], 0, v[0:1]
	;; [unrolled: 1-line block ×5, first 2 shown]
	s_movk_i32 s9, 0x860
	v_lshl_add_u64 v[94:95], v[16:17], 0, v[0:1]
	v_lshl_add_u64 v[0:1], v[2:3], 0, s[26:27]
	v_mov_b32_e32 v158, 0
	v_add_u32_e32 v135, 0x2180, v51
	v_add_u32_e32 v137, 0x2380, v51
	v_cmp_gt_u32_e64 s[0:1], 64, v22
	v_lshl_add_u64 v[84:85], v[16:17], 0, v[4:5]
	v_lshl_add_u64 v[88:89], v[16:17], 0, v[2:3]
	;; [unrolled: 1-line block ×3, first 2 shown]
	v_add_u32_e32 v141, v138, v6
	v_mov_b32_e32 v98, 0
	v_mov_b32_e32 v99, v158
	v_mad_u32_u24 v142, v49, s9, v51
	v_or_b32_e32 v143, 2, v134
	v_or_b32_e32 v144, 3, v134
	v_add_u32_e32 v145, 16, v134
	v_add_u32_e32 v146, 17, v134
	;; [unrolled: 1-line block ×13, first 2 shown]
	s_cmp_eq_u32 s19, s2
	s_cselect_b32 s26, s25, 0
	s_and_saveexec_b64 s[4:5], s[14:15]
	s_cbranch_execz .LBB38_142
	s_branch .LBB38_138
.LBB38_137:                             ;   in Loop: Header=BB38_142 Depth=1
	s_mov_b32 s2, s4
	s_cmp_eq_u32 s19, s2
	s_cselect_b32 s26, s25, 0
	s_and_saveexec_b64 s[4:5], s[14:15]
	s_cbranch_execz .LBB38_142
.LBB38_138:
	s_cmp_lg_u32 s26, 0
	s_cselect_b64 s[12:13], -1, 0
	v_cmp_le_i32_e32 vcc, s26, v50
	s_and_b64 s[12:13], s[12:13], vcc
	s_and_saveexec_b64 s[16:17], s[12:13]
	s_xor_b64 s[12:13], exec, s[16:17]
; %bb.139:
	ds_write_b64 v135, v[98:99]
; %bb.140:
	s_andn2_saveexec_b64 s[12:13], s[12:13]
	s_cbranch_execz .LBB38_142
; %bb.141:
	s_ashr_i32 s9, s8, 31
	v_lshl_add_u64 v[0:1], s[8:9], 3, v[54:55]
	flat_load_dwordx2 v[0:1], v[0:1]
	s_waitcnt vmcnt(0) lgkmcnt(0)
	ds_write_b64 v135, v[0:1]
.LBB38_142:                             ; =>This Inner Loop Header: Depth=1
	s_or_b64 exec, exec, s[4:5]
	s_cmp_eq_u32 s26, 0
	s_cselect_b64 s[12:13], -1, 0
	s_cmp_lg_u32 s26, 0
	s_cselect_b64 s[16:17], -1, 0
	v_lshl_add_u64 v[0:1], v[58:59], 0, v[56:57]
	s_and_b64 vcc, exec, s[16:17]
	s_waitcnt lgkmcnt(0)
	s_barrier
	s_cbranch_vccz .LBB38_150
; %bb.143:                              ;   in Loop: Header=BB38_142 Depth=1
	v_mov_b32_e32 v102, 0
	v_mov_b32_e32 v103, v158
	v_cmp_gt_i32_e32 vcc, s26, v134
	v_mov_b64_e32 v[104:105], v[102:103]
	s_and_saveexec_b64 s[4:5], vcc
	s_cbranch_execz .LBB38_145
; %bb.144:                              ;   in Loop: Header=BB38_142 Depth=1
	flat_load_dwordx2 v[104:105], v[0:1]
.LBB38_145:                             ;   in Loop: Header=BB38_142 Depth=1
	s_or_b64 exec, exec, s[4:5]
	v_or_b32_e32 v2, 1, v134
	v_cmp_gt_i32_e32 vcc, s26, v2
	s_and_saveexec_b64 s[4:5], vcc
	s_cbranch_execz .LBB38_147
; %bb.146:                              ;   in Loop: Header=BB38_142 Depth=1
	v_lshl_add_u64 v[2:3], v[62:63], 0, v[56:57]
	flat_load_dwordx2 v[102:103], v[2:3]
.LBB38_147:                             ;   in Loop: Header=BB38_142 Depth=1
	s_or_b64 exec, exec, s[4:5]
	v_mov_b32_e32 v159, v158
	v_cmp_gt_i32_e32 vcc, s26, v143
	v_mov_b64_e32 v[106:107], v[158:159]
	s_and_saveexec_b64 s[4:5], vcc
	s_cbranch_execz .LBB38_149
; %bb.148:                              ;   in Loop: Header=BB38_142 Depth=1
	v_lshl_add_u64 v[2:3], v[64:65], 0, v[56:57]
	flat_load_dwordx2 v[106:107], v[2:3]
.LBB38_149:                             ;   in Loop: Header=BB38_142 Depth=1
	s_or_b64 exec, exec, s[4:5]
	v_cmp_gt_i32_e64 s[4:5], s26, v144
	s_branch .LBB38_152
.LBB38_150:                             ;   in Loop: Header=BB38_142 Depth=1
	s_mov_b64 s[4:5], 0
                                        ; implicit-def: $vgpr106_vgpr107
                                        ; implicit-def: $vgpr102_vgpr103
                                        ; implicit-def: $vgpr104_vgpr105
	s_cbranch_execz .LBB38_152
; %bb.151:                              ;   in Loop: Header=BB38_142 Depth=1
	s_waitcnt vmcnt(0) lgkmcnt(0)
	flat_load_dwordx2 v[104:105], v[0:1]
	v_lshl_add_u64 v[0:1], v[62:63], 0, v[56:57]
	flat_load_dwordx2 v[102:103], v[0:1]
	v_lshl_add_u64 v[0:1], v[60:61], 0, v[56:57]
	flat_load_dwordx2 v[106:107], v[0:1]
	s_or_b64 s[4:5], s[4:5], exec
.LBB38_152:                             ;   in Loop: Header=BB38_142 Depth=1
	v_mov_b32_e32 v108, 0
	v_mov_b32_e32 v109, 0
	s_and_saveexec_b64 s[22:23], s[4:5]
	s_cbranch_execz .LBB38_154
; %bb.153:                              ;   in Loop: Header=BB38_142 Depth=1
	v_lshl_add_u64 v[0:1], v[66:67], 0, v[56:57]
	flat_load_dwordx2 v[108:109], v[0:1]
.LBB38_154:                             ;   in Loop: Header=BB38_142 Depth=1
	s_or_b64 exec, exec, s[22:23]
	ds_read_b64 v[0:1], v137
	s_andn2_b64 vcc, exec, s[16:17]
	s_waitcnt vmcnt(0) lgkmcnt(0)
	v_pk_mul_f32 v[2:3], v[104:105], v[0:1] op_sel:[1,0]
	v_pk_mul_f32 v[4:5], v[102:103], v[0:1] op_sel:[1,0]
	v_pk_fma_f32 v[6:7], v[104:105], v[0:1], v[2:3] op_sel:[0,0,1] op_sel_hi:[1,1,0]
	v_pk_fma_f32 v[2:3], v[104:105], v[0:1], v[2:3] op_sel:[0,0,1] op_sel_hi:[0,1,0] neg_lo:[0,0,1] neg_hi:[0,0,1]
	v_pk_fma_f32 v[8:9], v[102:103], v[0:1], v[4:5] op_sel:[0,0,1] op_sel_hi:[1,1,0]
	v_pk_fma_f32 v[4:5], v[102:103], v[0:1], v[4:5] op_sel:[0,0,1] op_sel_hi:[0,1,0] neg_lo:[0,0,1] neg_hi:[0,0,1]
	v_mov_b32_e32 v7, v3
	v_pk_mul_f32 v[2:3], v[106:107], v[0:1] op_sel:[1,0]
	v_mov_b32_e32 v9, v5
	v_pk_fma_f32 v[4:5], v[106:107], v[0:1], v[2:3] op_sel:[0,0,1] op_sel_hi:[1,1,0]
	v_pk_fma_f32 v[2:3], v[106:107], v[0:1], v[2:3] op_sel:[0,0,1] op_sel_hi:[0,1,0] neg_lo:[0,0,1] neg_hi:[0,0,1]
	v_mov_b32_e32 v5, v3
	v_pk_mul_f32 v[2:3], v[108:109], v[0:1] op_sel:[1,0]
	ds_write2_b64 v142, v[6:7], v[8:9] offset1:67
	v_pk_fma_f32 v[6:7], v[108:109], v[0:1], v[2:3] op_sel:[0,0,1] op_sel_hi:[1,1,0]
	v_pk_fma_f32 v[0:1], v[108:109], v[0:1], v[2:3] op_sel:[0,0,1] op_sel_hi:[0,1,0] neg_lo:[0,0,1] neg_hi:[0,0,1]
	v_mov_b32_e32 v7, v1
	ds_write2_b64 v142, v[4:5], v[6:7] offset0:134 offset1:201
	ds_read_b128 v[4:7], v136
	ds_read_b128 v[0:3], v136 offset:16
	s_waitcnt lgkmcnt(0)
	s_barrier
	ds_read2_b64 v[20:23], v138 offset1:1
	ds_read2_b64 v[16:19], v138 offset0:2 offset1:3
	v_cndmask_b32_e64 v8, 0, 1, s[16:17]
	v_cmp_ne_u32_e64 s[4:5], 1, v8
	v_lshl_add_u64 v[8:9], v[68:69], 0, v[56:57]
	s_waitcnt lgkmcnt(0)
	s_barrier
	s_cbranch_vccnz .LBB38_162
; %bb.155:                              ;   in Loop: Header=BB38_142 Depth=1
	v_mov_b32_e32 v110, 0
	v_mov_b32_e32 v111, v158
	v_cmp_gt_i32_e32 vcc, s26, v145
	v_mov_b64_e32 v[112:113], v[110:111]
	s_and_saveexec_b64 s[16:17], vcc
	s_cbranch_execz .LBB38_157
; %bb.156:                              ;   in Loop: Header=BB38_142 Depth=1
	flat_load_dwordx2 v[112:113], v[8:9]
.LBB38_157:                             ;   in Loop: Header=BB38_142 Depth=1
	s_or_b64 exec, exec, s[16:17]
	v_cmp_gt_i32_e32 vcc, s26, v146
	s_and_saveexec_b64 s[16:17], vcc
	s_cbranch_execz .LBB38_159
; %bb.158:                              ;   in Loop: Header=BB38_142 Depth=1
	v_lshl_add_u64 v[10:11], v[72:73], 0, v[56:57]
	flat_load_dwordx2 v[110:111], v[10:11]
.LBB38_159:                             ;   in Loop: Header=BB38_142 Depth=1
	s_or_b64 exec, exec, s[16:17]
	v_mov_b32_e32 v159, v158
	v_cmp_gt_i32_e32 vcc, s26, v147
	v_mov_b64_e32 v[114:115], v[158:159]
	s_and_saveexec_b64 s[16:17], vcc
	s_cbranch_execz .LBB38_161
; %bb.160:                              ;   in Loop: Header=BB38_142 Depth=1
	v_lshl_add_u64 v[10:11], v[74:75], 0, v[56:57]
	flat_load_dwordx2 v[114:115], v[10:11]
.LBB38_161:                             ;   in Loop: Header=BB38_142 Depth=1
	s_or_b64 exec, exec, s[16:17]
	v_cmp_gt_i32_e64 s[16:17], s26, v148
	s_branch .LBB38_164
.LBB38_162:                             ;   in Loop: Header=BB38_142 Depth=1
	s_mov_b64 s[16:17], 0
                                        ; implicit-def: $vgpr114_vgpr115
                                        ; implicit-def: $vgpr110_vgpr111
                                        ; implicit-def: $vgpr112_vgpr113
	s_cbranch_execz .LBB38_164
; %bb.163:                              ;   in Loop: Header=BB38_142 Depth=1
	s_waitcnt vmcnt(0) lgkmcnt(0)
	flat_load_dwordx2 v[112:113], v[8:9]
	v_lshl_add_u64 v[8:9], v[72:73], 0, v[56:57]
	flat_load_dwordx2 v[110:111], v[8:9]
	v_lshl_add_u64 v[8:9], v[70:71], 0, v[56:57]
	flat_load_dwordx2 v[114:115], v[8:9]
	s_or_b64 s[16:17], s[16:17], exec
.LBB38_164:                             ;   in Loop: Header=BB38_142 Depth=1
	v_mov_b32_e32 v116, 0
	v_mov_b32_e32 v117, 0
	s_and_saveexec_b64 s[22:23], s[16:17]
	s_cbranch_execz .LBB38_166
; %bb.165:                              ;   in Loop: Header=BB38_142 Depth=1
	v_lshl_add_u64 v[8:9], v[76:77], 0, v[56:57]
	flat_load_dwordx2 v[116:117], v[8:9]
.LBB38_166:                             ;   in Loop: Header=BB38_142 Depth=1
	s_or_b64 exec, exec, s[22:23]
	ds_read_b64 v[24:25], v137
	ds_read_b128 v[12:15], v136 offset:128
	ds_read_b128 v[8:11], v136 offset:144
	s_and_b64 vcc, exec, s[4:5]
	s_waitcnt vmcnt(0) lgkmcnt(0)
	v_pk_mul_f32 v[26:27], v[112:113], v[24:25] op_sel:[1,1] op_sel_hi:[1,0]
	v_pk_mul_f32 v[28:29], v[110:111], v[24:25] op_sel:[1,1] op_sel_hi:[1,0]
	v_pk_fma_f32 v[30:31], v[112:113], v[24:25], v[26:27]
	v_pk_fma_f32 v[26:27], v[112:113], v[24:25], v[26:27] op_sel_hi:[0,1,1] neg_lo:[0,0,1] neg_hi:[0,0,1]
	v_mov_b32_e32 v31, v27
	v_pk_fma_f32 v[26:27], v[110:111], v[24:25], v[28:29]
	v_pk_fma_f32 v[28:29], v[110:111], v[24:25], v[28:29] op_sel_hi:[0,1,1] neg_lo:[0,0,1] neg_hi:[0,0,1]
	v_mov_b32_e32 v27, v29
	ds_write2_b64 v142, v[30:31], v[26:27] offset1:67
	v_pk_mul_f32 v[26:27], v[114:115], v[24:25] op_sel:[1,1] op_sel_hi:[1,0]
	s_nop 0
	v_pk_fma_f32 v[28:29], v[114:115], v[24:25], v[26:27]
	v_pk_fma_f32 v[26:27], v[114:115], v[24:25], v[26:27] op_sel_hi:[0,1,1] neg_lo:[0,0,1] neg_hi:[0,0,1]
	v_mov_b32_e32 v29, v27
	v_pk_mul_f32 v[26:27], v[116:117], v[24:25] op_sel:[1,1] op_sel_hi:[1,0]
	s_nop 0
	v_pk_fma_f32 v[30:31], v[116:117], v[24:25], v[26:27]
	v_pk_fma_f32 v[24:25], v[116:117], v[24:25], v[26:27] op_sel_hi:[0,1,1] neg_lo:[0,0,1] neg_hi:[0,0,1]
	v_mov_b32_e32 v31, v25
	ds_write2_b64 v142, v[28:29], v[30:31] offset0:134 offset1:201
	s_waitcnt lgkmcnt(0)
	s_barrier
	ds_read2_b64 v[36:39], v138 offset1:1
	ds_read2_b64 v[32:35], v138 offset0:2 offset1:3
	v_lshl_add_u64 v[24:25], v[78:79], 0, v[56:57]
	s_waitcnt lgkmcnt(0)
	s_barrier
	s_cbranch_vccnz .LBB38_174
; %bb.167:                              ;   in Loop: Header=BB38_142 Depth=1
	v_mov_b32_e32 v118, 0
	v_mov_b32_e32 v119, v158
	v_cmp_gt_i32_e32 vcc, s26, v149
	v_mov_b64_e32 v[120:121], v[118:119]
	s_and_saveexec_b64 s[16:17], vcc
	s_cbranch_execz .LBB38_169
; %bb.168:                              ;   in Loop: Header=BB38_142 Depth=1
	flat_load_dwordx2 v[120:121], v[24:25]
.LBB38_169:                             ;   in Loop: Header=BB38_142 Depth=1
	s_or_b64 exec, exec, s[16:17]
	v_cmp_gt_i32_e32 vcc, s26, v150
	s_and_saveexec_b64 s[16:17], vcc
	s_cbranch_execz .LBB38_171
; %bb.170:                              ;   in Loop: Header=BB38_142 Depth=1
	v_lshl_add_u64 v[26:27], v[82:83], 0, v[56:57]
	flat_load_dwordx2 v[118:119], v[26:27]
.LBB38_171:                             ;   in Loop: Header=BB38_142 Depth=1
	s_or_b64 exec, exec, s[16:17]
	v_mov_b32_e32 v159, v158
	v_cmp_gt_i32_e32 vcc, s26, v151
	v_mov_b64_e32 v[122:123], v[158:159]
	s_and_saveexec_b64 s[16:17], vcc
	s_cbranch_execz .LBB38_173
; %bb.172:                              ;   in Loop: Header=BB38_142 Depth=1
	v_lshl_add_u64 v[26:27], v[84:85], 0, v[56:57]
	flat_load_dwordx2 v[122:123], v[26:27]
.LBB38_173:                             ;   in Loop: Header=BB38_142 Depth=1
	s_or_b64 exec, exec, s[16:17]
	v_cmp_gt_i32_e64 s[16:17], s26, v152
	s_branch .LBB38_176
.LBB38_174:                             ;   in Loop: Header=BB38_142 Depth=1
	s_mov_b64 s[16:17], 0
                                        ; implicit-def: $vgpr122_vgpr123
                                        ; implicit-def: $vgpr118_vgpr119
                                        ; implicit-def: $vgpr120_vgpr121
	s_cbranch_execz .LBB38_176
; %bb.175:                              ;   in Loop: Header=BB38_142 Depth=1
	s_waitcnt vmcnt(0) lgkmcnt(0)
	flat_load_dwordx2 v[120:121], v[24:25]
	v_lshl_add_u64 v[24:25], v[82:83], 0, v[56:57]
	flat_load_dwordx2 v[118:119], v[24:25]
	v_lshl_add_u64 v[24:25], v[80:81], 0, v[56:57]
	flat_load_dwordx2 v[122:123], v[24:25]
	s_or_b64 s[16:17], s[16:17], exec
.LBB38_176:                             ;   in Loop: Header=BB38_142 Depth=1
	v_mov_b32_e32 v124, 0
	v_mov_b32_e32 v125, 0
	s_and_saveexec_b64 s[22:23], s[16:17]
	s_cbranch_execz .LBB38_178
; %bb.177:                              ;   in Loop: Header=BB38_142 Depth=1
	v_lshl_add_u64 v[24:25], v[86:87], 0, v[56:57]
	flat_load_dwordx2 v[124:125], v[24:25]
.LBB38_178:                             ;   in Loop: Header=BB38_142 Depth=1
	s_or_b64 exec, exec, s[22:23]
	ds_read_b64 v[24:25], v137
	s_and_b64 vcc, exec, s[4:5]
	v_lshl_add_u64 v[132:133], v[88:89], 0, v[56:57]
	s_waitcnt vmcnt(0) lgkmcnt(0)
	v_pk_mul_f32 v[26:27], v[120:121], v[24:25] op_sel:[1,0]
	v_pk_mul_f32 v[28:29], v[118:119], v[24:25] op_sel:[1,0]
	v_pk_fma_f32 v[30:31], v[120:121], v[24:25], v[26:27] op_sel:[0,0,1] op_sel_hi:[1,1,0]
	v_pk_fma_f32 v[26:27], v[120:121], v[24:25], v[26:27] op_sel:[0,0,1] op_sel_hi:[0,1,0] neg_lo:[0,0,1] neg_hi:[0,0,1]
	v_pk_fma_f32 v[40:41], v[118:119], v[24:25], v[28:29] op_sel:[0,0,1] op_sel_hi:[1,1,0]
	v_pk_fma_f32 v[28:29], v[118:119], v[24:25], v[28:29] op_sel:[0,0,1] op_sel_hi:[0,1,0] neg_lo:[0,0,1] neg_hi:[0,0,1]
	v_mov_b32_e32 v31, v27
	v_pk_mul_f32 v[26:27], v[122:123], v[24:25] op_sel:[1,0]
	v_mov_b32_e32 v41, v29
	v_pk_fma_f32 v[28:29], v[122:123], v[24:25], v[26:27] op_sel:[0,0,1] op_sel_hi:[1,1,0]
	v_pk_fma_f32 v[26:27], v[122:123], v[24:25], v[26:27] op_sel:[0,0,1] op_sel_hi:[0,1,0] neg_lo:[0,0,1] neg_hi:[0,0,1]
	v_mov_b32_e32 v29, v27
	v_pk_mul_f32 v[26:27], v[124:125], v[24:25] op_sel:[1,0]
	ds_write2_b64 v142, v[30:31], v[40:41] offset1:67
	v_pk_fma_f32 v[30:31], v[124:125], v[24:25], v[26:27] op_sel:[0,0,1] op_sel_hi:[1,1,0]
	v_pk_fma_f32 v[24:25], v[124:125], v[24:25], v[26:27] op_sel:[0,0,1] op_sel_hi:[0,1,0] neg_lo:[0,0,1] neg_hi:[0,0,1]
	v_mov_b32_e32 v31, v25
	ds_write2_b64 v142, v[28:29], v[30:31] offset0:134 offset1:201
	ds_read_b128 v[28:31], v136 offset:256
	ds_read_b128 v[24:27], v136 offset:272
	s_waitcnt lgkmcnt(0)
	s_barrier
	ds_read2_b64 v[44:47], v138 offset1:1
	ds_read2_b64 v[40:43], v138 offset0:2 offset1:3
	s_waitcnt lgkmcnt(0)
	s_barrier
	s_cbranch_vccnz .LBB38_186
; %bb.179:                              ;   in Loop: Header=BB38_142 Depth=1
	v_mov_b32_e32 v126, 0
	v_mov_b32_e32 v127, v158
	v_cmp_gt_i32_e32 vcc, s26, v153
	v_mov_b64_e32 v[128:129], v[126:127]
	s_and_saveexec_b64 s[4:5], vcc
	s_cbranch_execz .LBB38_181
; %bb.180:                              ;   in Loop: Header=BB38_142 Depth=1
	flat_load_dwordx2 v[128:129], v[132:133]
.LBB38_181:                             ;   in Loop: Header=BB38_142 Depth=1
	s_or_b64 exec, exec, s[4:5]
	v_cmp_gt_i32_e32 vcc, s26, v154
	s_and_saveexec_b64 s[4:5], vcc
	s_cbranch_execz .LBB38_183
; %bb.182:                              ;   in Loop: Header=BB38_142 Depth=1
	v_lshl_add_u64 v[126:127], v[92:93], 0, v[56:57]
	flat_load_dwordx2 v[126:127], v[126:127]
.LBB38_183:                             ;   in Loop: Header=BB38_142 Depth=1
	s_or_b64 exec, exec, s[4:5]
	v_mov_b32_e32 v159, v158
	v_cmp_gt_i32_e32 vcc, s26, v155
	v_mov_b64_e32 v[130:131], v[158:159]
	s_and_saveexec_b64 s[4:5], vcc
	s_cbranch_execz .LBB38_185
; %bb.184:                              ;   in Loop: Header=BB38_142 Depth=1
	v_lshl_add_u64 v[130:131], v[94:95], 0, v[56:57]
	flat_load_dwordx2 v[130:131], v[130:131]
.LBB38_185:                             ;   in Loop: Header=BB38_142 Depth=1
	s_or_b64 exec, exec, s[4:5]
	v_cmp_gt_i32_e64 s[4:5], s26, v156
	s_branch .LBB38_188
.LBB38_186:                             ;   in Loop: Header=BB38_142 Depth=1
	s_mov_b64 s[4:5], 0
                                        ; implicit-def: $vgpr130_vgpr131
                                        ; implicit-def: $vgpr126_vgpr127
                                        ; implicit-def: $vgpr128_vgpr129
	s_cbranch_execz .LBB38_188
; %bb.187:                              ;   in Loop: Header=BB38_142 Depth=1
	s_waitcnt vmcnt(0) lgkmcnt(0)
	v_lshl_add_u64 v[126:127], v[92:93], 0, v[56:57]
	v_lshl_add_u64 v[130:131], v[90:91], 0, v[56:57]
	flat_load_dwordx2 v[128:129], v[132:133]
	s_or_b64 s[4:5], s[4:5], exec
	flat_load_dwordx2 v[126:127], v[126:127]
	s_nop 0
	flat_load_dwordx2 v[130:131], v[130:131]
.LBB38_188:                             ;   in Loop: Header=BB38_142 Depth=1
	v_mov_b32_e32 v132, 0
	v_mov_b32_e32 v133, 0
	s_and_saveexec_b64 s[16:17], s[4:5]
	s_cbranch_execz .LBB38_190
; %bb.189:                              ;   in Loop: Header=BB38_142 Depth=1
	v_lshl_add_u64 v[132:133], v[96:97], 0, v[56:57]
	flat_load_dwordx2 v[132:133], v[132:133]
.LBB38_190:                             ;   in Loop: Header=BB38_142 Depth=1
	s_or_b64 exec, exec, s[16:17]
	v_pk_add_f32 v[44:45], v[44:45], 0 op_sel_hi:[1,0]
	v_pk_add_f32 v[36:37], v[36:37], 0 op_sel_hi:[1,0]
	v_pk_add_f32 v[44:45], v[44:45], v[46:47]
	v_pk_add_f32 v[36:37], v[36:37], v[38:39]
	v_pk_add_f32 v[40:41], v[44:45], v[40:41]
	v_pk_add_f32 v[32:33], v[36:37], v[32:33]
	v_pk_add_f32 v[44:45], v[40:41], v[42:43]
	ds_read_b64 v[40:41], v137
	v_pk_add_f32 v[46:47], v[32:33], v[34:35]
	v_pk_add_f32 v[20:21], v[20:21], 0 op_sel_hi:[1,0]
	v_cmp_gt_i32_e32 vcc, s26, v50
	v_pk_add_f32 v[160:161], v[20:21], v[22:23]
	s_waitcnt vmcnt(0) lgkmcnt(0)
	v_pk_mul_f32 v[32:33], v[128:129], v[40:41] op_sel:[1,0]
	v_pk_add_f32 v[16:17], v[160:161], v[16:17]
	v_pk_fma_f32 v[34:35], v[128:129], v[40:41], v[32:33] op_sel:[0,0,1] op_sel_hi:[1,1,0]
	v_pk_fma_f32 v[32:33], v[128:129], v[40:41], v[32:33] op_sel:[0,0,1] op_sel_hi:[0,1,0] neg_lo:[0,0,1] neg_hi:[0,0,1]
	v_mov_b32_e32 v35, v33
	v_pk_mul_f32 v[32:33], v[126:127], v[40:41] op_sel:[1,0]
	v_pk_add_f32 v[16:17], v[16:17], v[18:19]
	v_pk_fma_f32 v[36:37], v[126:127], v[40:41], v[32:33] op_sel:[0,0,1] op_sel_hi:[1,1,0]
	v_pk_fma_f32 v[32:33], v[126:127], v[40:41], v[32:33] op_sel:[0,0,1] op_sel_hi:[0,1,0] neg_lo:[0,0,1] neg_hi:[0,0,1]
	v_mov_b32_e32 v37, v33
	v_pk_mul_f32 v[32:33], v[130:131], v[40:41] op_sel:[1,0]
	ds_write2_b64 v142, v[34:35], v[36:37] offset1:67
	v_pk_fma_f32 v[34:35], v[130:131], v[40:41], v[32:33] op_sel:[0,0,1] op_sel_hi:[1,1,0]
	v_pk_fma_f32 v[32:33], v[130:131], v[40:41], v[32:33] op_sel:[0,0,1] op_sel_hi:[0,1,0] neg_lo:[0,0,1] neg_hi:[0,0,1]
	v_mov_b32_e32 v35, v33
	v_pk_mul_f32 v[32:33], v[132:133], v[40:41] op_sel:[1,0]
	s_or_b64 s[4:5], s[12:13], vcc
	v_pk_fma_f32 v[36:37], v[132:133], v[40:41], v[32:33] op_sel:[0,0,1] op_sel_hi:[1,1,0]
	v_pk_fma_f32 v[32:33], v[132:133], v[40:41], v[32:33] op_sel:[0,0,1] op_sel_hi:[0,1,0] neg_lo:[0,0,1] neg_hi:[0,0,1]
	v_mov_b32_e32 v37, v33
	ds_write2_b64 v142, v[34:35], v[36:37] offset0:134 offset1:201
	ds_read_b128 v[36:39], v136 offset:384
	ds_read_b128 v[32:35], v136 offset:400
	s_waitcnt lgkmcnt(0)
	s_barrier
	ds_read2_b64 v[40:43], v138 offset1:1
	ds_read2_b64 v[20:23], v138 offset0:2 offset1:3
	s_and_b64 s[12:13], s[0:1], s[4:5]
	s_waitcnt lgkmcnt(0)
	s_barrier
	v_pk_add_f32 v[18:19], v[40:41], 0 op_sel_hi:[1,0]
	s_nop 0
	v_pk_add_f32 v[18:19], v[18:19], v[42:43]
	s_nop 0
	v_pk_add_f32 v[18:19], v[18:19], v[20:21]
	;; [unrolled: 2-line block ×3, first 2 shown]
	ds_write2_b64 v141, v[16:17], v[46:47] offset1:16
	ds_write2_b64 v141, v[44:45], v[18:19] offset0:32 offset1:48
	s_waitcnt lgkmcnt(0)
	s_barrier
	s_and_saveexec_b64 s[4:5], s[12:13]
	s_cbranch_execz .LBB38_192
; %bb.191:                              ;   in Loop: Header=BB38_142 Depth=1
	ds_read_b64 v[40:41], v139
	ds_read2_b64 v[16:19], v139 offset0:1 offset1:2
	ds_read2_b64 v[20:23], v139 offset0:3 offset1:4
	v_ashrrev_i32_e32 v101, 31, v100
	v_lshl_add_u64 v[44:45], v[100:101], 3, s[6:7]
	s_waitcnt lgkmcnt(1)
	v_add_f32_e32 v16, v16, v40
	v_add_f32_e32 v17, v17, v41
	;; [unrolled: 1-line block ×4, first 2 shown]
	ds_read2_b64 v[16:19], v139 offset0:5 offset1:6
	s_waitcnt lgkmcnt(1)
	v_add_f32_e32 v20, v40, v20
	v_add_f32_e32 v21, v41, v21
	;; [unrolled: 1-line block ×4, first 2 shown]
	ds_read2_b64 v[20:23], v139 offset0:7 offset1:8
	s_waitcnt lgkmcnt(1)
	v_pk_add_f32 v[16:17], v[40:41], v[16:17]
	ds_read2_b64 v[40:43], v139 offset0:9 offset1:10
	v_pk_add_f32 v[16:17], v[16:17], v[18:19]
	s_waitcnt lgkmcnt(1)
	v_pk_add_f32 v[16:17], v[16:17], v[20:21]
	s_nop 0
	v_pk_add_f32 v[20:21], v[16:17], v[22:23]
	ds_read2_b64 v[16:19], v139 offset0:11 offset1:12
	s_waitcnt lgkmcnt(1)
	v_pk_add_f32 v[40:41], v[20:21], v[40:41]
	ds_read2_b64 v[20:23], v139 offset0:13 offset1:14
	v_pk_add_f32 v[40:41], v[40:41], v[42:43]
	ds_read_b64 v[42:43], v140
	s_waitcnt lgkmcnt(2)
	v_pk_add_f32 v[16:17], v[40:41], v[16:17]
	s_nop 0
	v_pk_add_f32 v[16:17], v[16:17], v[18:19]
	s_waitcnt lgkmcnt(1)
	v_pk_add_f32 v[16:17], v[16:17], v[20:21]
	s_nop 0
	v_pk_add_f32 v[16:17], v[16:17], v[22:23]
	s_waitcnt lgkmcnt(0)
	v_pk_add_f32 v[16:17], v[16:17], v[42:43]
	global_store_dwordx2 v[44:45], v[16:17], off
.LBB38_192:                             ;   in Loop: Header=BB38_142 Depth=1
	s_or_b64 exec, exec, s[4:5]
	v_mov_b32_e32 v16, v104
	v_mov_b32_e32 v17, v104
	;; [unrolled: 1-line block ×3, first 2 shown]
	v_pk_mul_f32 v[104:105], v[104:105], v[4:5]
	v_mov_b32_e32 v18, v102
	v_mov_b32_e32 v19, v102
	;; [unrolled: 1-line block ×3, first 2 shown]
	v_pk_fma_f32 v[168:169], v[16:17], v[4:5], v[104:105] op_sel:[0,0,1] op_sel_hi:[1,1,0] neg_lo:[0,0,1] neg_hi:[0,0,1]
	v_pk_fma_f32 v[4:5], v[16:17], v[4:5], v[104:105] op_sel:[0,0,1] op_sel_hi:[1,1,0]
	v_pk_mul_f32 v[16:17], v[102:103], v[6:7]
	v_mov_b32_e32 v169, v5
	v_mov_b32_e32 v20, v106
	;; [unrolled: 1-line block ×4, first 2 shown]
	v_pk_add_f32 v[4:5], v[52:53], v[168:169]
	v_pk_fma_f32 v[52:53], v[18:19], v[6:7], v[16:17] op_sel:[0,0,1] op_sel_hi:[1,1,0] neg_lo:[0,0,1] neg_hi:[0,0,1]
	v_pk_fma_f32 v[6:7], v[18:19], v[6:7], v[16:17] op_sel:[0,0,1] op_sel_hi:[1,1,0]
	v_mov_b32_e32 v22, v108
	v_mov_b32_e32 v53, v7
	v_pk_mul_f32 v[6:7], v[106:107], v[0:1]
	v_mov_b32_e32 v23, v108
	v_pk_fma_f32 v[16:17], v[20:21], v[0:1], v[6:7] op_sel:[0,0,1] op_sel_hi:[1,1,0] neg_lo:[0,0,1] neg_hi:[0,0,1]
	v_pk_fma_f32 v[0:1], v[20:21], v[0:1], v[6:7] op_sel:[0,0,1] op_sel_hi:[1,1,0]
	v_mov_b32_e32 v108, v109
	v_pk_add_f32 v[4:5], v[4:5], v[52:53]
	v_mov_b32_e32 v17, v1
	v_pk_add_f32 v[0:1], v[4:5], v[16:17]
	v_pk_mul_f32 v[4:5], v[108:109], v[2:3]
	v_mov_b32_e32 v40, v120
	v_pk_fma_f32 v[6:7], v[22:23], v[2:3], v[4:5] op_sel:[0,0,1] op_sel_hi:[1,1,0] neg_lo:[0,0,1] neg_hi:[0,0,1]
	v_pk_fma_f32 v[2:3], v[22:23], v[2:3], v[4:5] op_sel:[0,0,1] op_sel_hi:[1,1,0]
	v_mov_b32_e32 v4, v15
	v_mov_b32_e32 v7, v3
	v_pk_mul_f32 v[2:3], v[112:113], v[12:13] op_sel:[1,1] op_sel_hi:[0,1]
	v_pk_add_f32 v[0:1], v[0:1], v[6:7]
	v_pk_mul_f32 v[4:5], v[110:111], v[4:5] op_sel:[1,0] op_sel_hi:[0,0]
	v_pk_fma_f32 v[6:7], v[112:113], v[12:13], v[2:3] neg_lo:[0,0,1] neg_hi:[0,0,1]
	v_pk_fma_f32 v[2:3], v[112:113], v[12:13], v[2:3] op_sel_hi:[1,0,1]
	v_mov_b32_e32 v41, v120
	v_mov_b32_e32 v7, v3
	v_pk_fma_f32 v[2:3], v[110:111], v[14:15], v[4:5] neg_lo:[0,0,1] neg_hi:[0,0,1]
	v_pk_fma_f32 v[4:5], v[110:111], v[14:15], v[4:5] op_sel_hi:[1,0,1]
	v_pk_add_f32 v[0:1], v[0:1], v[6:7]
	v_mov_b32_e32 v3, v5
	v_pk_add_f32 v[0:1], v[0:1], v[2:3]
	v_pk_mul_f32 v[2:3], v[114:115], v[8:9] op_sel:[1,1] op_sel_hi:[0,1]
	v_pk_fma_f32 v[4:5], v[114:115], v[8:9], v[2:3] neg_lo:[0,0,1] neg_hi:[0,0,1]
	v_pk_fma_f32 v[2:3], v[114:115], v[8:9], v[2:3] op_sel_hi:[1,0,1]
	v_mov_b32_e32 v120, v121
	v_mov_b32_e32 v2, v11
	;; [unrolled: 1-line block ×3, first 2 shown]
	v_pk_mul_f32 v[2:3], v[116:117], v[2:3] op_sel:[1,0] op_sel_hi:[0,0]
	v_pk_add_f32 v[0:1], v[0:1], v[4:5]
	v_pk_fma_f32 v[4:5], v[116:117], v[10:11], v[2:3] neg_lo:[0,0,1] neg_hi:[0,0,1]
	v_pk_fma_f32 v[2:3], v[116:117], v[10:11], v[2:3] op_sel_hi:[1,0,1]
	v_mov_b32_e32 v42, v118
	v_mov_b32_e32 v5, v3
	v_pk_mul_f32 v[2:3], v[120:121], v[28:29]
	v_mov_b32_e32 v43, v118
	v_mov_b32_e32 v118, v119
	v_pk_add_f32 v[0:1], v[0:1], v[4:5]
	v_pk_fma_f32 v[4:5], v[40:41], v[28:29], v[2:3] op_sel:[0,0,1] op_sel_hi:[1,1,0] neg_lo:[0,0,1] neg_hi:[0,0,1]
	v_pk_fma_f32 v[2:3], v[40:41], v[28:29], v[2:3] op_sel:[0,0,1] op_sel_hi:[1,1,0]
	v_mov_b32_e32 v44, v122
	v_mov_b32_e32 v5, v3
	v_pk_mul_f32 v[2:3], v[118:119], v[30:31]
	v_mov_b32_e32 v45, v122
	v_mov_b32_e32 v122, v123
	v_pk_add_f32 v[0:1], v[0:1], v[4:5]
	v_pk_fma_f32 v[4:5], v[42:43], v[30:31], v[2:3] op_sel:[0,0,1] op_sel_hi:[1,1,0] neg_lo:[0,0,1] neg_hi:[0,0,1]
	v_pk_fma_f32 v[2:3], v[42:43], v[30:31], v[2:3] op_sel:[0,0,1] op_sel_hi:[1,1,0]
	;; [unrolled: 8-line block ×5, first 2 shown]
	v_mov_b32_e32 v164, v130
	v_mov_b32_e32 v5, v3
	v_pk_mul_f32 v[2:3], v[126:127], v[38:39]
	v_mov_b32_e32 v165, v130
	v_mov_b32_e32 v130, v131
	v_pk_fma_f32 v[6:7], v[162:163], v[38:39], v[2:3] op_sel:[0,0,1] op_sel_hi:[1,1,0] neg_lo:[0,0,1] neg_hi:[0,0,1]
	v_pk_fma_f32 v[2:3], v[162:163], v[38:39], v[2:3] op_sel:[0,0,1] op_sel_hi:[1,1,0]
	v_mov_b32_e32 v166, v132
	v_mov_b32_e32 v7, v3
	v_pk_mul_f32 v[2:3], v[130:131], v[32:33]
	v_mov_b32_e32 v167, v132
	v_mov_b32_e32 v132, v133
	v_pk_fma_f32 v[8:9], v[164:165], v[32:33], v[2:3] op_sel:[0,0,1] op_sel_hi:[1,1,0] neg_lo:[0,0,1] neg_hi:[0,0,1]
	v_pk_fma_f32 v[2:3], v[164:165], v[32:33], v[2:3] op_sel:[0,0,1] op_sel_hi:[1,1,0]
	v_pk_add_f32 v[0:1], v[0:1], v[4:5]
	v_mov_b32_e32 v9, v3
	v_pk_mul_f32 v[2:3], v[132:133], v[34:35]
	v_pk_add_f32 v[0:1], v[0:1], v[6:7]
	v_pk_fma_f32 v[10:11], v[166:167], v[34:35], v[2:3] op_sel:[0,0,1] op_sel_hi:[1,1,0] neg_lo:[0,0,1] neg_hi:[0,0,1]
	v_pk_fma_f32 v[2:3], v[166:167], v[34:35], v[2:3] op_sel:[0,0,1] op_sel_hi:[1,1,0]
	v_pk_add_f32 v[0:1], v[0:1], v[8:9]
	v_mov_b32_e32 v11, v3
	s_add_i32 s4, s2, 1
	s_add_i32 s8, s8, s24
	;; [unrolled: 1-line block ×3, first 2 shown]
	v_pk_add_f32 v[52:53], v[0:1], v[10:11]
	v_add_u32_e32 v100, 64, v100
	v_lshl_add_u64 v[58:59], v[58:59], 0, s[10:11]
	v_lshl_add_u64 v[60:61], v[60:61], 0, s[10:11]
	;; [unrolled: 1-line block ×19, first 2 shown]
	s_cmp_ge_u32 s2, s3
	v_lshl_add_u64 v[96:97], v[96:97], 0, s[10:11]
	s_barrier
	s_cbranch_scc0 .LBB38_137
.LBB38_193:
	s_movk_i32 s0, 0x218
	v_cmp_gt_i32_e32 vcc, s18, v50
	v_mad_u32_u24 v0, v49, s0, v51
	s_or_b64 s[0:1], s[20:21], vcc
	s_and_b64 s[0:1], s[14:15], s[0:1]
	ds_write_b64 v0, v[52:53]
	s_waitcnt lgkmcnt(0)
	s_barrier
	s_and_saveexec_b64 s[2:3], s[0:1]
	s_cbranch_execz .LBB38_195
; %bb.194:
	ds_read2_b64 v[0:3], v51 offset1:67
	ds_read2_b64 v[4:7], v51 offset0:134 offset1:201
	v_ashrrev_i32_e32 v49, 31, v48
	v_lshl_add_u64 v[8:9], v[48:49], 3, s[6:7]
	s_waitcnt lgkmcnt(1)
	v_pk_add_f32 v[0:1], v[2:3], v[0:1]
	s_waitcnt lgkmcnt(0)
	v_pk_add_f32 v[0:1], v[4:5], v[0:1]
	s_nop 0
	v_pk_add_f32 v[0:1], v[0:1], v[6:7]
	global_store_dwordx2 v[8:9], v[0:1], off
.LBB38_195:
	s_endpgm
	.section	.rodata,"a",@progbits
	.p2align	6, 0x0
	.amdhsa_kernel _ZL26rocblas_hemvn_kernel_upperILb1ELi64ELi4ELi33ELi32ELi16Ei19rocblas_complex_numIfEPKPKS1_PS1_EviT6_lT7_lT5_lS8_lS9_lS7_lT8_i
		.amdhsa_group_segment_fixed_size 9600
		.amdhsa_private_segment_fixed_size 0
		.amdhsa_kernarg_size 376
		.amdhsa_user_sgpr_count 2
		.amdhsa_user_sgpr_dispatch_ptr 0
		.amdhsa_user_sgpr_queue_ptr 0
		.amdhsa_user_sgpr_kernarg_segment_ptr 1
		.amdhsa_user_sgpr_dispatch_id 0
		.amdhsa_user_sgpr_kernarg_preload_length 0
		.amdhsa_user_sgpr_kernarg_preload_offset 0
		.amdhsa_user_sgpr_private_segment_size 0
		.amdhsa_uses_dynamic_stack 0
		.amdhsa_enable_private_segment 0
		.amdhsa_system_sgpr_workgroup_id_x 1
		.amdhsa_system_sgpr_workgroup_id_y 0
		.amdhsa_system_sgpr_workgroup_id_z 1
		.amdhsa_system_sgpr_workgroup_info 0
		.amdhsa_system_vgpr_workitem_id 1
		.amdhsa_next_free_vgpr 170
		.amdhsa_next_free_sgpr 46
		.amdhsa_accum_offset 172
		.amdhsa_reserve_vcc 1
		.amdhsa_float_round_mode_32 0
		.amdhsa_float_round_mode_16_64 0
		.amdhsa_float_denorm_mode_32 3
		.amdhsa_float_denorm_mode_16_64 3
		.amdhsa_dx10_clamp 1
		.amdhsa_ieee_mode 1
		.amdhsa_fp16_overflow 0
		.amdhsa_tg_split 0
		.amdhsa_exception_fp_ieee_invalid_op 0
		.amdhsa_exception_fp_denorm_src 0
		.amdhsa_exception_fp_ieee_div_zero 0
		.amdhsa_exception_fp_ieee_overflow 0
		.amdhsa_exception_fp_ieee_underflow 0
		.amdhsa_exception_fp_ieee_inexact 0
		.amdhsa_exception_int_div_zero 0
	.end_amdhsa_kernel
	.section	.text._ZL26rocblas_hemvn_kernel_upperILb1ELi64ELi4ELi33ELi32ELi16Ei19rocblas_complex_numIfEPKPKS1_PS1_EviT6_lT7_lT5_lS8_lS9_lS7_lT8_i,"axG",@progbits,_ZL26rocblas_hemvn_kernel_upperILb1ELi64ELi4ELi33ELi32ELi16Ei19rocblas_complex_numIfEPKPKS1_PS1_EviT6_lT7_lT5_lS8_lS9_lS7_lT8_i,comdat
.Lfunc_end38:
	.size	_ZL26rocblas_hemvn_kernel_upperILb1ELi64ELi4ELi33ELi32ELi16Ei19rocblas_complex_numIfEPKPKS1_PS1_EviT6_lT7_lT5_lS8_lS9_lS7_lT8_i, .Lfunc_end38-_ZL26rocblas_hemvn_kernel_upperILb1ELi64ELi4ELi33ELi32ELi16Ei19rocblas_complex_numIfEPKPKS1_PS1_EviT6_lT7_lT5_lS8_lS9_lS7_lT8_i
                                        ; -- End function
	.set _ZL26rocblas_hemvn_kernel_upperILb1ELi64ELi4ELi33ELi32ELi16Ei19rocblas_complex_numIfEPKPKS1_PS1_EviT6_lT7_lT5_lS8_lS9_lS7_lT8_i.num_vgpr, 170
	.set _ZL26rocblas_hemvn_kernel_upperILb1ELi64ELi4ELi33ELi32ELi16Ei19rocblas_complex_numIfEPKPKS1_PS1_EviT6_lT7_lT5_lS8_lS9_lS7_lT8_i.num_agpr, 0
	.set _ZL26rocblas_hemvn_kernel_upperILb1ELi64ELi4ELi33ELi32ELi16Ei19rocblas_complex_numIfEPKPKS1_PS1_EviT6_lT7_lT5_lS8_lS9_lS7_lT8_i.numbered_sgpr, 46
	.set _ZL26rocblas_hemvn_kernel_upperILb1ELi64ELi4ELi33ELi32ELi16Ei19rocblas_complex_numIfEPKPKS1_PS1_EviT6_lT7_lT5_lS8_lS9_lS7_lT8_i.num_named_barrier, 0
	.set _ZL26rocblas_hemvn_kernel_upperILb1ELi64ELi4ELi33ELi32ELi16Ei19rocblas_complex_numIfEPKPKS1_PS1_EviT6_lT7_lT5_lS8_lS9_lS7_lT8_i.private_seg_size, 0
	.set _ZL26rocblas_hemvn_kernel_upperILb1ELi64ELi4ELi33ELi32ELi16Ei19rocblas_complex_numIfEPKPKS1_PS1_EviT6_lT7_lT5_lS8_lS9_lS7_lT8_i.uses_vcc, 1
	.set _ZL26rocblas_hemvn_kernel_upperILb1ELi64ELi4ELi33ELi32ELi16Ei19rocblas_complex_numIfEPKPKS1_PS1_EviT6_lT7_lT5_lS8_lS9_lS7_lT8_i.uses_flat_scratch, 0
	.set _ZL26rocblas_hemvn_kernel_upperILb1ELi64ELi4ELi33ELi32ELi16Ei19rocblas_complex_numIfEPKPKS1_PS1_EviT6_lT7_lT5_lS8_lS9_lS7_lT8_i.has_dyn_sized_stack, 0
	.set _ZL26rocblas_hemvn_kernel_upperILb1ELi64ELi4ELi33ELi32ELi16Ei19rocblas_complex_numIfEPKPKS1_PS1_EviT6_lT7_lT5_lS8_lS9_lS7_lT8_i.has_recursion, 0
	.set _ZL26rocblas_hemvn_kernel_upperILb1ELi64ELi4ELi33ELi32ELi16Ei19rocblas_complex_numIfEPKPKS1_PS1_EviT6_lT7_lT5_lS8_lS9_lS7_lT8_i.has_indirect_call, 0
	.section	.AMDGPU.csdata,"",@progbits
; Kernel info:
; codeLenInByte = 9328
; TotalNumSgprs: 52
; NumVgprs: 170
; NumAgprs: 0
; TotalNumVgprs: 170
; ScratchSize: 0
; MemoryBound: 1
; FloatMode: 240
; IeeeMode: 1
; LDSByteSize: 9600 bytes/workgroup (compile time only)
; SGPRBlocks: 6
; VGPRBlocks: 21
; NumSGPRsForWavesPerEU: 52
; NumVGPRsForWavesPerEU: 170
; AccumOffset: 172
; Occupancy: 2
; WaveLimiterHint : 1
; COMPUTE_PGM_RSRC2:SCRATCH_EN: 0
; COMPUTE_PGM_RSRC2:USER_SGPR: 2
; COMPUTE_PGM_RSRC2:TRAP_HANDLER: 0
; COMPUTE_PGM_RSRC2:TGID_X_EN: 1
; COMPUTE_PGM_RSRC2:TGID_Y_EN: 0
; COMPUTE_PGM_RSRC2:TGID_Z_EN: 1
; COMPUTE_PGM_RSRC2:TIDIG_COMP_CNT: 1
; COMPUTE_PGM_RSRC3_GFX90A:ACCUM_OFFSET: 42
; COMPUTE_PGM_RSRC3_GFX90A:TG_SPLIT: 0
	.section	.text._ZL36rocblas_hemvn_kernel_upper_block_sumILi64Ei19rocblas_complex_numIfEPKPS1_S1_EviT1_lS5_lT2_lT0_lPT3_i,"axG",@progbits,_ZL36rocblas_hemvn_kernel_upper_block_sumILi64Ei19rocblas_complex_numIfEPKPS1_S1_EviT1_lS5_lT2_lT0_lPT3_i,comdat
	.globl	_ZL36rocblas_hemvn_kernel_upper_block_sumILi64Ei19rocblas_complex_numIfEPKPS1_S1_EviT1_lS5_lT2_lT0_lPT3_i ; -- Begin function _ZL36rocblas_hemvn_kernel_upper_block_sumILi64Ei19rocblas_complex_numIfEPKPS1_S1_EviT1_lS5_lT2_lT0_lPT3_i
	.p2align	8
	.type	_ZL36rocblas_hemvn_kernel_upper_block_sumILi64Ei19rocblas_complex_numIfEPKPS1_S1_EviT1_lS5_lT2_lT0_lPT3_i,@function
_ZL36rocblas_hemvn_kernel_upper_block_sumILi64Ei19rocblas_complex_numIfEPKPS1_S1_EviT1_lS5_lT2_lT0_lPT3_i: ; @_ZL36rocblas_hemvn_kernel_upper_block_sumILi64Ei19rocblas_complex_numIfEPKPS1_S1_EviT1_lS5_lT2_lT0_lPT3_i
; %bb.0:
	s_load_dwordx4 s[8:11], s[0:1], 0x0
	s_load_dwordx2 s[6:7], s[0:1], 0x18
	s_mov_b32 s14, s3
	s_mov_b32 s15, 0
	s_waitcnt lgkmcnt(0)
	s_or_b32 s3, s9, s10
	s_bitset0_b32 s3, 31
	s_mov_b32 s13, s10
	s_cmp_eq_u32 s3, 0
	v_cmp_eq_f32_e64 s[10:11], s6, 1.0
	v_cmp_eq_f32_e64 s[16:17], s7, 0
	s_cselect_b64 s[4:5], -1, 0
	s_and_b64 s[10:11], s[10:11], s[16:17]
	s_and_b64 s[10:11], s[4:5], s[10:11]
	s_and_b64 vcc, exec, s[10:11]
	s_cbranch_vccnz .LBB39_17
; %bb.1:
	s_load_dwordx4 s[16:19], s[0:1], 0x28
	s_load_dword s3, s[0:1], 0x38
	s_lshl_b64 s[10:11], s[14:15], 3
	v_lshl_or_b32 v0, s2, 6, v0
	s_mov_b32 s12, s9
	s_waitcnt lgkmcnt(0)
	s_add_u32 s10, s16, s10
	s_addc_u32 s11, s17, s11
	s_load_dwordx2 s[10:11], s[10:11], 0x0
	s_lshl_b64 s[18:19], s[18:19], 3
	s_mov_b64 s[16:17], -1
	s_waitcnt lgkmcnt(0)
	s_add_u32 s10, s10, s18
	s_addc_u32 s11, s11, s19
	s_andn2_b64 vcc, exec, s[4:5]
	v_cmp_gt_i32_e64 s[4:5], s8, v0
	s_cbranch_vccnz .LBB39_7
; %bb.2:
	s_and_saveexec_b64 s[16:17], s[4:5]
	s_cbranch_execz .LBB39_6
; %bb.3:
	v_cmp_neq_f32_e64 s[4:5], s6, 0
	v_cmp_neq_f32_e64 s[18:19], s7, 0
	v_mul_lo_u32 v4, s3, v0
	v_ashrrev_i32_e32 v5, 31, v4
	s_or_b64 s[4:5], s[4:5], s[18:19]
	v_mov_b32_e32 v2, 0
	s_andn2_b64 vcc, exec, s[4:5]
	v_lshl_add_u64 v[4:5], v[4:5], 3, s[10:11]
	v_mov_b32_e32 v3, 0
	s_cbranch_vccnz .LBB39_5
; %bb.4:
	flat_load_dwordx2 v[6:7], v[4:5]
	s_waitcnt vmcnt(0) lgkmcnt(0)
	v_pk_mul_f32 v[8:9], v[6:7], s[6:7] op_sel:[1,1] op_sel_hi:[1,0]
	s_nop 0
	v_pk_fma_f32 v[2:3], v[6:7], s[6:7], v[8:9] neg_lo:[0,0,1] neg_hi:[0,0,1]
	v_pk_fma_f32 v[6:7], v[6:7], s[6:7], v[8:9] op_sel_hi:[0,1,1]
	v_mov_b32_e32 v3, v7
.LBB39_5:
	flat_store_dwordx2 v[4:5], v[2:3]
.LBB39_6:
	s_or_b64 exec, exec, s[16:17]
	s_mov_b64 s[16:17], 0
.LBB39_7:
	s_andn2_b64 vcc, exec, s[16:17]
	s_cbranch_vccnz .LBB39_17
; %bb.8:
	v_cmp_gt_i32_e32 vcc, s8, v0
	s_and_saveexec_b64 s[4:5], vcc
	s_cbranch_execz .LBB39_17
; %bb.9:
	v_mov_b32_e32 v3, 0
	s_cmp_lt_i32 s2, 0
	v_mov_b32_e32 v2, v3
	s_cbranch_scc1 .LBB39_12
; %bb.10:
	s_load_dwordx2 s[4:5], s[0:1], 0x48
	s_load_dword s15, s[0:1], 0x58
	s_ashr_i32 s9, s8, 31
	s_mul_hi_u32 s0, s8, s14
	s_mul_i32 s1, s9, s14
	s_add_i32 s0, s0, s1
	s_mul_i32 s14, s8, s14
	s_waitcnt lgkmcnt(0)
	s_mul_i32 s0, s0, s15
	s_mul_hi_u32 s1, s14, s15
	s_add_i32 s1, s1, s0
	s_mul_i32 s0, s14, s15
	s_lshl_b64 s[0:1], s[0:1], 3
	s_add_u32 s0, s4, s0
	s_addc_u32 s1, s5, s1
	v_mov_b32_e32 v1, 0
	v_lshl_add_u64 v[4:5], v[0:1], 3, s[0:1]
	s_add_i32 s2, s2, 1
	s_lshl_b64 s[0:1], s[8:9], 3
	v_mov_b32_e32 v2, v1
	v_mov_b32_e32 v3, v1
.LBB39_11:                              ; =>This Inner Loop Header: Depth=1
	global_load_dwordx2 v[6:7], v[4:5], off
	s_add_i32 s2, s2, -1
	v_lshl_add_u64 v[4:5], v[4:5], 0, s[0:1]
	s_cmp_eq_u32 s2, 0
	s_waitcnt vmcnt(0)
	v_pk_add_f32 v[2:3], v[2:3], v[6:7]
	s_cbranch_scc0 .LBB39_11
.LBB39_12:
	v_cmp_neq_f32_e64 s[0:1], s6, 0
	v_cmp_neq_f32_e64 s[4:5], s7, 0
	s_or_b64 s[0:1], s[0:1], s[4:5]
	v_pk_mul_f32 v[6:7], v[2:3], s[12:13] op_sel:[1,1] op_sel_hi:[1,0]
	v_mul_lo_u32 v4, s3, v0
	s_andn2_b64 vcc, exec, s[0:1]
	v_pk_fma_f32 v[0:1], v[2:3], s[12:13], v[6:7] op_sel_hi:[0,1,1]
	v_ashrrev_i32_e32 v5, 31, v4
	s_cbranch_vccz .LBB39_14
; %bb.13:
	v_pk_mul_f32 v[8:9], v[2:3], s[12:13]
	s_nop 0
	v_sub_f32_e32 v0, v8, v6
	s_cbranch_execz .LBB39_15
	s_branch .LBB39_16
.LBB39_14:
.LBB39_15:
	v_lshl_add_u64 v[8:9], v[4:5], 3, s[10:11]
	flat_load_dwordx2 v[8:9], v[8:9]
	v_pk_fma_f32 v[2:3], v[2:3], s[12:13], v[6:7] neg_lo:[0,0,1] neg_hi:[0,0,1]
	s_waitcnt vmcnt(0) lgkmcnt(0)
	v_pk_mul_f32 v[6:7], v[8:9], s[6:7] op_sel:[1,1] op_sel_hi:[1,0]
	s_nop 0
	v_pk_fma_f32 v[10:11], v[8:9], s[6:7], v[6:7] neg_lo:[0,0,1] neg_hi:[0,0,1]
	v_pk_fma_f32 v[6:7], v[8:9], s[6:7], v[6:7] op_sel_hi:[0,1,1]
	v_mov_b32_e32 v11, v7
	v_mov_b32_e32 v3, v1
	v_pk_add_f32 v[0:1], v[2:3], v[10:11]
.LBB39_16:
	v_lshl_add_u64 v[2:3], v[4:5], 3, s[10:11]
	flat_store_dwordx2 v[2:3], v[0:1]
.LBB39_17:
	s_endpgm
	.section	.rodata,"a",@progbits
	.p2align	6, 0x0
	.amdhsa_kernel _ZL36rocblas_hemvn_kernel_upper_block_sumILi64Ei19rocblas_complex_numIfEPKPS1_S1_EviT1_lS5_lT2_lT0_lPT3_i
		.amdhsa_group_segment_fixed_size 0
		.amdhsa_private_segment_fixed_size 0
		.amdhsa_kernarg_size 344
		.amdhsa_user_sgpr_count 2
		.amdhsa_user_sgpr_dispatch_ptr 0
		.amdhsa_user_sgpr_queue_ptr 0
		.amdhsa_user_sgpr_kernarg_segment_ptr 1
		.amdhsa_user_sgpr_dispatch_id 0
		.amdhsa_user_sgpr_kernarg_preload_length 0
		.amdhsa_user_sgpr_kernarg_preload_offset 0
		.amdhsa_user_sgpr_private_segment_size 0
		.amdhsa_uses_dynamic_stack 0
		.amdhsa_enable_private_segment 0
		.amdhsa_system_sgpr_workgroup_id_x 1
		.amdhsa_system_sgpr_workgroup_id_y 0
		.amdhsa_system_sgpr_workgroup_id_z 1
		.amdhsa_system_sgpr_workgroup_info 0
		.amdhsa_system_vgpr_workitem_id 0
		.amdhsa_next_free_vgpr 12
		.amdhsa_next_free_sgpr 20
		.amdhsa_accum_offset 12
		.amdhsa_reserve_vcc 1
		.amdhsa_float_round_mode_32 0
		.amdhsa_float_round_mode_16_64 0
		.amdhsa_float_denorm_mode_32 3
		.amdhsa_float_denorm_mode_16_64 3
		.amdhsa_dx10_clamp 1
		.amdhsa_ieee_mode 1
		.amdhsa_fp16_overflow 0
		.amdhsa_tg_split 0
		.amdhsa_exception_fp_ieee_invalid_op 0
		.amdhsa_exception_fp_denorm_src 0
		.amdhsa_exception_fp_ieee_div_zero 0
		.amdhsa_exception_fp_ieee_overflow 0
		.amdhsa_exception_fp_ieee_underflow 0
		.amdhsa_exception_fp_ieee_inexact 0
		.amdhsa_exception_int_div_zero 0
	.end_amdhsa_kernel
	.section	.text._ZL36rocblas_hemvn_kernel_upper_block_sumILi64Ei19rocblas_complex_numIfEPKPS1_S1_EviT1_lS5_lT2_lT0_lPT3_i,"axG",@progbits,_ZL36rocblas_hemvn_kernel_upper_block_sumILi64Ei19rocblas_complex_numIfEPKPS1_S1_EviT1_lS5_lT2_lT0_lPT3_i,comdat
.Lfunc_end39:
	.size	_ZL36rocblas_hemvn_kernel_upper_block_sumILi64Ei19rocblas_complex_numIfEPKPS1_S1_EviT1_lS5_lT2_lT0_lPT3_i, .Lfunc_end39-_ZL36rocblas_hemvn_kernel_upper_block_sumILi64Ei19rocblas_complex_numIfEPKPS1_S1_EviT1_lS5_lT2_lT0_lPT3_i
                                        ; -- End function
	.set _ZL36rocblas_hemvn_kernel_upper_block_sumILi64Ei19rocblas_complex_numIfEPKPS1_S1_EviT1_lS5_lT2_lT0_lPT3_i.num_vgpr, 12
	.set _ZL36rocblas_hemvn_kernel_upper_block_sumILi64Ei19rocblas_complex_numIfEPKPS1_S1_EviT1_lS5_lT2_lT0_lPT3_i.num_agpr, 0
	.set _ZL36rocblas_hemvn_kernel_upper_block_sumILi64Ei19rocblas_complex_numIfEPKPS1_S1_EviT1_lS5_lT2_lT0_lPT3_i.numbered_sgpr, 20
	.set _ZL36rocblas_hemvn_kernel_upper_block_sumILi64Ei19rocblas_complex_numIfEPKPS1_S1_EviT1_lS5_lT2_lT0_lPT3_i.num_named_barrier, 0
	.set _ZL36rocblas_hemvn_kernel_upper_block_sumILi64Ei19rocblas_complex_numIfEPKPS1_S1_EviT1_lS5_lT2_lT0_lPT3_i.private_seg_size, 0
	.set _ZL36rocblas_hemvn_kernel_upper_block_sumILi64Ei19rocblas_complex_numIfEPKPS1_S1_EviT1_lS5_lT2_lT0_lPT3_i.uses_vcc, 1
	.set _ZL36rocblas_hemvn_kernel_upper_block_sumILi64Ei19rocblas_complex_numIfEPKPS1_S1_EviT1_lS5_lT2_lT0_lPT3_i.uses_flat_scratch, 0
	.set _ZL36rocblas_hemvn_kernel_upper_block_sumILi64Ei19rocblas_complex_numIfEPKPS1_S1_EviT1_lS5_lT2_lT0_lPT3_i.has_dyn_sized_stack, 0
	.set _ZL36rocblas_hemvn_kernel_upper_block_sumILi64Ei19rocblas_complex_numIfEPKPS1_S1_EviT1_lS5_lT2_lT0_lPT3_i.has_recursion, 0
	.set _ZL36rocblas_hemvn_kernel_upper_block_sumILi64Ei19rocblas_complex_numIfEPKPS1_S1_EviT1_lS5_lT2_lT0_lPT3_i.has_indirect_call, 0
	.section	.AMDGPU.csdata,"",@progbits
; Kernel info:
; codeLenInByte = 636
; TotalNumSgprs: 26
; NumVgprs: 12
; NumAgprs: 0
; TotalNumVgprs: 12
; ScratchSize: 0
; MemoryBound: 0
; FloatMode: 240
; IeeeMode: 1
; LDSByteSize: 0 bytes/workgroup (compile time only)
; SGPRBlocks: 3
; VGPRBlocks: 1
; NumSGPRsForWavesPerEU: 26
; NumVGPRsForWavesPerEU: 12
; AccumOffset: 12
; Occupancy: 8
; WaveLimiterHint : 1
; COMPUTE_PGM_RSRC2:SCRATCH_EN: 0
; COMPUTE_PGM_RSRC2:USER_SGPR: 2
; COMPUTE_PGM_RSRC2:TRAP_HANDLER: 0
; COMPUTE_PGM_RSRC2:TGID_X_EN: 1
; COMPUTE_PGM_RSRC2:TGID_Y_EN: 0
; COMPUTE_PGM_RSRC2:TGID_Z_EN: 1
; COMPUTE_PGM_RSRC2:TIDIG_COMP_CNT: 0
; COMPUTE_PGM_RSRC3_GFX90A:ACCUM_OFFSET: 2
; COMPUTE_PGM_RSRC3_GFX90A:TG_SPLIT: 0
	.section	.text._ZL26rocblas_hemvn_kernel_lowerILb1ELi64ELi4ELi33ELi32ELi16ElPK19rocblas_complex_numIfEPKS3_PS1_EviT6_lT7_lT5_lS8_lS9_lS7_lT8_i,"axG",@progbits,_ZL26rocblas_hemvn_kernel_lowerILb1ELi64ELi4ELi33ELi32ELi16ElPK19rocblas_complex_numIfEPKS3_PS1_EviT6_lT7_lT5_lS8_lS9_lS7_lT8_i,comdat
	.globl	_ZL26rocblas_hemvn_kernel_lowerILb1ELi64ELi4ELi33ELi32ELi16ElPK19rocblas_complex_numIfEPKS3_PS1_EviT6_lT7_lT5_lS8_lS9_lS7_lT8_i ; -- Begin function _ZL26rocblas_hemvn_kernel_lowerILb1ELi64ELi4ELi33ELi32ELi16ElPK19rocblas_complex_numIfEPKS3_PS1_EviT6_lT7_lT5_lS8_lS9_lS7_lT8_i
	.p2align	8
	.type	_ZL26rocblas_hemvn_kernel_lowerILb1ELi64ELi4ELi33ELi32ELi16ElPK19rocblas_complex_numIfEPKS3_PS1_EviT6_lT7_lT5_lS8_lS9_lS7_lT8_i,@function
_ZL26rocblas_hemvn_kernel_lowerILb1ELi64ELi4ELi33ELi32ELi16ElPK19rocblas_complex_numIfEPKS3_PS1_EviT6_lT7_lT5_lS8_lS9_lS7_lT8_i: ; @_ZL26rocblas_hemvn_kernel_lowerILb1ELi64ELi4ELi33ELi32ELi16ElPK19rocblas_complex_numIfEPKS3_PS1_EviT6_lT7_lT5_lS8_lS9_lS7_lT8_i
; %bb.0:
	s_load_dwordx2 s[4:5], s[0:1], 0x84
	s_add_u32 s12, s0, 0x78
	s_mov_b32 s24, s3
	s_addc_u32 s13, s1, 0
	s_waitcnt lgkmcnt(0)
	s_and_b32 s3, s5, 0xffff
	s_lshr_b32 s5, s4, 16
	s_and_b32 s4, s4, 0xffff
	s_mul_i32 s4, s5, s4
	s_mul_i32 s4, s4, s3
	s_cmpk_lg_i32 s4, 0x100
	s_cbranch_scc1 .LBB40_144
; %bb.1:
	s_load_dwordx8 s[4:11], s[0:1], 0x8
	s_mov_b32 s25, 0
	s_waitcnt lgkmcnt(0)
	s_mul_i32 s3, s7, s24
	s_mul_hi_u32 s7, s6, s24
	s_add_i32 s7, s7, s3
	s_mul_i32 s6, s6, s24
	s_lshl_b64 s[6:7], s[6:7], 3
	s_add_u32 s14, s4, s6
	s_addc_u32 s15, s5, s7
	s_load_dwordx2 s[16:17], s[14:15], 0x0
	s_load_dwordx2 s[28:29], s[0:1], 0x68
	s_load_dwordx4 s[4:7], s[0:1], 0x58
	s_mov_b64 s[14:15], -1
	s_waitcnt lgkmcnt(0)
	s_or_b32 s3, s16, s17
	s_bitset0_b32 s3, 31
	s_cmp_lg_u32 s3, 0
	s_cbranch_scc1 .LBB40_3
; %bb.2:
	s_mul_i32 s3, s7, s24
	s_mul_hi_u32 s7, s6, s24
	s_add_i32 s7, s7, s3
	s_mul_i32 s6, s6, s24
	s_lshl_b64 s[6:7], s[6:7], 3
	s_add_u32 s4, s4, s6
	s_addc_u32 s5, s5, s7
	s_load_dwordx2 s[6:7], s[4:5], 0x0
	s_mov_b64 s[14:15], 0
	s_waitcnt lgkmcnt(0)
	v_cmp_eq_f32_e64 s[4:5], s6, 1.0
	v_cmp_eq_f32_e64 s[6:7], s7, 0
	s_and_b64 s[4:5], s[4:5], s[6:7]
	s_andn2_b64 vcc, exec, s[4:5]
.LBB40_3:
	s_andn2_b64 vcc, exec, s[14:15]
	s_cbranch_vccnz .LBB40_144
; %bb.4:
	s_load_dword s3, s[12:13], 0x0
	s_load_dwordx4 s[4:7], s[0:1], 0x38
	s_load_dwordx2 s[20:21], s[0:1], 0x48
	s_lshl_b64 s[12:13], s[24:25], 3
	s_add_u32 s8, s8, s12
	s_addc_u32 s9, s9, s13
	s_waitcnt lgkmcnt(0)
	s_add_u32 s12, s4, s12
	s_addc_u32 s13, s5, s13
	s_load_dwordx2 s[14:15], s[12:13], 0x0
	s_load_dwordx2 s[22:23], s[0:1], 0x28
	s_load_dword s25, s[0:1], 0x0
	s_load_dwordx2 s[4:5], s[8:9], 0x0
	s_lshl_b64 s[0:1], s[6:7], 3
	s_waitcnt lgkmcnt(0)
	s_add_u32 s0, s14, s0
	s_addc_u32 s1, s15, s1
	s_ashr_i32 s33, s25, 31
	s_lshr_b32 s7, s33, 26
	s_add_i32 s7, s25, s7
	v_and_b32_e32 v77, 0x3ff, v0
	s_lshl_b32 s34, s2, 6
	s_andn2_b32 s7, s7, 63
	s_add_i32 s6, s3, -1
	s_sub_i32 s7, s25, s7
	v_add_u32_e32 v32, s34, v77
	s_cmp_eq_u32 s2, s6
	v_ashrrev_i32_e32 v33, 31, v32
	v_bfe_u32 v76, v0, 10, 10
	s_cselect_b32 s30, s7, 0
	v_mul_lo_u32 v2, s20, v33
	v_mul_lo_u32 v3, s21, v32
	v_mad_u64_u32 v[0:1], s[6:7], s20, v32, 0
	v_add3_u32 v1, v1, v2, v3
	v_lshl_add_u64 v[16:17], v[0:1], 3, s[0:1]
	v_cmp_ne_u32_e64 s[0:1], 0, v76
	v_cmp_eq_u32_e64 s[16:17], 0, v76
	s_and_saveexec_b64 s[6:7], s[16:17]
	s_cbranch_execz .LBB40_9
; %bb.5:
	s_cmp_lg_u32 s30, 0
	s_cselect_b64 s[8:9], -1, 0
	v_cmp_le_i32_e32 vcc, s30, v77
	v_mov_b32_e32 v0, 0x2380
	s_and_b64 s[8:9], s[8:9], vcc
	v_lshl_add_u32 v0, v77, 3, v0
	s_and_saveexec_b64 s[12:13], s[8:9]
	s_xor_b64 s[8:9], exec, s[12:13]
; %bb.6:
	v_mov_b32_e32 v2, 0
	v_mov_b32_e32 v3, v2
	ds_write_b64 v0, v[2:3]
                                        ; implicit-def: $vgpr0
; %bb.7:
	s_andn2_saveexec_b64 s[8:9], s[8:9]
	s_cbranch_execz .LBB40_9
; %bb.8:
	flat_load_dwordx2 v[2:3], v[16:17]
	s_waitcnt vmcnt(0) lgkmcnt(0)
	ds_write_b64 v0, v[2:3]
.LBB40_9:
	s_or_b64 exec, exec, s[6:7]
	s_lshl_b64 s[6:7], s[10:11], 3
	s_add_u32 s6, s4, s6
	s_addc_u32 s7, s5, s7
	s_ashr_i32 s35, s34, 31
	v_lshl_add_u32 v22, v76, 6, v77
	s_lshl_b64 s[4:5], s[34:35], 3
	v_and_b32_e32 v0, 31, v77
	v_lshrrev_b32_e32 v8, 5, v22
	s_add_u32 s4, s6, s4
	v_mov_b32_e32 v1, 0
	s_addc_u32 s5, s7, s5
	v_mad_u64_u32 v[18:19], s[6:7], s22, v8, v[0:1]
	v_mov_b32_e32 v2, v19
	v_mad_u64_u32 v[2:3], s[6:7], s23, v8, v[2:3]
	v_mov_b32_e32 v19, v2
	v_lshl_add_u64 v[2:3], v[18:19], 3, s[4:5]
	s_mul_hi_u32 s4, s22, s34
	s_mul_i32 s5, s22, s35
	s_add_i32 s4, s4, s5
	s_mul_i32 s5, s23, s34
	s_add_i32 s37, s4, s5
	s_cmp_lg_u32 s30, 0
	s_mul_i32 s36, s22, s34
	s_cselect_b64 s[38:39], -1, 0
	s_cmp_eq_u32 s30, 0
	v_lshl_add_u64 v[2:3], s[36:37], 3, v[2:3]
	s_cselect_b64 s[18:19], -1, 0
	s_mov_b64 s[4:5], -1
	s_and_b64 vcc, exec, s[38:39]
	s_cbranch_vccnz .LBB40_11
; %bb.10:
	s_lshl_b64 s[4:5], s[22:23], 6
	v_lshl_add_u64 v[4:5], v[2:3], 0, s[4:5]
	v_lshl_add_u64 v[6:7], v[4:5], 0, s[4:5]
	;; [unrolled: 1-line block ×3, first 2 shown]
	flat_load_dwordx2 v[12:13], v[2:3]
	flat_load_dwordx2 v[14:15], v[4:5]
	;; [unrolled: 1-line block ×4, first 2 shown]
	v_mul_u32_u24_e32 v1, 0x108, v8
	v_lshl_add_u32 v1, v0, 3, v1
	s_mov_b64 s[4:5], 0
	s_waitcnt vmcnt(0) lgkmcnt(0)
	ds_write_b64 v1, v[12:13]
	ds_write_b64 v1, v[14:15] offset:2112
	ds_write_b64 v1, v[20:21] offset:4224
	;; [unrolled: 1-line block ×3, first 2 shown]
.LBB40_11:
	s_andn2_b64 vcc, exec, s[4:5]
	s_cbranch_vccnz .LBB40_27
; %bb.12:
	v_lshlrev_b32_e32 v4, 3, v0
	v_sub_co_u32_e32 v6, vcc, v2, v4
	s_ashr_i32 s31, s30, 31
	s_nop 0
	v_subbrev_co_u32_e32 v7, vcc, 0, v3, vcc
	v_lshl_add_u64 v[6:7], s[30:31], 3, v[6:7]
	v_mov_b32_e32 v10, 0
	v_lshl_add_u64 v[6:7], v[6:7], 0, -8
	v_cmp_gt_i32_e32 vcc, s30, v0
	v_cmp_gt_i32_e64 s[4:5], s30, v8
	v_mov_b32_e32 v11, v10
	v_cndmask_b32_e32 v7, v7, v3, vcc
	v_cndmask_b32_e32 v6, v6, v2, vcc
	s_and_saveexec_b64 s[6:7], s[4:5]
	s_cbranch_execz .LBB40_14
; %bb.13:
	flat_load_dwordx2 v[10:11], v[6:7]
.LBB40_14:
	s_or_b64 exec, exec, s[6:7]
	v_lshlrev_b32_e32 v1, 3, v0
	s_movk_i32 s4, 0x108
	v_mad_u32_u24 v9, v8, s4, v1
	s_waitcnt vmcnt(0) lgkmcnt(0)
	ds_write_b64 v9, v[10:11]
	v_add_u32_e32 v9, 8, v8
	v_mul_u32_u24_e32 v5, 0x108, v8
	v_cmp_le_i32_e64 s[4:5], s30, v9
	s_and_saveexec_b64 s[6:7], s[4:5]
	s_xor_b64 s[4:5], exec, s[6:7]
; %bb.15:
	v_mov_b32_e32 v10, 0
	v_add_u32_e32 v9, v5, v1
	v_mov_b32_e32 v11, v10
	ds_write_b64 v9, v[10:11] offset:2112
; %bb.16:
	s_andn2_saveexec_b64 s[4:5], s[4:5]
	s_cbranch_execz .LBB40_18
; %bb.17:
	s_lshl_b64 s[6:7], s[22:23], 6
	v_lshl_add_u64 v[10:11], v[6:7], 0, s[6:7]
	flat_load_dwordx2 v[10:11], v[10:11]
	v_add_u32_e32 v9, v5, v1
	s_waitcnt vmcnt(0) lgkmcnt(0)
	ds_write_b64 v9, v[10:11] offset:2112
.LBB40_18:
	s_or_b64 exec, exec, s[4:5]
	v_add_u32_e32 v9, 16, v8
	v_cmp_le_i32_e64 s[4:5], s30, v9
	s_and_saveexec_b64 s[6:7], s[4:5]
	s_xor_b64 s[4:5], exec, s[6:7]
; %bb.19:
	v_mov_b32_e32 v10, 0
	v_add_u32_e32 v9, v5, v1
	v_mov_b32_e32 v11, v10
	ds_write_b64 v9, v[10:11] offset:4224
; %bb.20:
	s_andn2_saveexec_b64 s[4:5], s[4:5]
	s_cbranch_execz .LBB40_22
; %bb.21:
	s_lshl_b64 s[6:7], s[22:23], 7
	v_lshl_add_u64 v[10:11], v[6:7], 0, s[6:7]
	flat_load_dwordx2 v[10:11], v[10:11]
	v_add_u32_e32 v9, v5, v1
	s_waitcnt vmcnt(0) lgkmcnt(0)
	ds_write_b64 v9, v[10:11] offset:4224
.LBB40_22:
	s_or_b64 exec, exec, s[4:5]
	v_add_u32_e32 v9, 24, v8
	v_cmp_le_i32_e64 s[4:5], s30, v9
	s_and_saveexec_b64 s[6:7], s[4:5]
	s_xor_b64 s[4:5], exec, s[6:7]
; %bb.23:
	v_mov_b32_e32 v10, 0
	v_add_u32_e32 v1, v5, v1
	v_mov_b32_e32 v11, v10
	ds_write_b64 v1, v[10:11] offset:6336
                                        ; implicit-def: $vgpr5
                                        ; implicit-def: $vgpr1
; %bb.24:
	s_andn2_saveexec_b64 s[4:5], s[4:5]
	s_cbranch_execz .LBB40_26
; %bb.25:
	v_mov_b32_e32 v9, 0xc0
	v_mad_u64_u32 v[10:11], s[6:7], s22, v9, v[6:7]
	s_mul_i32 s6, s23, 0xc0
	s_nop 0
	v_add_u32_e32 v11, s6, v11
	flat_load_dwordx2 v[10:11], v[10:11]
	v_add_u32_e32 v1, v5, v1
	s_waitcnt vmcnt(0) lgkmcnt(0)
	ds_write_b64 v1, v[10:11] offset:6336
.LBB40_26:
	s_or_b64 exec, exec, s[4:5]
	v_mov_b32_e32 v5, 0
	v_lshl_add_u64 v[4:5], v[6:7], 0, v[4:5]
	s_lshl_b64 s[4:5], s[30:31], 3
	v_mov_b32_e32 v1, s5
	v_subrev_co_u32_e64 v4, s[4:5], s4, v4
	s_nop 1
	v_subb_co_u32_e64 v5, s[4:5], v5, v1, s[4:5]
	v_lshl_add_u64 v[4:5], v[4:5], 0, 8
	v_cndmask_b32_e32 v3, v5, v3, vcc
	v_cndmask_b32_e32 v2, v4, v2, vcc
.LBB40_27:
	v_lshlrev_b32_e32 v1, 2, v8
	v_lshlrev_b32_e32 v9, 3, v0
	v_mul_u32_u24_e32 v10, 0x108, v0
	v_cmp_ge_u32_e64 s[6:7], v1, v0
	s_mov_b64 s[4:5], 0
	s_waitcnt lgkmcnt(0)
	s_barrier
                                        ; implicit-def: $vgpr5
	s_and_saveexec_b64 s[8:9], s[6:7]
	s_xor_b64 s[8:9], exec, s[8:9]
	s_cbranch_execz .LBB40_31
; %bb.28:
	v_cmp_eq_u32_e32 vcc, v1, v0
                                        ; implicit-def: $vgpr5
	s_and_saveexec_b64 s[10:11], vcc
	s_xor_b64 s[10:11], exec, s[10:11]
; %bb.29:
	s_mov_b64 s[4:5], exec
	v_add_u32_e32 v5, v9, v10
; %bb.30:
	s_or_b64 exec, exec, s[10:11]
	s_and_b64 s[4:5], s[4:5], exec
.LBB40_31:
	s_or_saveexec_b64 s[8:9], s[8:9]
	v_lshl_or_b32 v4, v0, 8, v9
	v_mov_b32_e32 v6, 0
	s_xor_b64 exec, exec, s[8:9]
	s_cbranch_execz .LBB40_33
; %bb.32:
	s_movk_i32 s10, 0x420
	v_mad_u32_u24 v5, v8, s10, v9
	ds_read_b64 v[12:13], v5
	v_lshl_add_u32 v5, v1, 3, v4
	s_or_b64 s[4:5], s[4:5], exec
	s_waitcnt lgkmcnt(0)
	v_xor_b32_e32 v6, 0x80000000, v13
	ds_write_b32 v5, v12
.LBB40_33:
	s_or_b64 exec, exec, s[8:9]
	s_and_saveexec_b64 s[8:9], s[4:5]
; %bb.34:
	ds_write_b32 v5, v6 offset:4
; %bb.35:
	s_or_b64 exec, exec, s[8:9]
	v_or_b32_e32 v11, 1, v1
	v_cmp_ge_u32_e64 s[8:9], v11, v0
	s_mov_b64 s[4:5], 0
                                        ; implicit-def: $vgpr5
	s_and_saveexec_b64 s[10:11], s[8:9]
	s_xor_b64 s[10:11], exec, s[10:11]
	s_cbranch_execz .LBB40_105
; %bb.36:
	v_cmp_eq_u32_e32 vcc, v11, v0
                                        ; implicit-def: $vgpr5
	s_and_saveexec_b64 s[12:13], vcc
; %bb.37:
	s_mov_b64 s[4:5], exec
	v_add_u32_e32 v5, v9, v10
; %bb.38:
	s_or_b64 exec, exec, s[12:13]
	s_and_b64 s[4:5], s[4:5], exec
	s_or_saveexec_b64 s[10:11], s[10:11]
	v_mov_b32_e32 v6, 0
	s_xor_b64 exec, exec, s[10:11]
	s_cbranch_execnz .LBB40_106
.LBB40_39:
	s_or_b64 exec, exec, s[10:11]
	s_and_saveexec_b64 s[10:11], s[4:5]
.LBB40_40:
	ds_write_b32 v5, v6 offset:4
.LBB40_41:
	s_or_b64 exec, exec, s[10:11]
	v_or_b32_e32 v12, 2, v1
	v_cmp_ge_u32_e64 s[10:11], v12, v0
	s_mov_b64 s[4:5], 0
                                        ; implicit-def: $vgpr5
	s_and_saveexec_b64 s[12:13], s[10:11]
	s_xor_b64 s[12:13], exec, s[12:13]
	s_cbranch_execz .LBB40_107
; %bb.42:
	v_cmp_eq_u32_e32 vcc, v12, v0
                                        ; implicit-def: $vgpr5
	s_and_saveexec_b64 s[14:15], vcc
; %bb.43:
	s_mov_b64 s[4:5], exec
	v_add_u32_e32 v5, v9, v10
; %bb.44:
	s_or_b64 exec, exec, s[14:15]
	s_and_b64 s[4:5], s[4:5], exec
	s_or_saveexec_b64 s[12:13], s[12:13]
	v_mov_b32_e32 v6, 0
	s_xor_b64 exec, exec, s[12:13]
	s_cbranch_execnz .LBB40_108
.LBB40_45:
	s_or_b64 exec, exec, s[12:13]
	s_and_saveexec_b64 s[12:13], s[4:5]
.LBB40_46:
	ds_write_b32 v5, v6 offset:4
.LBB40_47:
	s_or_b64 exec, exec, s[12:13]
	v_or_b32_e32 v13, 3, v1
	v_cmp_ge_u32_e64 s[12:13], v13, v0
	s_mov_b64 s[4:5], 0
                                        ; implicit-def: $vgpr5
	s_and_saveexec_b64 s[14:15], s[12:13]
	s_xor_b64 s[14:15], exec, s[14:15]
	s_cbranch_execz .LBB40_109
; %bb.48:
	v_cmp_eq_u32_e32 vcc, v13, v0
                                        ; implicit-def: $vgpr5
	s_and_saveexec_b64 s[26:27], vcc
; %bb.49:
	s_mov_b64 s[4:5], exec
	v_add_u32_e32 v5, v9, v10
; %bb.50:
	s_or_b64 exec, exec, s[26:27]
	s_and_b64 s[4:5], s[4:5], exec
                                        ; implicit-def: $vgpr4
	s_or_saveexec_b64 s[14:15], s[14:15]
	v_mov_b32_e32 v6, 0
	s_xor_b64 exec, exec, s[14:15]
	s_cbranch_execnz .LBB40_110
.LBB40_51:
	s_or_b64 exec, exec, s[14:15]
	s_and_saveexec_b64 s[14:15], s[4:5]
.LBB40_52:
	ds_write_b32 v5, v6 offset:4
.LBB40_53:
	s_or_b64 exec, exec, s[14:15]
	s_movk_i32 s4, 0x420
	v_mad_u32_u24 v15, v8, s4, v9
	s_movk_i32 s4, 0x108
	v_mad_u32_u24 v25, v11, s4, v9
	s_waitcnt lgkmcnt(0)
	s_barrier
	v_lshlrev_b32_e32 v14, 3, v1
	ds_read2_b64 v[4:7], v25 offset1:33
	ds_read_b64 v[20:21], v15
	ds_read_b128 v[26:29], v14 offset:9088
	ds_read_b64 v[30:31], v25 offset:528
	ds_read_b128 v[36:39], v14 offset:9104
	v_mul_u32_u24_e32 v23, 33, v0
	v_lshlrev_b32_e32 v23, 3, v23
	v_lshl_add_u32 v24, v8, 3, v23
	s_waitcnt lgkmcnt(2)
	v_pk_mul_f32 v[34:35], v[26:27], v[20:21] op_sel:[1,1] op_sel_hi:[0,1]
	v_pk_fma_f32 v[40:41], v[26:27], v[20:21], v[34:35] neg_lo:[0,0,1] neg_hi:[0,0,1]
	v_pk_fma_f32 v[20:21], v[26:27], v[20:21], v[34:35] op_sel_hi:[1,0,1]
	v_pk_mul_f32 v[26:27], v[28:29], v[4:5] op_sel:[1,1] op_sel_hi:[0,1]
	v_mov_b32_e32 v41, v21
	v_pk_add_f32 v[20:21], v[40:41], 0 op_sel_hi:[1,0]
	v_pk_fma_f32 v[40:41], v[28:29], v[4:5], v[26:27] neg_lo:[0,0,1] neg_hi:[0,0,1]
	v_pk_fma_f32 v[4:5], v[28:29], v[4:5], v[26:27] op_sel_hi:[1,0,1]
	v_mov_b32_e32 v34, 0
	v_mov_b32_e32 v41, v5
	v_pk_add_f32 v[4:5], v[20:21], v[40:41]
	s_waitcnt lgkmcnt(0)
	v_pk_mul_f32 v[20:21], v[36:37], v[6:7] op_sel:[1,1] op_sel_hi:[0,1]
	v_pk_fma_f32 v[26:27], v[36:37], v[6:7], v[20:21] neg_lo:[0,0,1] neg_hi:[0,0,1]
	v_pk_fma_f32 v[6:7], v[36:37], v[6:7], v[20:21] op_sel_hi:[1,0,1]
	v_mov_b32_e32 v35, v34
	v_mov_b32_e32 v27, v7
	v_pk_mul_f32 v[6:7], v[38:39], v[30:31] op_sel:[1,1] op_sel_hi:[0,1]
	v_pk_fma_f32 v[20:21], v[38:39], v[30:31], v[6:7] neg_lo:[0,0,1] neg_hi:[0,0,1]
	v_pk_fma_f32 v[6:7], v[38:39], v[30:31], v[6:7] op_sel_hi:[1,0,1]
	v_pk_add_f32 v[4:5], v[4:5], v[26:27]
	v_mov_b32_e32 v21, v7
	v_pk_add_f32 v[4:5], v[4:5], v[20:21]
	v_cmp_gt_u32_e64 s[4:5], 32, v22
	s_barrier
	ds_write_b64 v24, v[4:5]
	s_waitcnt lgkmcnt(0)
	s_barrier
	s_and_saveexec_b64 s[14:15], s[4:5]
	s_cbranch_execz .LBB40_55
; %bb.54:
	ds_read2_b64 v[4:7], v23 offset1:7
	ds_read2_b64 v[26:29], v23 offset0:1 offset1:2
	ds_read2_b64 v[34:37], v23 offset0:3 offset1:4
	s_waitcnt lgkmcnt(1)
	v_add_f32_e32 v4, v26, v4
	v_add_f32_e32 v5, v27, v5
	;; [unrolled: 1-line block ×4, first 2 shown]
	ds_read2_b64 v[26:29], v23 offset0:5 offset1:6
	s_waitcnt lgkmcnt(1)
	v_add_f32_e32 v4, v4, v34
	v_add_f32_e32 v5, v5, v35
	;; [unrolled: 1-line block ×4, first 2 shown]
	s_waitcnt lgkmcnt(0)
	v_add_f32_e32 v4, v4, v26
	v_add_f32_e32 v5, v5, v27
	v_add_f32_e32 v4, v4, v28
	v_add_f32_e32 v5, v5, v29
	v_pk_add_f32 v[34:35], v[4:5], v[6:7]
.LBB40_55:
	s_or_b64 exec, exec, s[14:15]
	s_lshl_b64 s[26:27], s[22:23], 8
	v_lshl_add_u64 v[6:7], v[2:3], 0, s[26:27]
	v_cndmask_b32_e64 v2, 0, 1, s[18:19]
	s_mov_b64 s[40:41], 0x100
	v_cmp_ne_u32_e64 s[14:15], 1, v2
	s_andn2_b64 vcc, exec, s[18:19]
	s_mov_b64 s[18:19], -1
	s_barrier
	s_cbranch_vccnz .LBB40_57
; %bb.56:
	s_lshl_b64 s[18:19], s[22:23], 6
	v_lshl_add_u64 v[2:3], v[6:7], 0, s[18:19]
	v_lshl_add_u64 v[4:5], v[2:3], 0, s[18:19]
	;; [unrolled: 1-line block ×3, first 2 shown]
	flat_load_dwordx2 v[26:27], v[6:7] offset:256
	flat_load_dwordx2 v[28:29], v[2:3] offset:256
	;; [unrolled: 1-line block ×4, first 2 shown]
	s_movk_i32 s18, 0x108
	v_mad_u32_u24 v2, v8, s18, v9
	s_mov_b64 s[18:19], 0
	s_waitcnt vmcnt(0) lgkmcnt(0)
	ds_write_b64 v2, v[26:27]
	ds_write_b64 v2, v[28:29] offset:2112
	ds_write_b64 v2, v[30:31] offset:4224
	;; [unrolled: 1-line block ×3, first 2 shown]
.LBB40_57:
	s_andn2_b64 vcc, exec, s[18:19]
	v_lshl_add_u64 v[2:3], v[6:7], 0, s[40:41]
	s_cbranch_vccnz .LBB40_73
; %bb.58:
	v_lshlrev_b32_e32 v4, 3, v0
	v_sub_co_u32_e32 v6, vcc, v6, v4
	s_ashr_i32 s31, s30, 31
	s_nop 0
	v_subbrev_co_u32_e32 v7, vcc, 0, v7, vcc
	v_or_b32_e32 v5, 32, v0
	v_lshl_add_u64 v[6:7], s[30:31], 3, v[6:7]
	v_mov_b32_e32 v20, 0
	v_lshl_add_u64 v[6:7], v[6:7], 0, -8
	v_cmp_gt_i32_e32 vcc, s30, v5
	s_sub_i32 s42, s30, 32
	v_cmp_gt_i32_e64 s[18:19], s42, v8
	v_cndmask_b32_e32 v7, v7, v3, vcc
	v_cndmask_b32_e32 v6, v6, v2, vcc
	v_mov_b32_e32 v21, v20
	s_and_saveexec_b64 s[40:41], s[18:19]
	s_cbranch_execz .LBB40_60
; %bb.59:
	flat_load_dwordx2 v[20:21], v[6:7]
.LBB40_60:
	s_or_b64 exec, exec, s[40:41]
	s_movk_i32 s18, 0x108
	v_mad_u32_u24 v15, v8, s18, v9
	s_waitcnt vmcnt(0) lgkmcnt(0)
	ds_write_b64 v15, v[20:21]
	v_add_u32_e32 v15, 8, v8
	v_mul_u32_u24_e32 v5, 0x108, v8
	v_cmp_le_i32_e64 s[18:19], s42, v15
	s_and_saveexec_b64 s[40:41], s[18:19]
	s_xor_b64 s[18:19], exec, s[40:41]
; %bb.61:
	v_mov_b32_e32 v20, 0
	v_add_u32_e32 v15, v5, v9
	v_mov_b32_e32 v21, v20
	ds_write_b64 v15, v[20:21] offset:2112
; %bb.62:
	s_andn2_saveexec_b64 s[18:19], s[18:19]
	s_cbranch_execz .LBB40_64
; %bb.63:
	s_lshl_b64 s[40:41], s[22:23], 6
	v_lshl_add_u64 v[20:21], v[6:7], 0, s[40:41]
	flat_load_dwordx2 v[20:21], v[20:21]
	v_add_u32_e32 v15, v5, v9
	s_waitcnt vmcnt(0) lgkmcnt(0)
	ds_write_b64 v15, v[20:21] offset:2112
.LBB40_64:
	s_or_b64 exec, exec, s[18:19]
	v_add_u32_e32 v15, 16, v8
	v_cmp_le_i32_e64 s[18:19], s42, v15
	s_and_saveexec_b64 s[40:41], s[18:19]
	s_xor_b64 s[18:19], exec, s[40:41]
; %bb.65:
	v_mov_b32_e32 v20, 0
	v_add_u32_e32 v15, v5, v9
	v_mov_b32_e32 v21, v20
	ds_write_b64 v15, v[20:21] offset:4224
; %bb.66:
	s_andn2_saveexec_b64 s[18:19], s[18:19]
	s_cbranch_execz .LBB40_68
; %bb.67:
	s_lshl_b64 s[40:41], s[22:23], 7
	v_lshl_add_u64 v[20:21], v[6:7], 0, s[40:41]
	flat_load_dwordx2 v[20:21], v[20:21]
	v_add_u32_e32 v15, v5, v9
	s_waitcnt vmcnt(0) lgkmcnt(0)
	ds_write_b64 v15, v[20:21] offset:4224
.LBB40_68:
	s_or_b64 exec, exec, s[18:19]
	v_add_u32_e32 v15, 24, v8
	v_cmp_le_i32_e64 s[18:19], s42, v15
	s_and_saveexec_b64 s[40:41], s[18:19]
	s_xor_b64 s[18:19], exec, s[40:41]
; %bb.69:
	v_mov_b32_e32 v20, 0
	v_add_u32_e32 v5, v5, v9
	v_mov_b32_e32 v21, v20
	ds_write_b64 v5, v[20:21] offset:6336
                                        ; implicit-def: $vgpr5
; %bb.70:
	s_andn2_saveexec_b64 s[18:19], s[18:19]
	s_cbranch_execz .LBB40_72
; %bb.71:
	v_mov_b32_e32 v15, 0xc0
	v_mad_u64_u32 v[20:21], s[40:41], s22, v15, v[6:7]
	s_mul_i32 s40, s23, 0xc0
	s_nop 0
	v_add_u32_e32 v21, s40, v21
	flat_load_dwordx2 v[20:21], v[20:21]
	v_add_u32_e32 v5, v5, v9
	s_waitcnt vmcnt(0) lgkmcnt(0)
	ds_write_b64 v5, v[20:21] offset:6336
.LBB40_72:
	s_or_b64 exec, exec, s[18:19]
	v_mov_b32_e32 v5, 0
	v_lshl_add_u64 v[4:5], v[6:7], 0, v[4:5]
	s_lshl_b64 s[18:19], s[30:31], 3
	v_mov_b32_e32 v6, s19
	v_subrev_co_u32_e64 v4, s[18:19], s18, v4
	s_nop 1
	v_subb_co_u32_e64 v5, s[18:19], v5, v6, s[18:19]
	s_mov_b64 s[18:19], 0x108
	s_nop 0
	v_lshl_add_u64 v[4:5], v[4:5], 0, s[18:19]
	v_cndmask_b32_e32 v3, v5, v3, vcc
	v_cndmask_b32_e32 v2, v4, v2, vcc
.LBB40_73:
	v_mul_u32_u24_e32 v5, 0x420, v8
	v_add_u32_e32 v4, 0x2380, v14
	v_mul_u32_u24_e32 v6, 0x108, v11
	s_lshl_b64 s[18:19], s[22:23], 5
	s_mov_b64 s[40:41], 0
	s_waitcnt lgkmcnt(0)
	s_barrier
                                        ; implicit-def: $vgpr7
	s_and_saveexec_b64 s[42:43], s[6:7]
	s_xor_b64 s[6:7], exec, s[42:43]
	s_cbranch_execz .LBB40_77
; %bb.74:
	v_cmp_eq_u32_e32 vcc, v1, v0
                                        ; implicit-def: $vgpr7
	s_and_saveexec_b64 s[42:43], vcc
	s_xor_b64 s[42:43], exec, s[42:43]
; %bb.75:
	s_mov_b64 s[40:41], exec
	v_add_u32_e32 v7, v9, v10
; %bb.76:
	s_or_b64 exec, exec, s[42:43]
	s_and_b64 s[40:41], s[40:41], exec
.LBB40_77:
	s_or_saveexec_b64 s[6:7], s[6:7]
	v_mov_b32_e32 v14, 0
	v_add_u32_e32 v5, v9, v5
	s_xor_b64 exec, exec, s[6:7]
	s_cbranch_execz .LBB40_79
; %bb.78:
	ds_read_b64 v[20:21], v5
	v_lshl_add_u32 v7, v1, 3, v23
	s_or_b64 s[40:41], s[40:41], exec
	s_waitcnt lgkmcnt(0)
	v_xor_b32_e32 v14, 0x80000000, v21
	ds_write_b32 v7, v20
.LBB40_79:
	s_or_b64 exec, exec, s[6:7]
	s_and_saveexec_b64 s[6:7], s[40:41]
; %bb.80:
	ds_write_b32 v7, v14 offset:4
; %bb.81:
	s_or_b64 exec, exec, s[6:7]
	s_mov_b64 s[6:7], 0
                                        ; implicit-def: $vgpr7
	s_and_saveexec_b64 s[40:41], s[8:9]
	s_xor_b64 s[8:9], exec, s[40:41]
	s_cbranch_execz .LBB40_85
; %bb.82:
	v_cmp_eq_u32_e32 vcc, v11, v0
                                        ; implicit-def: $vgpr7
	s_and_saveexec_b64 s[40:41], vcc
; %bb.83:
	s_mov_b64 s[6:7], exec
	v_add_u32_e32 v7, v9, v10
; %bb.84:
	s_or_b64 exec, exec, s[40:41]
	s_and_b64 s[6:7], s[6:7], exec
.LBB40_85:
	s_or_saveexec_b64 s[8:9], s[8:9]
	v_mov_b32_e32 v11, 0
	v_add_u32_e32 v6, v9, v6
	s_xor_b64 exec, exec, s[8:9]
	s_cbranch_execz .LBB40_87
; %bb.86:
	ds_read_b64 v[14:15], v6
	v_lshl_add_u32 v20, v1, 3, v23
	v_add_u32_e32 v7, 8, v20
	s_or_b64 s[6:7], s[6:7], exec
	s_waitcnt lgkmcnt(0)
	v_xor_b32_e32 v11, 0x80000000, v15
	ds_write_b32 v20, v14 offset:8
.LBB40_87:
	s_or_b64 exec, exec, s[8:9]
	s_and_saveexec_b64 s[8:9], s[6:7]
; %bb.88:
	ds_write_b32 v7, v11 offset:4
; %bb.89:
	s_or_b64 exec, exec, s[8:9]
	s_mov_b64 s[6:7], 0
                                        ; implicit-def: $vgpr7
	s_and_saveexec_b64 s[8:9], s[10:11]
	s_xor_b64 s[8:9], exec, s[8:9]
	s_cbranch_execz .LBB40_111
; %bb.90:
	v_cmp_eq_u32_e32 vcc, v12, v0
                                        ; implicit-def: $vgpr7
	s_and_saveexec_b64 s[10:11], vcc
; %bb.91:
	s_mov_b64 s[6:7], exec
	v_add_u32_e32 v7, v9, v10
; %bb.92:
	s_or_b64 exec, exec, s[10:11]
	s_and_b64 s[6:7], s[6:7], exec
	s_or_saveexec_b64 s[8:9], s[8:9]
	v_mov_b32_e32 v11, 0
	s_xor_b64 exec, exec, s[8:9]
	s_cbranch_execnz .LBB40_112
.LBB40_93:
	s_or_b64 exec, exec, s[8:9]
	s_and_saveexec_b64 s[8:9], s[6:7]
.LBB40_94:
	ds_write_b32 v7, v11 offset:4
.LBB40_95:
	s_or_b64 exec, exec, s[8:9]
	s_mov_b64 s[6:7], 0
                                        ; implicit-def: $vgpr7
	s_and_saveexec_b64 s[8:9], s[12:13]
	s_xor_b64 s[8:9], exec, s[8:9]
	s_cbranch_execz .LBB40_113
; %bb.96:
	v_cmp_eq_u32_e32 vcc, v13, v0
                                        ; implicit-def: $vgpr7
	s_and_saveexec_b64 s[10:11], vcc
; %bb.97:
	s_mov_b64 s[6:7], exec
	v_add_u32_e32 v7, v9, v10
; %bb.98:
	s_or_b64 exec, exec, s[10:11]
	s_and_b64 s[6:7], s[6:7], exec
	s_or_saveexec_b64 s[8:9], s[8:9]
	v_mov_b32_e32 v10, 0
	s_xor_b64 exec, exec, s[8:9]
	s_cbranch_execnz .LBB40_114
.LBB40_99:
	s_or_b64 exec, exec, s[8:9]
	s_and_saveexec_b64 s[8:9], s[6:7]
.LBB40_100:
	ds_write_b32 v7, v10 offset:4
.LBB40_101:
	s_or_b64 exec, exec, s[8:9]
	s_waitcnt lgkmcnt(0)
	s_barrier
	ds_read_b64 v[14:15], v5
	ds_read_b128 v[10:13], v4 offset:256
	ds_read2_b64 v[26:29], v6 offset1:33
	ds_read_b64 v[6:7], v6 offset:528
	ds_read_b128 v[36:39], v4 offset:272
	v_cmp_eq_u32_e64 s[6:7], 1, v8
	s_waitcnt lgkmcnt(3)
	v_pk_mul_f32 v[20:21], v[10:11], v[14:15] op_sel:[1,1] op_sel_hi:[0,1]
	v_pk_fma_f32 v[30:31], v[10:11], v[14:15], v[20:21] neg_lo:[0,0,1] neg_hi:[0,0,1]
	v_pk_fma_f32 v[10:11], v[10:11], v[14:15], v[20:21] op_sel_hi:[1,0,1]
	s_waitcnt lgkmcnt(2)
	v_pk_mul_f32 v[14:15], v[12:13], v[26:27] op_sel:[1,1] op_sel_hi:[0,1]
	v_pk_fma_f32 v[20:21], v[12:13], v[26:27], v[14:15] neg_lo:[0,0,1] neg_hi:[0,0,1]
	v_pk_fma_f32 v[12:13], v[12:13], v[26:27], v[14:15] op_sel_hi:[1,0,1]
	v_mov_b32_e32 v31, v11
	v_mov_b32_e32 v21, v13
	s_waitcnt lgkmcnt(0)
	v_pk_mul_f32 v[12:13], v[36:37], v[28:29] op_sel:[1,1] op_sel_hi:[0,1]
	v_pk_add_f32 v[10:11], v[30:31], 0 op_sel_hi:[1,0]
	v_pk_fma_f32 v[14:15], v[36:37], v[28:29], v[12:13] neg_lo:[0,0,1] neg_hi:[0,0,1]
	v_pk_fma_f32 v[12:13], v[36:37], v[28:29], v[12:13] op_sel_hi:[1,0,1]
	v_pk_add_f32 v[10:11], v[10:11], v[20:21]
	v_mov_b32_e32 v15, v13
	v_pk_mul_f32 v[12:13], v[38:39], v[6:7] op_sel:[1,1] op_sel_hi:[0,1]
	v_pk_add_f32 v[10:11], v[10:11], v[14:15]
	v_pk_fma_f32 v[14:15], v[38:39], v[6:7], v[12:13] neg_lo:[0,0,1] neg_hi:[0,0,1]
	v_pk_fma_f32 v[6:7], v[38:39], v[6:7], v[12:13] op_sel_hi:[1,0,1]
	s_nop 0
	v_mov_b32_e32 v15, v7
	v_pk_add_f32 v[6:7], v[10:11], v[14:15]
	s_barrier
	ds_write_b64 v24, v[6:7]
	s_waitcnt lgkmcnt(0)
	s_barrier
	s_and_saveexec_b64 s[8:9], s[6:7]
	s_cbranch_execz .LBB40_103
; %bb.102:
	ds_read2_b64 v[10:13], v23 offset1:7
	ds_read2_b64 v[26:29], v23 offset0:1 offset1:2
	ds_read2_b64 v[34:37], v23 offset0:3 offset1:4
	s_waitcnt lgkmcnt(1)
	v_add_f32_e32 v5, v26, v10
	v_add_f32_e32 v6, v27, v11
	;; [unrolled: 1-line block ×4, first 2 shown]
	ds_read2_b64 v[26:29], v23 offset0:5 offset1:6
	s_waitcnt lgkmcnt(1)
	v_add_f32_e32 v5, v5, v34
	v_add_f32_e32 v6, v6, v35
	;; [unrolled: 1-line block ×4, first 2 shown]
	s_waitcnt lgkmcnt(0)
	v_add_f32_e32 v6, v5, v26
	v_add_f32_e32 v7, v7, v27
	v_pk_add_f32 v[6:7], v[6:7], v[28:29]
	s_nop 0
	v_pk_add_f32 v[34:35], v[6:7], v[12:13]
.LBB40_103:
	s_or_b64 exec, exec, s[8:9]
	s_lshl_b64 s[8:9], s[18:19], 3
	v_mov_b32_e32 v5, s9
	v_subrev_co_u32_e64 v20, s[8:9], s8, v2
	s_and_b64 vcc, exec, s[14:15]
	s_nop 0
	v_subb_co_u32_e64 v21, s[8:9], v3, v5, s[8:9]
	s_barrier
	s_cbranch_vccnz .LBB40_115
; %bb.104:
	s_lshl_b64 s[8:9], s[22:23], 6
	v_lshl_add_u64 v[2:3], v[20:21], 0, s[8:9]
	v_lshl_add_u64 v[6:7], v[2:3], 0, s[8:9]
	;; [unrolled: 1-line block ×3, first 2 shown]
	flat_load_dwordx2 v[12:13], v[20:21]
	flat_load_dwordx2 v[14:15], v[2:3]
	;; [unrolled: 1-line block ×4, first 2 shown]
	s_movk_i32 s8, 0x108
	v_mov_b32_e32 v2, 0x840
	v_mov_b32_e32 v3, 0x1080
	;; [unrolled: 1-line block ×3, first 2 shown]
	v_mul_u32_u24_e32 v5, 0x108, v8
	v_add_u32_e32 v6, 8, v8
	v_add_u32_e32 v7, 16, v8
	;; [unrolled: 1-line block ×3, first 2 shown]
	v_mad_u32_u24 v25, v8, s8, v9
	v_mad_u32_u24 v2, v8, s8, v2
	;; [unrolled: 1-line block ×4, first 2 shown]
	v_add_u32_e32 v30, v9, v2
	v_add_u32_e32 v31, v9, v3
	;; [unrolled: 1-line block ×3, first 2 shown]
	s_waitcnt vmcnt(0) lgkmcnt(0)
	ds_write_b64 v25, v[12:13]
	ds_write_b64 v30, v[14:15]
	;; [unrolled: 1-line block ×4, first 2 shown]
	s_cbranch_execz .LBB40_116
	s_branch .LBB40_131
.LBB40_105:
	s_or_saveexec_b64 s[10:11], s[10:11]
	v_mov_b32_e32 v6, 0
	s_xor_b64 exec, exec, s[10:11]
	s_cbranch_execz .LBB40_39
.LBB40_106:
	s_movk_i32 s12, 0x108
	v_mad_u32_u24 v5, v11, s12, v9
	ds_read_b64 v[12:13], v5
	v_lshl_add_u32 v7, v1, 3, v4
	v_add_u32_e32 v5, 8, v7
	s_or_b64 s[4:5], s[4:5], exec
	s_waitcnt lgkmcnt(0)
	v_xor_b32_e32 v6, 0x80000000, v13
	ds_write_b32 v7, v12 offset:8
	s_or_b64 exec, exec, s[10:11]
	s_and_saveexec_b64 s[10:11], s[4:5]
	s_cbranch_execnz .LBB40_40
	s_branch .LBB40_41
.LBB40_107:
	s_or_saveexec_b64 s[12:13], s[12:13]
	v_mov_b32_e32 v6, 0
	s_xor_b64 exec, exec, s[12:13]
	s_cbranch_execz .LBB40_45
.LBB40_108:
	s_movk_i32 s14, 0x108
	v_mad_u32_u24 v5, v12, s14, v9
	ds_read_b64 v[14:15], v5
	v_lshl_add_u32 v7, v1, 3, v4
	v_add_u32_e32 v5, 16, v7
	s_or_b64 s[4:5], s[4:5], exec
	s_waitcnt lgkmcnt(0)
	v_xor_b32_e32 v6, 0x80000000, v15
	ds_write_b32 v7, v14 offset:16
	s_or_b64 exec, exec, s[12:13]
	s_and_saveexec_b64 s[12:13], s[4:5]
	s_cbranch_execnz .LBB40_46
	s_branch .LBB40_47
.LBB40_109:
	s_or_saveexec_b64 s[14:15], s[14:15]
	v_mov_b32_e32 v6, 0
	s_xor_b64 exec, exec, s[14:15]
	s_cbranch_execz .LBB40_51
.LBB40_110:
	s_movk_i32 s26, 0x108
	v_mad_u32_u24 v5, v13, s26, v9
	ds_read_b64 v[14:15], v5
	v_lshl_add_u32 v4, v1, 3, v4
	v_add_u32_e32 v5, 24, v4
	s_or_b64 s[4:5], s[4:5], exec
	s_waitcnt lgkmcnt(0)
	v_xor_b32_e32 v6, 0x80000000, v15
	ds_write_b32 v4, v14 offset:24
	s_or_b64 exec, exec, s[14:15]
	s_and_saveexec_b64 s[14:15], s[4:5]
	s_cbranch_execnz .LBB40_52
	s_branch .LBB40_53
.LBB40_111:
	s_or_saveexec_b64 s[8:9], s[8:9]
	v_mov_b32_e32 v11, 0
	s_xor_b64 exec, exec, s[8:9]
	s_cbranch_execz .LBB40_93
.LBB40_112:
	ds_read_b64 v[14:15], v6 offset:264
	v_lshl_add_u32 v12, v1, 3, v23
	v_add_u32_e32 v7, 16, v12
	s_or_b64 s[6:7], s[6:7], exec
	s_waitcnt lgkmcnt(0)
	v_xor_b32_e32 v11, 0x80000000, v15
	ds_write_b32 v12, v14 offset:16
	s_or_b64 exec, exec, s[8:9]
	s_and_saveexec_b64 s[8:9], s[6:7]
	s_cbranch_execnz .LBB40_94
	s_branch .LBB40_95
.LBB40_113:
	s_or_saveexec_b64 s[8:9], s[8:9]
	v_mov_b32_e32 v10, 0
	s_xor_b64 exec, exec, s[8:9]
	s_cbranch_execz .LBB40_99
.LBB40_114:
	ds_read_b64 v[12:13], v6 offset:528
	v_lshl_add_u32 v11, v1, 3, v23
	v_add_u32_e32 v7, 24, v11
	s_or_b64 s[6:7], s[6:7], exec
	s_waitcnt lgkmcnt(0)
	v_xor_b32_e32 v10, 0x80000000, v13
	ds_write_b32 v11, v12 offset:24
	s_or_b64 exec, exec, s[8:9]
	s_and_saveexec_b64 s[8:9], s[6:7]
	s_cbranch_execnz .LBB40_100
	s_branch .LBB40_101
.LBB40_115:
                                        ; implicit-def: $vgpr5
                                        ; implicit-def: $vgpr6
                                        ; implicit-def: $vgpr2
                                        ; implicit-def: $vgpr7
                                        ; implicit-def: $vgpr3
                                        ; implicit-def: $vgpr10
                                        ; implicit-def: $vgpr11
.LBB40_116:
	v_or_b32_e32 v5, 32, v0
	v_lshlrev_b32_e32 v2, 3, v5
	v_sub_co_u32_e32 v2, vcc, v20, v2
	s_ashr_i32 s31, s30, 31
	s_nop 0
	v_subbrev_co_u32_e32 v3, vcc, 0, v21, vcc
	v_lshl_add_u64 v[2:3], s[30:31], 3, v[2:3]
	v_mov_b32_e32 v6, 0
	v_lshl_add_u64 v[2:3], v[2:3], 0, -8
	v_cmp_gt_i32_e32 vcc, s30, v5
	v_cmp_gt_i32_e64 s[8:9], s30, v8
	v_mov_b32_e32 v7, v6
	v_cndmask_b32_e32 v3, v3, v21, vcc
	v_cndmask_b32_e32 v2, v2, v20, vcc
	s_and_saveexec_b64 s[10:11], s[8:9]
	s_cbranch_execz .LBB40_118
; %bb.117:
	flat_load_dwordx2 v[6:7], v[2:3]
.LBB40_118:
	s_or_b64 exec, exec, s[10:11]
	s_movk_i32 s8, 0x108
	v_mad_u32_u24 v10, v8, s8, v9
	s_waitcnt vmcnt(0) lgkmcnt(0)
	ds_write_b64 v10, v[6:7]
	v_add_u32_e32 v6, 8, v8
	v_mul_u32_u24_e32 v5, 0x108, v8
	v_cmp_le_i32_e64 s[8:9], s30, v6
	s_and_saveexec_b64 s[10:11], s[8:9]
	s_xor_b64 s[8:9], exec, s[10:11]
; %bb.119:
	v_mov_b32_e32 v10, 0
	v_add_u32_e32 v7, v5, v9
	v_mov_b32_e32 v11, v10
	ds_write_b64 v7, v[10:11] offset:2112
; %bb.120:
	s_andn2_saveexec_b64 s[8:9], s[8:9]
	s_cbranch_execz .LBB40_122
; %bb.121:
	s_lshl_b64 s[10:11], s[22:23], 6
	v_lshl_add_u64 v[10:11], v[2:3], 0, s[10:11]
	flat_load_dwordx2 v[10:11], v[10:11]
	v_add_u32_e32 v7, v5, v9
	s_waitcnt vmcnt(0) lgkmcnt(0)
	ds_write_b64 v7, v[10:11] offset:2112
.LBB40_122:
	s_or_b64 exec, exec, s[8:9]
	v_add_u32_e32 v7, 16, v8
	v_cmp_le_i32_e64 s[8:9], s30, v7
	s_and_saveexec_b64 s[10:11], s[8:9]
	s_xor_b64 s[8:9], exec, s[10:11]
; %bb.123:
	v_mov_b32_e32 v12, 0
	v_add_u32_e32 v10, v5, v9
	v_mov_b32_e32 v13, v12
	ds_write_b64 v10, v[12:13] offset:4224
; %bb.124:
	s_andn2_saveexec_b64 s[8:9], s[8:9]
	s_cbranch_execz .LBB40_126
; %bb.125:
	s_lshl_b64 s[10:11], s[22:23], 7
	v_lshl_add_u64 v[10:11], v[2:3], 0, s[10:11]
	flat_load_dwordx2 v[10:11], v[10:11]
	v_add_u32_e32 v12, v5, v9
	s_waitcnt vmcnt(0) lgkmcnt(0)
	ds_write_b64 v12, v[10:11] offset:4224
.LBB40_126:
	s_or_b64 exec, exec, s[8:9]
	v_add_u32_e32 v10, 24, v8
	v_cmp_le_i32_e64 s[8:9], s30, v10
                                        ; implicit-def: $vgpr11
	s_and_saveexec_b64 s[10:11], s[8:9]
	s_xor_b64 s[8:9], exec, s[10:11]
; %bb.127:
	v_add_u32_e32 v11, 0x18c0, v5
	v_mov_b32_e32 v14, 0
	v_add_u32_e32 v12, v9, v11
	v_mov_b32_e32 v15, v14
	ds_write_b64 v12, v[14:15]
; %bb.128:
	s_andn2_saveexec_b64 s[8:9], s[8:9]
	s_cbranch_execz .LBB40_130
; %bb.129:
	v_mov_b32_e32 v11, 0xc0
	v_mad_u64_u32 v[12:13], s[10:11], s22, v11, v[2:3]
	s_mul_i32 s10, s23, 0xc0
	s_nop 0
	v_add_u32_e32 v13, s10, v13
	flat_load_dwordx2 v[12:13], v[12:13]
	v_add_u32_e32 v11, 0x18c0, v5
	v_add_u32_e32 v14, v9, v11
	s_waitcnt vmcnt(0) lgkmcnt(0)
	ds_write_b64 v14, v[12:13]
.LBB40_130:
	s_or_b64 exec, exec, s[8:9]
	v_lshlrev_b32_e32 v12, 3, v0
	v_mov_b32_e32 v13, 0
	v_lshl_add_u64 v[2:3], v[2:3], 0, v[12:13]
	s_lshl_b64 s[8:9], s[30:31], 3
	v_mov_b32_e32 v0, s9
	v_subrev_co_u32_e64 v2, s[8:9], s8, v2
	s_nop 1
	v_subb_co_u32_e64 v3, s[8:9], v3, v0, s[8:9]
	s_mov_b64 s[8:9], 0x108
	s_nop 0
	v_lshl_add_u64 v[2:3], v[2:3], 0, s[8:9]
	v_cndmask_b32_e32 v21, v3, v21, vcc
	v_cndmask_b32_e32 v20, v2, v20, vcc
	v_add_u32_e32 v2, 0x840, v5
	v_add_u32_e32 v3, 0x1080, v5
.LBB40_131:
	v_lshlrev_b32_e32 v36, 3, v8
	v_add_u32_e32 v28, v9, v2
	v_lshlrev_b32_e32 v30, 3, v6
	v_add_u32_e32 v38, v9, v3
	;; [unrolled: 2-line block ×3, first 2 shown]
	v_lshlrev_b32_e32 v42, 3, v10
	v_lshl_add_u32 v0, v1, 3, v23
	s_waitcnt lgkmcnt(0)
	s_barrier
	v_add_u32_e32 v25, v9, v5
	ds_read2_b64 v[8:11], v0 offset1:1
	ds_read2_b64 v[0:3], v0 offset0:2 offset1:3
	ds_read_b128 v[12:15], v4 offset:256
	ds_read_b128 v[4:7], v4 offset:272
	ds_read_b64 v[26:27], v25
	ds_read_b64 v[28:29], v28
	ds_read_b64 v[30:31], v30 offset:9088
	ds_read_b64 v[36:37], v36 offset:9088
	ds_read_b64 v[38:39], v38
	ds_read2_b32 v[40:41], v40 offset1:1
	ds_read_b64 v[42:43], v42 offset:9088
	ds_read_b64 v[44:45], v44 offset:9088
	s_waitcnt lgkmcnt(4)
	v_pk_mul_f32 v[46:47], v[36:37], v[26:27] op_sel:[1,1] op_sel_hi:[0,1]
	v_pk_fma_f32 v[48:49], v[36:37], v[26:27], v[46:47] neg_lo:[0,0,1] neg_hi:[0,0,1]
	v_pk_fma_f32 v[26:27], v[36:37], v[26:27], v[46:47] op_sel_hi:[1,0,1]
	v_pk_mul_f32 v[36:37], v[30:31], v[28:29] op_sel:[1,1] op_sel_hi:[0,1]
	v_pk_fma_f32 v[46:47], v[30:31], v[28:29], v[36:37] neg_lo:[0,0,1] neg_hi:[0,0,1]
	v_pk_fma_f32 v[28:29], v[30:31], v[28:29], v[36:37] op_sel_hi:[1,0,1]
	v_mov_b32_e32 v49, v27
	v_mov_b32_e32 v47, v29
	s_waitcnt lgkmcnt(0)
	v_pk_mul_f32 v[28:29], v[44:45], v[38:39] op_sel:[1,1] op_sel_hi:[0,1]
	v_pk_add_f32 v[26:27], v[48:49], 0 op_sel_hi:[1,0]
	v_pk_fma_f32 v[30:31], v[44:45], v[38:39], v[28:29] neg_lo:[0,0,1] neg_hi:[0,0,1]
	v_pk_fma_f32 v[28:29], v[44:45], v[38:39], v[28:29] op_sel_hi:[1,0,1]
	v_pk_add_f32 v[26:27], v[26:27], v[46:47]
	v_mov_b32_e32 v31, v29
	v_pk_mul_f32 v[28:29], v[42:43], v[40:41] op_sel:[1,1] op_sel_hi:[0,1]
	v_pk_add_f32 v[26:27], v[26:27], v[30:31]
	v_pk_fma_f32 v[30:31], v[42:43], v[40:41], v[28:29] neg_lo:[0,0,1] neg_hi:[0,0,1]
	v_pk_fma_f32 v[28:29], v[42:43], v[40:41], v[28:29] op_sel_hi:[1,0,1]
	s_nop 0
	v_mov_b32_e32 v31, v29
	v_pk_add_f32 v[26:27], v[26:27], v[30:31]
	s_barrier
	ds_write_b64 v24, v[26:27]
	s_waitcnt lgkmcnt(0)
	s_barrier
	s_and_saveexec_b64 s[8:9], s[6:7]
	s_cbranch_execz .LBB40_133
; %bb.132:
	ds_read2_b64 v[26:29], v23 offset1:1
	ds_read2_b64 v[36:39], v23 offset0:2 offset1:3
	ds_read2_b64 v[40:43], v23 offset0:4 offset1:5
	s_waitcnt lgkmcnt(2)
	v_pk_add_f32 v[26:27], v[34:35], v[26:27]
	s_nop 0
	v_pk_add_f32 v[30:31], v[26:27], v[28:29]
	ds_read2_b64 v[26:29], v23 offset0:6 offset1:7
	s_waitcnt lgkmcnt(2)
	v_pk_add_f32 v[30:31], v[30:31], v[36:37]
	s_nop 0
	v_pk_add_f32 v[30:31], v[30:31], v[38:39]
	s_waitcnt lgkmcnt(1)
	v_pk_add_f32 v[30:31], v[30:31], v[40:41]
	s_nop 0
	v_pk_add_f32 v[30:31], v[30:31], v[42:43]
	;; [unrolled: 4-line block ×3, first 2 shown]
.LBB40_133:
	s_or_b64 exec, exec, s[8:9]
	v_pk_mul_f32 v[26:27], v[8:9], v[12:13] op_sel:[1,1] op_sel_hi:[1,0]
	s_nop 0
	v_pk_fma_f32 v[28:29], v[8:9], v[12:13], v[26:27]
	v_pk_fma_f32 v[8:9], v[8:9], v[12:13], v[26:27] op_sel_hi:[0,1,1] neg_lo:[0,0,1] neg_hi:[0,0,1]
	v_mov_b32_e32 v12, v11
	v_pk_mul_f32 v[12:13], v[12:13], v[14:15] op_sel:[0,1] op_sel_hi:[0,0]
	v_pk_fma_f32 v[26:27], v[10:11], v[14:15], v[12:13]
	v_pk_fma_f32 v[10:11], v[10:11], v[14:15], v[12:13] op_sel_hi:[0,1,1] neg_lo:[0,0,1] neg_hi:[0,0,1]
	v_mov_b32_e32 v29, v9
	v_mov_b32_e32 v27, v11
	v_pk_mul_f32 v[10:11], v[0:1], v[4:5] op_sel:[1,1] op_sel_hi:[1,0]
	v_pk_add_f32 v[8:9], v[28:29], 0 op_sel_hi:[1,0]
	v_pk_fma_f32 v[12:13], v[0:1], v[4:5], v[10:11]
	v_pk_fma_f32 v[0:1], v[0:1], v[4:5], v[10:11] op_sel_hi:[0,1,1] neg_lo:[0,0,1] neg_hi:[0,0,1]
	v_mov_b32_e32 v4, v3
	v_pk_add_f32 v[8:9], v[8:9], v[26:27]
	v_mov_b32_e32 v13, v1
	v_pk_mul_f32 v[4:5], v[4:5], v[6:7] op_sel:[0,1] op_sel_hi:[0,0]
	v_pk_add_f32 v[0:1], v[8:9], v[12:13]
	v_pk_fma_f32 v[8:9], v[2:3], v[6:7], v[4:5]
	v_pk_fma_f32 v[2:3], v[2:3], v[6:7], v[4:5] op_sel_hi:[0,1,1] neg_lo:[0,0,1] neg_hi:[0,0,1]
	v_mov_b32_e32 v9, v3
	v_pk_add_f32 v[0:1], v[0:1], v[8:9]
	s_barrier
	ds_write_b64 v24, v[0:1]
	s_waitcnt lgkmcnt(0)
	s_barrier
	s_and_saveexec_b64 s[6:7], s[4:5]
	s_cbranch_execz .LBB40_135
; %bb.134:
	ds_read2_b64 v[0:3], v23 offset1:1
	ds_read2_b64 v[4:7], v23 offset0:2 offset1:3
	ds_read2_b64 v[8:11], v23 offset0:4 offset1:5
	s_waitcnt lgkmcnt(2)
	v_pk_add_f32 v[0:1], v[34:35], v[0:1]
	s_nop 0
	v_pk_add_f32 v[12:13], v[0:1], v[2:3]
	ds_read2_b64 v[0:3], v23 offset0:6 offset1:7
	s_waitcnt lgkmcnt(2)
	v_pk_add_f32 v[4:5], v[12:13], v[4:5]
	s_nop 0
	v_pk_add_f32 v[4:5], v[4:5], v[6:7]
	s_waitcnt lgkmcnt(1)
	v_pk_add_f32 v[4:5], v[4:5], v[8:9]
	s_nop 0
	v_pk_add_f32 v[4:5], v[4:5], v[10:11]
	s_waitcnt lgkmcnt(0)
	v_pk_add_f32 v[0:1], v[4:5], v[0:1]
	s_nop 0
	v_pk_add_f32 v[34:35], v[0:1], v[2:3]
.LBB40_135:
	s_or_b64 exec, exec, s[6:7]
	s_mul_hi_u32 s4, s25, s24
	s_mul_i32 s33, s33, s24
	s_add_i32 s4, s4, s33
	s_mul_i32 s6, s25, s24
	s_mul_i32 s4, s4, s3
	s_mul_hi_u32 s5, s6, s3
	s_add_i32 s5, s5, s4
	s_mul_i32 s4, s6, s3
	s_lshl_b64 s[4:5], s[4:5], 3
	s_add_u32 s3, s28, s4
	s_mul_i32 s4, s25, s2
	s_addc_u32 s7, s29, s5
	s_ashr_i32 s5, s4, 31
	s_lshl_b64 s[4:5], s[4:5], 3
	s_add_u32 s6, s3, s4
	v_cmp_le_i32_e32 vcc, s30, v77
	s_addc_u32 s7, s7, s5
	s_and_b64 vcc, s[38:39], vcc
	s_cmp_lt_i32 s2, 1
	v_lshlrev_b32_e32 v36, 3, v77
	s_barrier
	s_cbranch_scc1 .LBB40_142
; %bb.136:
	s_mul_i32 s3, s20, s35
	s_mul_hi_u32 s4, s20, s34
	s_add_i32 s3, s4, s3
	s_mul_i32 s4, s21, s34
	s_add_i32 s5, s3, s4
	s_mul_i32 s4, s20, s34
	s_lshl_b64 s[4:5], s[4:5], 3
	v_mov_b32_e32 v0, s5
	v_subrev_co_u32_e64 v38, s[4:5], s4, v16
	v_lshlrev_b64 v[2:3], 3, v[18:19]
	s_nop 0
	v_subb_co_u32_e64 v39, s[4:5], v17, v0, s[4:5]
	s_lshl_b64 s[4:5], s[36:37], 3
	s_nop 0
	v_mov_b32_e32 v1, s5
	v_subrev_co_u32_e64 v0, s[4:5], s4, v20
	v_lshlrev_b32_e32 v5, 2, v76
	s_nop 0
	v_subb_co_u32_e64 v1, s[4:5], v21, v1, s[4:5]
	s_movk_i32 s4, 0xff00
	s_mov_b32 s5, -1
	v_lshl_add_u64 v[0:1], v[0:1], 0, s[4:5]
	v_sub_co_u32_e64 v0, s[4:5], v0, v2
	s_ashr_i32 s31, s30, 31
	s_nop 0
	v_subb_co_u32_e64 v1, s[4:5], v1, v3, s[4:5]
	v_mad_u64_u32 v[2:3], s[4:5], s22, v5, 0
	v_mov_b32_e32 v4, v3
	v_mad_u64_u32 v[4:5], s[4:5], s23, v5, v[4:5]
	v_mov_b32_e32 v3, v4
	v_lshl_add_u64 v[0:1], v[2:3], 3, v[0:1]
	v_mov_b32_e32 v41, 0
	v_lshl_add_u64 v[2:3], s[30:31], 3, v[0:1]
	v_mov_b32_e32 v37, v41
	v_lshl_add_u64 v[2:3], v[2:3], 0, -8
	v_lshl_add_u64 v[0:1], v[0:1], 0, v[36:37]
	v_cndmask_b32_e32 v43, v1, v3, vcc
	s_movk_i32 s3, 0x860
	v_and_b32_e32 v1, 48, v77
	v_lshrrev_b32_e32 v6, 4, v22
	v_and_b32_e32 v7, 15, v77
	v_cndmask_b32_e32 v42, v0, v2, vcc
	v_mov_b32_e32 v0, 0x2180
	v_mad_u32_u24 v80, v76, s3, v36
	s_movk_i32 s3, 0x218
	v_lshlrev_b32_e32 v1, 3, v1
	v_lshl_add_u32 v78, v76, 5, v0
	v_lshlrev_b32_e32 v0, 5, v6
	v_mad_u32_u24 v82, v7, s3, v1
	v_or_b32_e32 v1, 0x78, v36
	v_mad_u32_u24 v81, v7, s3, v0
	v_mad_u32_u24 v83, v7, s3, v1
	s_mul_i32 s3, s23, 24
	s_mul_hi_u32 s14, s22, 24
	s_add_i32 s15, s14, s3
	s_mul_i32 s3, s23, 0x90
	s_mul_hi_u32 s18, s22, 0x90
	s_add_i32 s19, s18, s3
	;; [unrolled: 3-line block ×9, first 2 shown]
	s_mul_i32 s3, s23, 0x108
	s_mul_hi_u32 s33, s22, 0x108
	v_mul_i32_i24_e32 v0, 0xffffffe8, v6
	s_add_i32 s43, s33, s3
	s_mul_i32 s3, s23, 0x88
	s_mul_hi_u32 s33, s22, 0x88
	v_add_u32_e32 v37, 0x2180, v36
	v_add_u32_e32 v79, 0x2380, v36
	v_cmp_gt_u32_e64 s[4:5], 64, v22
	s_lshl_b64 s[8:9], s[22:23], 3
	s_lshl_b64 s[10:11], s[22:23], 9
	;; [unrolled: 1-line block ×3, first 2 shown]
	s_mul_i32 s14, s22, 24
	s_mul_i32 s18, s22, 0x90
	;; [unrolled: 1-line block ×10, first 2 shown]
	s_add_i32 s45, s33, s3
	s_mul_i32 s44, s22, 0x88
	s_lshl_b64 s[22:23], s[22:23], 7
	s_mov_b32 s3, 0
	v_add_u32_e32 v84, v81, v0
	s_branch .LBB40_138
.LBB40_137:                             ;   in Loop: Header=BB40_138 Depth=1
	s_or_b64 exec, exec, s[46:47]
	v_pk_mul_f32 v[86:87], v[50:51], v[4:5] op_sel:[1,1] op_sel_hi:[0,1]
	v_mov_b32_e32 v40, v7
	v_pk_fma_f32 v[94:95], v[50:51], v[4:5], v[86:87] neg_lo:[0,0,1] neg_hi:[0,0,1]
	v_pk_fma_f32 v[4:5], v[50:51], v[4:5], v[86:87] op_sel_hi:[1,0,1]
	v_pk_mul_f32 v[88:89], v[48:49], v[40:41] op_sel:[1,0] op_sel_hi:[0,0]
	v_mov_b32_e32 v95, v5
	v_pk_mul_f32 v[90:91], v[46:47], v[0:1] op_sel:[1,1] op_sel_hi:[0,1]
	v_pk_add_f32 v[4:5], v[34:35], v[94:95]
	v_pk_fma_f32 v[34:35], v[48:49], v[6:7], v[88:89] neg_lo:[0,0,1] neg_hi:[0,0,1]
	v_pk_fma_f32 v[6:7], v[48:49], v[6:7], v[88:89] op_sel_hi:[1,0,1]
	v_mov_b32_e32 v40, v3
	v_mov_b32_e32 v35, v7
	v_pk_fma_f32 v[6:7], v[46:47], v[0:1], v[90:91] neg_lo:[0,0,1] neg_hi:[0,0,1]
	v_pk_fma_f32 v[0:1], v[46:47], v[0:1], v[90:91] op_sel_hi:[1,0,1]
	v_pk_mul_f32 v[92:93], v[44:45], v[40:41] op_sel:[1,0] op_sel_hi:[0,0]
	v_pk_add_f32 v[4:5], v[4:5], v[34:35]
	v_mov_b32_e32 v7, v1
	v_pk_add_f32 v[0:1], v[4:5], v[6:7]
	v_pk_fma_f32 v[4:5], v[44:45], v[2:3], v[92:93] neg_lo:[0,0,1] neg_hi:[0,0,1]
	v_pk_fma_f32 v[2:3], v[44:45], v[2:3], v[92:93] op_sel_hi:[1,0,1]
	s_add_i32 s3, s3, 64
	v_mov_b32_e32 v5, v3
	v_pk_add_f32 v[0:1], v[0:1], v[4:5]
	v_pk_mul_f32 v[2:3], v[54:55], v[12:13] op_sel:[1,1] op_sel_hi:[0,1]
	v_mov_b32_e32 v4, v15
	v_pk_mul_f32 v[4:5], v[52:53], v[4:5] op_sel:[1,0] op_sel_hi:[0,0]
	v_pk_fma_f32 v[6:7], v[54:55], v[12:13], v[2:3] neg_lo:[0,0,1] neg_hi:[0,0,1]
	v_pk_fma_f32 v[2:3], v[54:55], v[12:13], v[2:3] op_sel_hi:[1,0,1]
	s_add_i32 s2, s2, -1
	v_mov_b32_e32 v7, v3
	v_pk_fma_f32 v[2:3], v[52:53], v[14:15], v[4:5] neg_lo:[0,0,1] neg_hi:[0,0,1]
	v_pk_fma_f32 v[4:5], v[52:53], v[14:15], v[4:5] op_sel_hi:[1,0,1]
	v_pk_add_f32 v[0:1], v[0:1], v[6:7]
	v_mov_b32_e32 v3, v5
	v_pk_add_f32 v[0:1], v[0:1], v[2:3]
	v_pk_mul_f32 v[2:3], v[56:57], v[8:9] op_sel:[1,1] op_sel_hi:[0,1]
	v_pk_fma_f32 v[4:5], v[56:57], v[8:9], v[2:3] neg_lo:[0,0,1] neg_hi:[0,0,1]
	v_pk_fma_f32 v[2:3], v[56:57], v[8:9], v[2:3] op_sel_hi:[1,0,1]
	v_mov_b32_e32 v8, v23
	v_mov_b32_e32 v2, v11
	;; [unrolled: 1-line block ×3, first 2 shown]
	v_pk_mul_f32 v[2:3], v[58:59], v[2:3] op_sel:[1,0] op_sel_hi:[0,0]
	v_pk_fma_f32 v[6:7], v[58:59], v[10:11], v[2:3] neg_lo:[0,0,1] neg_hi:[0,0,1]
	v_pk_fma_f32 v[2:3], v[58:59], v[10:11], v[2:3] op_sel_hi:[1,0,1]
	v_pk_add_f32 v[0:1], v[0:1], v[4:5]
	v_mov_b32_e32 v7, v3
	v_pk_mul_f32 v[2:3], v[66:67], v[16:17] op_sel:[1,1] op_sel_hi:[0,1]
	v_mov_b32_e32 v4, v19
	v_pk_mul_f32 v[4:5], v[64:65], v[4:5] op_sel:[1,0] op_sel_hi:[0,0]
	v_pk_fma_f32 v[10:11], v[66:67], v[16:17], v[2:3] neg_lo:[0,0,1] neg_hi:[0,0,1]
	v_pk_fma_f32 v[2:3], v[66:67], v[16:17], v[2:3] op_sel_hi:[1,0,1]
	v_pk_add_f32 v[0:1], v[0:1], v[6:7]
	v_mov_b32_e32 v11, v3
	v_pk_fma_f32 v[2:3], v[64:65], v[18:19], v[4:5] neg_lo:[0,0,1] neg_hi:[0,0,1]
	v_pk_fma_f32 v[4:5], v[64:65], v[18:19], v[4:5] op_sel_hi:[1,0,1]
	v_pk_mul_f32 v[6:7], v[62:63], v[20:21] op_sel:[1,1] op_sel_hi:[0,1]
	v_pk_add_f32 v[0:1], v[0:1], v[10:11]
	v_mov_b32_e32 v3, v5
	v_pk_add_f32 v[0:1], v[0:1], v[2:3]
	v_pk_fma_f32 v[2:3], v[62:63], v[20:21], v[6:7] neg_lo:[0,0,1] neg_hi:[0,0,1]
	v_pk_fma_f32 v[4:5], v[62:63], v[20:21], v[6:7] op_sel_hi:[1,0,1]
	v_pk_mul_f32 v[8:9], v[60:61], v[8:9] op_sel:[1,0] op_sel_hi:[0,0]
	v_mov_b32_e32 v3, v5
	v_pk_add_f32 v[0:1], v[0:1], v[2:3]
	v_pk_fma_f32 v[2:3], v[60:61], v[22:23], v[8:9] neg_lo:[0,0,1] neg_hi:[0,0,1]
	v_pk_fma_f32 v[4:5], v[60:61], v[22:23], v[8:9] op_sel_hi:[1,0,1]
	v_pk_mul_f32 v[6:7], v[70:71], v[28:29] op_sel:[1,1] op_sel_hi:[0,1]
	v_mov_b32_e32 v3, v5
	v_pk_add_f32 v[0:1], v[0:1], v[2:3]
	v_pk_mul_f32 v[2:3], v[74:75], v[24:25] op_sel:[1,1] op_sel_hi:[0,1]
	v_mov_b32_e32 v4, v27
	v_pk_mul_f32 v[4:5], v[72:73], v[4:5] op_sel:[1,0] op_sel_hi:[0,0]
	v_pk_fma_f32 v[10:11], v[74:75], v[24:25], v[2:3] neg_lo:[0,0,1] neg_hi:[0,0,1]
	v_pk_fma_f32 v[2:3], v[74:75], v[24:25], v[2:3] op_sel_hi:[1,0,1]
	v_mov_b32_e32 v8, v31
	v_mov_b32_e32 v11, v3
	v_pk_fma_f32 v[2:3], v[72:73], v[26:27], v[4:5] neg_lo:[0,0,1] neg_hi:[0,0,1]
	v_pk_fma_f32 v[4:5], v[72:73], v[26:27], v[4:5] op_sel_hi:[1,0,1]
	v_pk_mul_f32 v[8:9], v[68:69], v[8:9] op_sel:[1,0] op_sel_hi:[0,0]
	v_mov_b32_e32 v3, v5
	v_pk_fma_f32 v[4:5], v[70:71], v[28:29], v[6:7] neg_lo:[0,0,1] neg_hi:[0,0,1]
	v_pk_fma_f32 v[6:7], v[70:71], v[28:29], v[6:7] op_sel_hi:[1,0,1]
	v_pk_add_f32 v[0:1], v[0:1], v[10:11]
	v_mov_b32_e32 v5, v7
	v_pk_fma_f32 v[6:7], v[68:69], v[30:31], v[8:9] neg_lo:[0,0,1] neg_hi:[0,0,1]
	v_pk_fma_f32 v[8:9], v[68:69], v[30:31], v[8:9] op_sel_hi:[1,0,1]
	v_pk_add_f32 v[0:1], v[0:1], v[2:3]
	v_mov_b32_e32 v7, v9
	v_pk_add_f32 v[0:1], v[0:1], v[4:5]
	s_cmp_eq_u32 s2, 0
	v_pk_add_f32 v[34:35], v[0:1], v[6:7]
	v_lshl_add_u64 v[42:43], v[42:43], 0, s[10:11]
	s_barrier
	s_cbranch_scc1 .LBB40_142
.LBB40_138:                             ; =>This Inner Loop Header: Depth=1
	s_and_saveexec_b64 s[46:47], s[16:17]
	s_cbranch_execz .LBB40_140
; %bb.139:                              ;   in Loop: Header=BB40_138 Depth=1
	s_mul_i32 s33, s21, s3
	s_mul_hi_u32 s48, s20, s3
	s_add_i32 s49, s48, s33
	s_mul_i32 s48, s20, s3
	v_lshl_add_u64 v[0:1], s[48:49], 3, v[38:39]
	flat_load_dwordx2 v[0:1], v[0:1]
	s_waitcnt vmcnt(0) lgkmcnt(0)
	ds_write_b64 v37, v[0:1]
.LBB40_140:                             ;   in Loop: Header=BB40_138 Depth=1
	s_or_b64 exec, exec, s[46:47]
	v_lshl_add_u64 v[0:1], v[42:43], 0, s[8:9]
	s_waitcnt lgkmcnt(0)
	s_barrier
	flat_load_dwordx2 v[50:51], v[42:43]
	flat_load_dwordx2 v[48:49], v[0:1]
	v_lshl_add_u64 v[0:1], v[42:43], 0, s[12:13]
	flat_load_dwordx2 v[46:47], v[0:1]
	v_lshl_add_u64 v[0:1], v[42:43], 0, s[14:15]
	flat_load_dwordx2 v[44:45], v[0:1]
	ds_read_b64 v[8:9], v79
	ds_read_b128 v[4:7], v78
	ds_read_b128 v[0:3], v78 offset:16
	v_lshl_add_u64 v[10:11], v[42:43], 0, s[22:23]
	v_lshl_add_u64 v[70:71], v[42:43], 0, s[40:41]
	s_waitcnt vmcnt(0) lgkmcnt(0)
	v_mul_f32_e32 v12, v51, v9
	v_mul_f32_e32 v13, v51, v8
	;; [unrolled: 1-line block ×8, first 2 shown]
	v_fmac_f32_e32 v12, v50, v8
	v_fma_f32 v13, v50, v9, -v13
	v_fmac_f32_e32 v14, v48, v8
	v_fma_f32 v15, v48, v9, -v15
	v_fmac_f32_e32 v16, v46, v8
	v_fma_f32 v17, v46, v9, -v17
	v_fmac_f32_e32 v18, v44, v8
	v_fma_f32 v19, v44, v9, -v19
	v_lshl_add_u64 v[8:9], v[42:43], 0, s[44:45]
	ds_write2_b64 v80, v[12:13], v[14:15] offset1:67
	ds_write2_b64 v80, v[16:17], v[18:19] offset0:134 offset1:201
	s_waitcnt lgkmcnt(0)
	s_barrier
	ds_read2_b64 v[24:27], v81 offset1:1
	ds_read2_b64 v[28:31], v81 offset0:2 offset1:3
	s_waitcnt lgkmcnt(0)
	s_barrier
	flat_load_dwordx2 v[54:55], v[10:11]
	flat_load_dwordx2 v[52:53], v[8:9]
	v_lshl_add_u64 v[8:9], v[42:43], 0, s[18:19]
	flat_load_dwordx2 v[56:57], v[8:9]
	v_lshl_add_u64 v[8:9], v[42:43], 0, s[24:25]
	flat_load_dwordx2 v[58:59], v[8:9]
	ds_read_b64 v[16:17], v79
	v_lshl_add_u64 v[18:19], v[42:43], 0, s[26:27]
	ds_read_b128 v[12:15], v78 offset:128
	ds_read_b128 v[8:11], v78 offset:144
	v_pk_add_f32 v[24:25], v[24:25], 0 op_sel_hi:[1,0]
	s_waitcnt vmcnt(0) lgkmcnt(0)
	v_mul_f32_e32 v20, v55, v17
	v_mul_f32_e32 v21, v55, v16
	;; [unrolled: 1-line block ×8, first 2 shown]
	v_fma_f32 v21, v54, v17, -v21
	v_fmac_f32_e32 v20, v54, v16
	v_fmac_f32_e32 v22, v52, v16
	v_fma_f32 v23, v52, v17, -v23
	v_fmac_f32_e32 v60, v56, v16
	v_fma_f32 v61, v56, v17, -v40
	;; [unrolled: 2-line block ×3, first 2 shown]
	v_lshl_add_u64 v[16:17], v[42:43], 0, s[42:43]
	ds_write2_b64 v80, v[20:21], v[22:23] offset1:67
	ds_write2_b64 v80, v[60:61], v[62:63] offset0:134 offset1:201
	s_waitcnt lgkmcnt(0)
	s_barrier
	ds_read2_b64 v[86:89], v81 offset1:1
	ds_read2_b64 v[90:93], v81 offset0:2 offset1:3
	s_waitcnt lgkmcnt(0)
	s_barrier
	flat_load_dwordx2 v[66:67], v[18:19]
	flat_load_dwordx2 v[64:65], v[16:17]
	v_lshl_add_u64 v[16:17], v[42:43], 0, s[28:29]
	flat_load_dwordx2 v[62:63], v[16:17]
	v_lshl_add_u64 v[16:17], v[42:43], 0, s[30:31]
	flat_load_dwordx2 v[60:61], v[16:17]
	ds_read_b64 v[68:69], v79
	ds_read_b128 v[16:19], v78 offset:256
	ds_read_b128 v[20:23], v78 offset:272
	v_pk_add_f32 v[24:25], v[24:25], v[26:27]
	s_waitcnt vmcnt(0) lgkmcnt(0)
	v_mul_f32_e32 v72, v67, v69
	v_mul_f32_e32 v40, v67, v68
	v_mul_f32_e32 v74, v65, v69
	v_mul_f32_e32 v75, v65, v68
	v_mul_f32_e32 v94, v63, v69
	v_mul_f32_e32 v85, v63, v68
	v_mul_f32_e32 v97, v61, v68
	v_mul_f32_e32 v96, v61, v69
	v_fma_f32 v73, v66, v69, -v40
	v_fma_f32 v75, v64, v69, -v75
	;; [unrolled: 1-line block ×4, first 2 shown]
	v_fmac_f32_e32 v72, v66, v68
	v_fmac_f32_e32 v74, v64, v68
	;; [unrolled: 1-line block ×4, first 2 shown]
	v_lshl_add_u64 v[68:69], v[42:43], 0, s[38:39]
	ds_write2_b64 v80, v[72:73], v[74:75] offset1:67
	ds_write2_b64 v80, v[94:95], v[96:97] offset0:134 offset1:201
	s_waitcnt lgkmcnt(0)
	s_barrier
	ds_read2_b64 v[94:97], v81 offset1:1
	ds_read2_b64 v[98:101], v81 offset0:2 offset1:3
	s_waitcnt lgkmcnt(0)
	s_barrier
	flat_load_dwordx2 v[74:75], v[70:71]
	flat_load_dwordx2 v[72:73], v[68:69]
	v_lshl_add_u64 v[68:69], v[42:43], 0, s[34:35]
	flat_load_dwordx2 v[70:71], v[68:69]
	v_lshl_add_u64 v[68:69], v[42:43], 0, s[36:37]
	flat_load_dwordx2 v[68:69], v[68:69]
	v_pk_add_f32 v[24:25], v[24:25], v[28:29]
	s_nop 0
	v_pk_add_f32 v[102:103], v[24:25], v[30:31]
	v_pk_add_f32 v[24:25], v[86:87], 0 op_sel_hi:[1,0]
	s_nop 0
	v_pk_add_f32 v[24:25], v[24:25], v[88:89]
	v_pk_add_f32 v[88:89], v[94:95], 0 op_sel_hi:[1,0]
	v_pk_add_f32 v[24:25], v[24:25], v[90:91]
	v_pk_add_f32 v[88:89], v[88:89], v[96:97]
	;; [unrolled: 1-line block ×3, first 2 shown]
	ds_read_b64 v[86:87], v79
	ds_read_b128 v[24:27], v78 offset:384
	ds_read_b128 v[28:31], v78 offset:400
	v_pk_add_f32 v[88:89], v[88:89], v[98:99]
	s_waitcnt vmcnt(0) lgkmcnt(0)
	v_mul_f32_e32 v40, v75, v86
	v_pk_add_f32 v[94:95], v[88:89], v[100:101]
	v_mul_f32_e32 v88, v75, v87
	v_mul_f32_e32 v85, v73, v86
	v_mul_f32_e32 v90, v73, v87
	v_mul_f32_e32 v93, v71, v86
	v_mul_f32_e32 v92, v71, v87
	v_mul_f32_e32 v97, v69, v86
	v_mul_f32_e32 v96, v69, v87
	v_fma_f32 v89, v74, v87, -v40
	v_fma_f32 v91, v72, v87, -v85
	v_fmac_f32_e32 v88, v74, v86
	v_fmac_f32_e32 v90, v72, v86
	v_fma_f32 v93, v70, v87, -v93
	v_fmac_f32_e32 v92, v70, v86
	v_fma_f32 v97, v68, v87, -v97
	v_fmac_f32_e32 v96, v68, v86
	ds_write2_b64 v80, v[88:89], v[90:91] offset1:67
	ds_write2_b64 v80, v[92:93], v[96:97] offset0:134 offset1:201
	s_waitcnt lgkmcnt(0)
	s_barrier
	ds_read2_b64 v[86:89], v81 offset1:1
	ds_read2_b64 v[90:93], v81 offset0:2 offset1:3
	s_waitcnt lgkmcnt(0)
	s_barrier
	v_pk_add_f32 v[86:87], v[86:87], 0 op_sel_hi:[1,0]
	ds_write2_b64 v84, v[102:103], v[104:105] offset1:16
	v_pk_add_f32 v[86:87], v[86:87], v[88:89]
	s_nop 0
	v_pk_add_f32 v[86:87], v[86:87], v[90:91]
	s_nop 0
	v_pk_add_f32 v[86:87], v[86:87], v[92:93]
	ds_write2_b64 v84, v[94:95], v[86:87] offset0:32 offset1:48
	s_waitcnt lgkmcnt(0)
	s_barrier
	s_and_saveexec_b64 s[46:47], s[4:5]
	s_cbranch_execz .LBB40_137
; %bb.141:                              ;   in Loop: Header=BB40_138 Depth=1
	ds_read_b64 v[94:95], v82
	ds_read2_b64 v[86:89], v82 offset0:1 offset1:2
	ds_read2_b64 v[90:93], v82 offset0:3 offset1:4
	s_waitcnt lgkmcnt(1)
	v_add_f32_e32 v40, v86, v94
	v_add_f32_e32 v85, v87, v95
	;; [unrolled: 1-line block ×4, first 2 shown]
	ds_read2_b64 v[86:89], v82 offset0:5 offset1:6
	s_waitcnt lgkmcnt(1)
	v_add_f32_e32 v40, v40, v90
	v_add_f32_e32 v85, v85, v91
	;; [unrolled: 1-line block ×4, first 2 shown]
	ds_read2_b64 v[90:93], v82 offset0:7 offset1:8
	s_waitcnt lgkmcnt(1)
	v_pk_add_f32 v[86:87], v[94:95], v[86:87]
	ds_read2_b64 v[94:97], v82 offset0:9 offset1:10
	v_pk_add_f32 v[86:87], v[86:87], v[88:89]
	v_add_u32_e32 v40, s3, v77
	s_waitcnt lgkmcnt(1)
	v_pk_add_f32 v[86:87], v[86:87], v[90:91]
	v_lshl_add_u64 v[98:99], v[40:41], 3, s[6:7]
	v_pk_add_f32 v[90:91], v[86:87], v[92:93]
	ds_read2_b64 v[86:89], v82 offset0:11 offset1:12
	s_waitcnt lgkmcnt(1)
	v_pk_add_f32 v[94:95], v[90:91], v[94:95]
	ds_read2_b64 v[90:93], v82 offset0:13 offset1:14
	v_pk_add_f32 v[94:95], v[94:95], v[96:97]
	ds_read_b64 v[96:97], v83
	s_waitcnt lgkmcnt(2)
	v_pk_add_f32 v[86:87], v[94:95], v[86:87]
	s_nop 0
	v_pk_add_f32 v[86:87], v[86:87], v[88:89]
	s_waitcnt lgkmcnt(1)
	v_pk_add_f32 v[86:87], v[86:87], v[90:91]
	s_nop 0
	v_pk_add_f32 v[86:87], v[86:87], v[92:93]
	s_waitcnt lgkmcnt(0)
	v_pk_add_f32 v[86:87], v[86:87], v[96:97]
	global_store_dwordx2 v[98:99], v[86:87], off
	s_branch .LBB40_137
.LBB40_142:
	s_movk_i32 s2, 0x218
	v_mad_u32_u24 v0, v76, s2, v36
	s_nor_b64 s[0:1], s[0:1], vcc
	ds_write_b64 v0, v[34:35]
	s_waitcnt lgkmcnt(0)
	s_barrier
	s_and_saveexec_b64 s[2:3], s[0:1]
	s_cbranch_execz .LBB40_144
; %bb.143:
	ds_read2_b64 v[0:3], v36 offset1:67
	ds_read2_b64 v[4:7], v36 offset0:134 offset1:201
	v_lshl_add_u64 v[8:9], v[32:33], 3, s[6:7]
	s_waitcnt lgkmcnt(1)
	v_pk_add_f32 v[0:1], v[2:3], v[0:1]
	s_waitcnt lgkmcnt(0)
	v_pk_add_f32 v[0:1], v[4:5], v[0:1]
	s_nop 0
	v_pk_add_f32 v[0:1], v[0:1], v[6:7]
	global_store_dwordx2 v[8:9], v[0:1], off
.LBB40_144:
	s_endpgm
	.section	.rodata,"a",@progbits
	.p2align	6, 0x0
	.amdhsa_kernel _ZL26rocblas_hemvn_kernel_lowerILb1ELi64ELi4ELi33ELi32ELi16ElPK19rocblas_complex_numIfEPKS3_PS1_EviT6_lT7_lT5_lS8_lS9_lS7_lT8_i
		.amdhsa_group_segment_fixed_size 9600
		.amdhsa_private_segment_fixed_size 0
		.amdhsa_kernarg_size 376
		.amdhsa_user_sgpr_count 2
		.amdhsa_user_sgpr_dispatch_ptr 0
		.amdhsa_user_sgpr_queue_ptr 0
		.amdhsa_user_sgpr_kernarg_segment_ptr 1
		.amdhsa_user_sgpr_dispatch_id 0
		.amdhsa_user_sgpr_kernarg_preload_length 0
		.amdhsa_user_sgpr_kernarg_preload_offset 0
		.amdhsa_user_sgpr_private_segment_size 0
		.amdhsa_uses_dynamic_stack 0
		.amdhsa_enable_private_segment 0
		.amdhsa_system_sgpr_workgroup_id_x 1
		.amdhsa_system_sgpr_workgroup_id_y 0
		.amdhsa_system_sgpr_workgroup_id_z 1
		.amdhsa_system_sgpr_workgroup_info 0
		.amdhsa_system_vgpr_workitem_id 1
		.amdhsa_next_free_vgpr 106
		.amdhsa_next_free_sgpr 50
		.amdhsa_accum_offset 108
		.amdhsa_reserve_vcc 1
		.amdhsa_float_round_mode_32 0
		.amdhsa_float_round_mode_16_64 0
		.amdhsa_float_denorm_mode_32 3
		.amdhsa_float_denorm_mode_16_64 3
		.amdhsa_dx10_clamp 1
		.amdhsa_ieee_mode 1
		.amdhsa_fp16_overflow 0
		.amdhsa_tg_split 0
		.amdhsa_exception_fp_ieee_invalid_op 0
		.amdhsa_exception_fp_denorm_src 0
		.amdhsa_exception_fp_ieee_div_zero 0
		.amdhsa_exception_fp_ieee_overflow 0
		.amdhsa_exception_fp_ieee_underflow 0
		.amdhsa_exception_fp_ieee_inexact 0
		.amdhsa_exception_int_div_zero 0
	.end_amdhsa_kernel
	.section	.text._ZL26rocblas_hemvn_kernel_lowerILb1ELi64ELi4ELi33ELi32ELi16ElPK19rocblas_complex_numIfEPKS3_PS1_EviT6_lT7_lT5_lS8_lS9_lS7_lT8_i,"axG",@progbits,_ZL26rocblas_hemvn_kernel_lowerILb1ELi64ELi4ELi33ELi32ELi16ElPK19rocblas_complex_numIfEPKS3_PS1_EviT6_lT7_lT5_lS8_lS9_lS7_lT8_i,comdat
.Lfunc_end40:
	.size	_ZL26rocblas_hemvn_kernel_lowerILb1ELi64ELi4ELi33ELi32ELi16ElPK19rocblas_complex_numIfEPKS3_PS1_EviT6_lT7_lT5_lS8_lS9_lS7_lT8_i, .Lfunc_end40-_ZL26rocblas_hemvn_kernel_lowerILb1ELi64ELi4ELi33ELi32ELi16ElPK19rocblas_complex_numIfEPKS3_PS1_EviT6_lT7_lT5_lS8_lS9_lS7_lT8_i
                                        ; -- End function
	.set _ZL26rocblas_hemvn_kernel_lowerILb1ELi64ELi4ELi33ELi32ELi16ElPK19rocblas_complex_numIfEPKS3_PS1_EviT6_lT7_lT5_lS8_lS9_lS7_lT8_i.num_vgpr, 106
	.set _ZL26rocblas_hemvn_kernel_lowerILb1ELi64ELi4ELi33ELi32ELi16ElPK19rocblas_complex_numIfEPKS3_PS1_EviT6_lT7_lT5_lS8_lS9_lS7_lT8_i.num_agpr, 0
	.set _ZL26rocblas_hemvn_kernel_lowerILb1ELi64ELi4ELi33ELi32ELi16ElPK19rocblas_complex_numIfEPKS3_PS1_EviT6_lT7_lT5_lS8_lS9_lS7_lT8_i.numbered_sgpr, 50
	.set _ZL26rocblas_hemvn_kernel_lowerILb1ELi64ELi4ELi33ELi32ELi16ElPK19rocblas_complex_numIfEPKS3_PS1_EviT6_lT7_lT5_lS8_lS9_lS7_lT8_i.num_named_barrier, 0
	.set _ZL26rocblas_hemvn_kernel_lowerILb1ELi64ELi4ELi33ELi32ELi16ElPK19rocblas_complex_numIfEPKS3_PS1_EviT6_lT7_lT5_lS8_lS9_lS7_lT8_i.private_seg_size, 0
	.set _ZL26rocblas_hemvn_kernel_lowerILb1ELi64ELi4ELi33ELi32ELi16ElPK19rocblas_complex_numIfEPKS3_PS1_EviT6_lT7_lT5_lS8_lS9_lS7_lT8_i.uses_vcc, 1
	.set _ZL26rocblas_hemvn_kernel_lowerILb1ELi64ELi4ELi33ELi32ELi16ElPK19rocblas_complex_numIfEPKS3_PS1_EviT6_lT7_lT5_lS8_lS9_lS7_lT8_i.uses_flat_scratch, 0
	.set _ZL26rocblas_hemvn_kernel_lowerILb1ELi64ELi4ELi33ELi32ELi16ElPK19rocblas_complex_numIfEPKS3_PS1_EviT6_lT7_lT5_lS8_lS9_lS7_lT8_i.has_dyn_sized_stack, 0
	.set _ZL26rocblas_hemvn_kernel_lowerILb1ELi64ELi4ELi33ELi32ELi16ElPK19rocblas_complex_numIfEPKS3_PS1_EviT6_lT7_lT5_lS8_lS9_lS7_lT8_i.has_recursion, 0
	.set _ZL26rocblas_hemvn_kernel_lowerILb1ELi64ELi4ELi33ELi32ELi16ElPK19rocblas_complex_numIfEPKS3_PS1_EviT6_lT7_lT5_lS8_lS9_lS7_lT8_i.has_indirect_call, 0
	.section	.AMDGPU.csdata,"",@progbits
; Kernel info:
; codeLenInByte = 8328
; TotalNumSgprs: 56
; NumVgprs: 106
; NumAgprs: 0
; TotalNumVgprs: 106
; ScratchSize: 0
; MemoryBound: 1
; FloatMode: 240
; IeeeMode: 1
; LDSByteSize: 9600 bytes/workgroup (compile time only)
; SGPRBlocks: 6
; VGPRBlocks: 13
; NumSGPRsForWavesPerEU: 56
; NumVGPRsForWavesPerEU: 106
; AccumOffset: 108
; Occupancy: 4
; WaveLimiterHint : 1
; COMPUTE_PGM_RSRC2:SCRATCH_EN: 0
; COMPUTE_PGM_RSRC2:USER_SGPR: 2
; COMPUTE_PGM_RSRC2:TRAP_HANDLER: 0
; COMPUTE_PGM_RSRC2:TGID_X_EN: 1
; COMPUTE_PGM_RSRC2:TGID_Y_EN: 0
; COMPUTE_PGM_RSRC2:TGID_Z_EN: 1
; COMPUTE_PGM_RSRC2:TIDIG_COMP_CNT: 1
; COMPUTE_PGM_RSRC3_GFX90A:ACCUM_OFFSET: 26
; COMPUTE_PGM_RSRC3_GFX90A:TG_SPLIT: 0
	.section	.text._ZL36rocblas_hemvn_kernel_lower_block_sumILi64ElPK19rocblas_complex_numIfEPKPS1_S1_EviT1_lS7_lT2_lT0_lPT3_i,"axG",@progbits,_ZL36rocblas_hemvn_kernel_lower_block_sumILi64ElPK19rocblas_complex_numIfEPKPS1_S1_EviT1_lS7_lT2_lT0_lPT3_i,comdat
	.globl	_ZL36rocblas_hemvn_kernel_lower_block_sumILi64ElPK19rocblas_complex_numIfEPKPS1_S1_EviT1_lS7_lT2_lT0_lPT3_i ; -- Begin function _ZL36rocblas_hemvn_kernel_lower_block_sumILi64ElPK19rocblas_complex_numIfEPKPS1_S1_EviT1_lS7_lT2_lT0_lPT3_i
	.p2align	8
	.type	_ZL36rocblas_hemvn_kernel_lower_block_sumILi64ElPK19rocblas_complex_numIfEPKPS1_S1_EviT1_lS7_lT2_lT0_lPT3_i,@function
_ZL36rocblas_hemvn_kernel_lower_block_sumILi64ElPK19rocblas_complex_numIfEPKPS1_S1_EviT1_lS7_lT2_lT0_lPT3_i: ; @_ZL36rocblas_hemvn_kernel_lower_block_sumILi64ElPK19rocblas_complex_numIfEPKPS1_S1_EviT1_lS7_lT2_lT0_lPT3_i
; %bb.0:
	s_load_dwordx8 s[16:23], s[0:1], 0x8
	s_mov_b32 s14, s3
	s_mov_b32 s15, 0
	s_waitcnt lgkmcnt(0)
	s_mul_i32 s3, s19, s3
	s_mul_hi_u32 s4, s18, s14
	s_add_i32 s5, s4, s3
	s_mul_i32 s4, s18, s14
	s_lshl_b64 s[4:5], s[4:5], 3
	s_add_u32 s4, s16, s4
	s_mul_i32 s3, s23, s14
	s_mul_hi_u32 s6, s22, s14
	s_addc_u32 s5, s17, s5
	s_add_i32 s7, s6, s3
	s_mul_i32 s6, s22, s14
	s_load_dwordx2 s[8:9], s[4:5], 0x0
	s_lshl_b64 s[4:5], s[6:7], 3
	s_add_u32 s4, s20, s4
	s_addc_u32 s5, s21, s5
	s_load_dwordx2 s[10:11], s[4:5], 0x0
	s_waitcnt lgkmcnt(0)
	s_or_b32 s3, s8, s9
	s_bitset0_b32 s3, 31
	s_cmp_eq_u32 s3, 0
	s_cselect_b64 s[18:19], -1, 0
	v_cmp_eq_f32_e64 s[4:5], s10, 1.0
	v_cmp_eq_f32_e64 s[6:7], s11, 0
	s_and_b64 s[4:5], s[4:5], s[6:7]
	s_and_b64 s[4:5], s[18:19], s[4:5]
	s_and_b64 vcc, exec, s[4:5]
	s_cbranch_vccnz .LBB41_17
; %bb.1:
	s_load_dwordx2 s[12:13], s[0:1], 0x28
	s_load_dword s16, s[0:1], 0x0
	s_load_dwordx4 s[4:7], s[0:1], 0x30
	s_lshl_b64 s[20:21], s[14:15], 3
	v_lshl_or_b32 v8, s2, 6, v0
	s_waitcnt lgkmcnt(0)
	s_add_u32 s12, s12, s20
	s_addc_u32 s13, s13, s21
	s_load_dwordx2 s[12:13], s[12:13], 0x0
	s_lshl_b64 s[4:5], s[4:5], 3
	s_mov_b64 s[20:21], -1
	s_waitcnt lgkmcnt(0)
	s_add_u32 s12, s12, s4
	s_addc_u32 s13, s13, s5
	s_andn2_b64 vcc, exec, s[18:19]
	v_cmp_gt_i32_e64 s[4:5], s16, v8
	s_cbranch_vccnz .LBB41_7
; %bb.2:
	s_and_saveexec_b64 s[18:19], s[4:5]
	s_cbranch_execz .LBB41_6
; %bb.3:
	v_ashrrev_i32_e32 v0, 31, v8
	v_cmp_neq_f32_e64 s[4:5], s10, 0
	v_cmp_neq_f32_e64 s[20:21], s11, 0
	v_mul_lo_u32 v1, s7, v8
	v_mul_lo_u32 v0, s6, v0
	v_mad_u64_u32 v[2:3], s[22:23], s6, v8, 0
	v_add3_u32 v3, v3, v0, v1
	s_or_b64 s[4:5], s[4:5], s[20:21]
	v_mov_b32_e32 v0, 0
	s_andn2_b64 vcc, exec, s[4:5]
	v_lshl_add_u64 v[2:3], v[2:3], 3, s[12:13]
	v_mov_b32_e32 v1, 0
	s_cbranch_vccnz .LBB41_5
; %bb.4:
	flat_load_dwordx2 v[4:5], v[2:3]
	s_waitcnt vmcnt(0) lgkmcnt(0)
	v_pk_mul_f32 v[6:7], v[4:5], s[10:11] op_sel:[1,1] op_sel_hi:[1,0]
	s_nop 0
	v_pk_fma_f32 v[0:1], v[4:5], s[10:11], v[6:7] neg_lo:[0,0,1] neg_hi:[0,0,1]
	v_pk_fma_f32 v[4:5], v[4:5], s[10:11], v[6:7] op_sel_hi:[0,1,1]
	v_mov_b32_e32 v1, v5
.LBB41_5:
	flat_store_dwordx2 v[2:3], v[0:1]
.LBB41_6:
	s_or_b64 exec, exec, s[18:19]
	s_mov_b64 s[20:21], 0
.LBB41_7:
	s_andn2_b64 vcc, exec, s[20:21]
	s_cbranch_vccnz .LBB41_17
; %bb.8:
	v_cmp_gt_i32_e32 vcc, s16, v8
	s_and_saveexec_b64 s[4:5], vcc
	s_cbranch_execz .LBB41_17
; %bb.9:
	s_load_dword s3, s[0:1], 0x58
	v_mov_b32_e32 v1, 0
	v_mov_b32_e32 v0, v1
	s_waitcnt lgkmcnt(0)
	s_cmp_ge_i32 s2, s3
	s_cbranch_scc1 .LBB41_12
; %bb.10:
	s_ashr_i32 s17, s16, 31
	s_mul_i32 s4, s16, s2
	s_load_dwordx2 s[0:1], s[0:1], 0x48
	v_add_u32_e32 v0, s4, v8
	s_mul_hi_u32 s4, s16, s14
	s_mul_i32 s5, s17, s14
	s_add_i32 s4, s4, s5
	s_mul_i32 s14, s16, s14
	s_mul_i32 s4, s4, s3
	s_mul_hi_u32 s5, s14, s3
	s_add_i32 s5, s5, s4
	s_mul_i32 s4, s14, s3
	s_lshl_b64 s[4:5], s[4:5], 3
	s_waitcnt lgkmcnt(0)
	s_add_u32 s0, s0, s4
	v_ashrrev_i32_e32 v1, 31, v0
	s_addc_u32 s1, s1, s5
	v_lshl_add_u64 v[2:3], v[0:1], 3, s[0:1]
	v_mov_b32_e32 v0, 0
	s_lshl_b64 s[0:1], s[16:17], 3
	v_mov_b32_e32 v1, v0
.LBB41_11:                              ; =>This Inner Loop Header: Depth=1
	global_load_dwordx2 v[4:5], v[2:3], off
	s_add_i32 s2, s2, 1
	v_lshl_add_u64 v[2:3], v[2:3], 0, s[0:1]
	s_cmp_ge_i32 s2, s3
	s_waitcnt vmcnt(0)
	v_pk_add_f32 v[0:1], v[0:1], v[4:5]
	s_cbranch_scc0 .LBB41_11
.LBB41_12:
	v_cmp_neq_f32_e64 s[0:1], s10, 0
	v_cmp_neq_f32_e64 s[2:3], s11, 0
	s_or_b64 s[0:1], s[0:1], s[2:3]
	v_pk_mul_f32 v[6:7], v[0:1], s[8:9] op_sel:[1,1] op_sel_hi:[1,0]
	v_ashrrev_i32_e32 v4, 31, v8
	s_andn2_b64 vcc, exec, s[0:1]
	v_pk_fma_f32 v[2:3], v[0:1], s[8:9], v[6:7] op_sel_hi:[0,1,1]
	v_mul_lo_u32 v9, s7, v8
	v_mul_lo_u32 v10, s6, v4
	s_cbranch_vccz .LBB41_14
; %bb.13:
	v_pk_mul_f32 v[12:13], v[0:1], s[8:9]
	v_mad_u64_u32 v[4:5], s[0:1], s6, v8, 0
	v_add3_u32 v5, v5, v10, v9
	v_sub_f32_e32 v2, v12, v6
	s_cbranch_execz .LBB41_15
	s_branch .LBB41_16
.LBB41_14:
                                        ; implicit-def: $vgpr4_vgpr5
.LBB41_15:
	v_mad_u64_u32 v[4:5], s[0:1], s6, v8, 0
	v_add3_u32 v5, v5, v10, v9
	v_lshl_add_u64 v[8:9], v[4:5], 3, s[12:13]
	flat_load_dwordx2 v[8:9], v[8:9]
	v_pk_fma_f32 v[0:1], v[0:1], s[8:9], v[6:7] neg_lo:[0,0,1] neg_hi:[0,0,1]
	s_waitcnt vmcnt(0) lgkmcnt(0)
	v_pk_mul_f32 v[6:7], v[8:9], s[10:11] op_sel:[1,1] op_sel_hi:[1,0]
	s_nop 0
	v_pk_fma_f32 v[10:11], v[8:9], s[10:11], v[6:7] neg_lo:[0,0,1] neg_hi:[0,0,1]
	v_pk_fma_f32 v[6:7], v[8:9], s[10:11], v[6:7] op_sel_hi:[0,1,1]
	v_mov_b32_e32 v11, v7
	v_mov_b32_e32 v1, v3
	v_pk_add_f32 v[2:3], v[0:1], v[10:11]
.LBB41_16:
	v_lshl_add_u64 v[0:1], v[4:5], 3, s[12:13]
	flat_store_dwordx2 v[0:1], v[2:3]
.LBB41_17:
	s_endpgm
	.section	.rodata,"a",@progbits
	.p2align	6, 0x0
	.amdhsa_kernel _ZL36rocblas_hemvn_kernel_lower_block_sumILi64ElPK19rocblas_complex_numIfEPKPS1_S1_EviT1_lS7_lT2_lT0_lPT3_i
		.amdhsa_group_segment_fixed_size 0
		.amdhsa_private_segment_fixed_size 0
		.amdhsa_kernarg_size 344
		.amdhsa_user_sgpr_count 2
		.amdhsa_user_sgpr_dispatch_ptr 0
		.amdhsa_user_sgpr_queue_ptr 0
		.amdhsa_user_sgpr_kernarg_segment_ptr 1
		.amdhsa_user_sgpr_dispatch_id 0
		.amdhsa_user_sgpr_kernarg_preload_length 0
		.amdhsa_user_sgpr_kernarg_preload_offset 0
		.amdhsa_user_sgpr_private_segment_size 0
		.amdhsa_uses_dynamic_stack 0
		.amdhsa_enable_private_segment 0
		.amdhsa_system_sgpr_workgroup_id_x 1
		.amdhsa_system_sgpr_workgroup_id_y 0
		.amdhsa_system_sgpr_workgroup_id_z 1
		.amdhsa_system_sgpr_workgroup_info 0
		.amdhsa_system_vgpr_workitem_id 0
		.amdhsa_next_free_vgpr 14
		.amdhsa_next_free_sgpr 24
		.amdhsa_accum_offset 16
		.amdhsa_reserve_vcc 1
		.amdhsa_float_round_mode_32 0
		.amdhsa_float_round_mode_16_64 0
		.amdhsa_float_denorm_mode_32 3
		.amdhsa_float_denorm_mode_16_64 3
		.amdhsa_dx10_clamp 1
		.amdhsa_ieee_mode 1
		.amdhsa_fp16_overflow 0
		.amdhsa_tg_split 0
		.amdhsa_exception_fp_ieee_invalid_op 0
		.amdhsa_exception_fp_denorm_src 0
		.amdhsa_exception_fp_ieee_div_zero 0
		.amdhsa_exception_fp_ieee_overflow 0
		.amdhsa_exception_fp_ieee_underflow 0
		.amdhsa_exception_fp_ieee_inexact 0
		.amdhsa_exception_int_div_zero 0
	.end_amdhsa_kernel
	.section	.text._ZL36rocblas_hemvn_kernel_lower_block_sumILi64ElPK19rocblas_complex_numIfEPKPS1_S1_EviT1_lS7_lT2_lT0_lPT3_i,"axG",@progbits,_ZL36rocblas_hemvn_kernel_lower_block_sumILi64ElPK19rocblas_complex_numIfEPKPS1_S1_EviT1_lS7_lT2_lT0_lPT3_i,comdat
.Lfunc_end41:
	.size	_ZL36rocblas_hemvn_kernel_lower_block_sumILi64ElPK19rocblas_complex_numIfEPKPS1_S1_EviT1_lS7_lT2_lT0_lPT3_i, .Lfunc_end41-_ZL36rocblas_hemvn_kernel_lower_block_sumILi64ElPK19rocblas_complex_numIfEPKPS1_S1_EviT1_lS7_lT2_lT0_lPT3_i
                                        ; -- End function
	.set _ZL36rocblas_hemvn_kernel_lower_block_sumILi64ElPK19rocblas_complex_numIfEPKPS1_S1_EviT1_lS7_lT2_lT0_lPT3_i.num_vgpr, 14
	.set _ZL36rocblas_hemvn_kernel_lower_block_sumILi64ElPK19rocblas_complex_numIfEPKPS1_S1_EviT1_lS7_lT2_lT0_lPT3_i.num_agpr, 0
	.set _ZL36rocblas_hemvn_kernel_lower_block_sumILi64ElPK19rocblas_complex_numIfEPKPS1_S1_EviT1_lS7_lT2_lT0_lPT3_i.numbered_sgpr, 24
	.set _ZL36rocblas_hemvn_kernel_lower_block_sumILi64ElPK19rocblas_complex_numIfEPKPS1_S1_EviT1_lS7_lT2_lT0_lPT3_i.num_named_barrier, 0
	.set _ZL36rocblas_hemvn_kernel_lower_block_sumILi64ElPK19rocblas_complex_numIfEPKPS1_S1_EviT1_lS7_lT2_lT0_lPT3_i.private_seg_size, 0
	.set _ZL36rocblas_hemvn_kernel_lower_block_sumILi64ElPK19rocblas_complex_numIfEPKPS1_S1_EviT1_lS7_lT2_lT0_lPT3_i.uses_vcc, 1
	.set _ZL36rocblas_hemvn_kernel_lower_block_sumILi64ElPK19rocblas_complex_numIfEPKPS1_S1_EviT1_lS7_lT2_lT0_lPT3_i.uses_flat_scratch, 0
	.set _ZL36rocblas_hemvn_kernel_lower_block_sumILi64ElPK19rocblas_complex_numIfEPKPS1_S1_EviT1_lS7_lT2_lT0_lPT3_i.has_dyn_sized_stack, 0
	.set _ZL36rocblas_hemvn_kernel_lower_block_sumILi64ElPK19rocblas_complex_numIfEPKPS1_S1_EviT1_lS7_lT2_lT0_lPT3_i.has_recursion, 0
	.set _ZL36rocblas_hemvn_kernel_lower_block_sumILi64ElPK19rocblas_complex_numIfEPKPS1_S1_EviT1_lS7_lT2_lT0_lPT3_i.has_indirect_call, 0
	.section	.AMDGPU.csdata,"",@progbits
; Kernel info:
; codeLenInByte = 772
; TotalNumSgprs: 30
; NumVgprs: 14
; NumAgprs: 0
; TotalNumVgprs: 14
; ScratchSize: 0
; MemoryBound: 0
; FloatMode: 240
; IeeeMode: 1
; LDSByteSize: 0 bytes/workgroup (compile time only)
; SGPRBlocks: 3
; VGPRBlocks: 1
; NumSGPRsForWavesPerEU: 30
; NumVGPRsForWavesPerEU: 14
; AccumOffset: 16
; Occupancy: 8
; WaveLimiterHint : 1
; COMPUTE_PGM_RSRC2:SCRATCH_EN: 0
; COMPUTE_PGM_RSRC2:USER_SGPR: 2
; COMPUTE_PGM_RSRC2:TRAP_HANDLER: 0
; COMPUTE_PGM_RSRC2:TGID_X_EN: 1
; COMPUTE_PGM_RSRC2:TGID_Y_EN: 0
; COMPUTE_PGM_RSRC2:TGID_Z_EN: 1
; COMPUTE_PGM_RSRC2:TIDIG_COMP_CNT: 0
; COMPUTE_PGM_RSRC3_GFX90A:ACCUM_OFFSET: 3
; COMPUTE_PGM_RSRC3_GFX90A:TG_SPLIT: 0
	.section	.text._ZL26rocblas_hemvn_kernel_lowerILb1ELi64ELi4ELi33ELi32ELi16EiPK19rocblas_complex_numIfEPKS3_PS1_EviT6_lT7_lT5_lS8_lS9_lS7_lT8_i,"axG",@progbits,_ZL26rocblas_hemvn_kernel_lowerILb1ELi64ELi4ELi33ELi32ELi16EiPK19rocblas_complex_numIfEPKS3_PS1_EviT6_lT7_lT5_lS8_lS9_lS7_lT8_i,comdat
	.globl	_ZL26rocblas_hemvn_kernel_lowerILb1ELi64ELi4ELi33ELi32ELi16EiPK19rocblas_complex_numIfEPKS3_PS1_EviT6_lT7_lT5_lS8_lS9_lS7_lT8_i ; -- Begin function _ZL26rocblas_hemvn_kernel_lowerILb1ELi64ELi4ELi33ELi32ELi16EiPK19rocblas_complex_numIfEPKS3_PS1_EviT6_lT7_lT5_lS8_lS9_lS7_lT8_i
	.p2align	8
	.type	_ZL26rocblas_hemvn_kernel_lowerILb1ELi64ELi4ELi33ELi32ELi16EiPK19rocblas_complex_numIfEPKS3_PS1_EviT6_lT7_lT5_lS8_lS9_lS7_lT8_i,@function
_ZL26rocblas_hemvn_kernel_lowerILb1ELi64ELi4ELi33ELi32ELi16EiPK19rocblas_complex_numIfEPKS3_PS1_EviT6_lT7_lT5_lS8_lS9_lS7_lT8_i: ; @_ZL26rocblas_hemvn_kernel_lowerILb1ELi64ELi4ELi33ELi32ELi16EiPK19rocblas_complex_numIfEPKS3_PS1_EviT6_lT7_lT5_lS8_lS9_lS7_lT8_i
; %bb.0:
	s_load_dwordx2 s[4:5], s[0:1], 0x84
	s_add_u32 s12, s0, 0x78
	s_mov_b32 s20, s3
	s_addc_u32 s13, s1, 0
	s_waitcnt lgkmcnt(0)
	s_and_b32 s3, s5, 0xffff
	s_lshr_b32 s5, s4, 16
	s_and_b32 s4, s4, 0xffff
	s_mul_i32 s4, s5, s4
	s_mul_i32 s4, s4, s3
	s_cmpk_lg_i32 s4, 0x100
	s_cbranch_scc1 .LBB42_144
; %bb.1:
	s_load_dwordx8 s[4:11], s[0:1], 0x8
	s_mov_b32 s21, 0
	s_waitcnt lgkmcnt(0)
	s_mul_i32 s3, s7, s20
	s_mul_hi_u32 s7, s6, s20
	s_add_i32 s7, s7, s3
	s_mul_i32 s6, s6, s20
	s_lshl_b64 s[6:7], s[6:7], 3
	s_add_u32 s14, s4, s6
	s_addc_u32 s15, s5, s7
	s_load_dwordx2 s[16:17], s[14:15], 0x0
	s_load_dwordx2 s[22:23], s[0:1], 0x68
	s_load_dwordx4 s[4:7], s[0:1], 0x58
	s_mov_b64 s[14:15], -1
	s_waitcnt lgkmcnt(0)
	s_or_b32 s3, s16, s17
	s_bitset0_b32 s3, 31
	s_cmp_lg_u32 s3, 0
	s_cbranch_scc1 .LBB42_3
; %bb.2:
	s_mul_i32 s3, s7, s20
	s_mul_hi_u32 s7, s6, s20
	s_add_i32 s7, s7, s3
	s_mul_i32 s6, s6, s20
	s_lshl_b64 s[6:7], s[6:7], 3
	s_add_u32 s4, s4, s6
	s_addc_u32 s5, s5, s7
	s_load_dwordx2 s[6:7], s[4:5], 0x0
	s_mov_b64 s[14:15], 0
	s_waitcnt lgkmcnt(0)
	v_cmp_eq_f32_e64 s[4:5], s6, 1.0
	v_cmp_eq_f32_e64 s[6:7], s7, 0
	s_and_b64 s[4:5], s[4:5], s[6:7]
	s_andn2_b64 vcc, exec, s[4:5]
.LBB42_3:
	s_andn2_b64 vcc, exec, s[14:15]
	s_cbranch_vccnz .LBB42_144
; %bb.4:
	s_load_dwordx4 s[4:7], s[0:1], 0x38
	s_load_dword s3, s[0:1], 0x48
	s_lshl_b64 s[14:15], s[20:21], 3
	s_add_u32 s8, s8, s14
	s_addc_u32 s9, s9, s15
	s_waitcnt lgkmcnt(0)
	s_add_u32 s14, s4, s14
	s_addc_u32 s15, s5, s15
	s_load_dwordx2 s[16:17], s[14:15], 0x0
	s_load_dword s21, s[0:1], 0x0
	s_load_dword s33, s[12:13], 0x0
	s_load_dwordx2 s[4:5], s[8:9], 0x0
	s_lshl_b64 s[6:7], s[6:7], 3
	s_waitcnt lgkmcnt(0)
	s_add_u32 s6, s16, s6
	s_addc_u32 s7, s17, s7
	s_ashr_i32 s40, s21, 31
	s_lshr_b32 s9, s40, 26
	v_and_b32_e32 v34, 0x3ff, v0
	s_lshl_b32 s28, s2, 6
	s_add_i32 s9, s21, s9
	s_andn2_b32 s9, s9, 63
	v_add_u32_e32 v32, s28, v34
	v_bfe_u32 v33, v0, 10, 10
	s_add_i32 s8, s33, -1
	s_sub_i32 s9, s21, s9
	v_mul_lo_u32 v0, s3, v32
	s_cmp_eq_u32 s2, s8
	v_ashrrev_i32_e32 v1, 31, v0
	s_cselect_b32 s26, s9, 0
	v_lshl_add_u64 v[16:17], v[0:1], 3, s[6:7]
	v_cmp_ne_u32_e64 s[16:17], 0, v33
	v_cmp_eq_u32_e64 s[18:19], 0, v33
	s_and_saveexec_b64 s[6:7], s[18:19]
	s_cbranch_execz .LBB42_9
; %bb.5:
	s_cmp_lg_u32 s26, 0
	s_cselect_b64 s[8:9], -1, 0
	v_cmp_le_i32_e32 vcc, s26, v34
	v_mov_b32_e32 v0, 0x2380
	s_and_b64 s[8:9], s[8:9], vcc
	v_lshl_add_u32 v0, v34, 3, v0
	s_and_saveexec_b64 s[12:13], s[8:9]
	s_xor_b64 s[8:9], exec, s[12:13]
; %bb.6:
	v_mov_b32_e32 v2, 0
	v_mov_b32_e32 v3, v2
	ds_write_b64 v0, v[2:3]
                                        ; implicit-def: $vgpr0
; %bb.7:
	s_andn2_saveexec_b64 s[8:9], s[8:9]
	s_cbranch_execz .LBB42_9
; %bb.8:
	flat_load_dwordx2 v[2:3], v[16:17]
	s_waitcnt vmcnt(0) lgkmcnt(0)
	ds_write_b64 v0, v[2:3]
.LBB42_9:
	s_or_b64 exec, exec, s[6:7]
	s_load_dword s24, s[0:1], 0x28
	s_lshl_b64 s[6:7], s[10:11], 3
	s_add_u32 s4, s4, s6
	s_addc_u32 s5, s5, s7
	s_ashr_i32 s29, s28, 31
	v_lshl_add_u32 v22, v33, 6, v34
	s_lshl_b64 s[0:1], s[28:29], 3
	v_and_b32_e32 v2, 31, v34
	v_lshrrev_b32_e32 v8, 5, v22
	s_add_u32 s0, s4, s0
	s_waitcnt lgkmcnt(0)
	s_mul_i32 s30, s24, s28
	s_addc_u32 s1, s5, s1
	v_mad_u64_u32 v[18:19], s[4:5], s24, v8, v[2:3]
	s_ashr_i32 s31, s30, 31
	v_ashrrev_i32_e32 v19, 31, v18
	s_cmp_lg_u32 s26, 0
	v_lshl_add_u64 v[0:1], v[18:19], 3, s[0:1]
	s_cselect_b64 s[34:35], -1, 0
	s_cmp_eq_u32 s26, 0
	v_lshl_add_u64 v[4:5], s[30:31], 3, v[0:1]
	s_cselect_b64 s[36:37], -1, 0
	s_mov_b64 s[0:1], -1
	s_and_b64 vcc, exec, s[34:35]
	s_cbranch_vccnz .LBB42_11
; %bb.10:
	s_lshl_b32 s0, s24, 3
	s_ashr_i32 s1, s0, 31
	s_ashr_i32 s25, s24, 31
	v_lshl_add_u64 v[0:1], s[0:1], 3, v[4:5]
	s_lshl_b64 s[0:1], s[24:25], 6
	v_lshl_add_u64 v[6:7], v[0:1], 0, s[0:1]
	v_lshl_add_u64 v[10:11], v[6:7], 0, s[0:1]
	flat_load_dwordx2 v[12:13], v[4:5]
	flat_load_dwordx2 v[14:15], v[0:1]
	;; [unrolled: 1-line block ×4, first 2 shown]
	v_mul_u32_u24_e32 v0, 0x108, v8
	v_lshl_add_u32 v0, v2, 3, v0
	s_mov_b64 s[0:1], 0
	s_waitcnt vmcnt(0) lgkmcnt(0)
	ds_write_b64 v0, v[12:13]
	ds_write_b64 v0, v[14:15] offset:2112
	ds_write_b64 v0, v[20:21] offset:4224
	;; [unrolled: 1-line block ×3, first 2 shown]
.LBB42_11:
	s_andn2_b64 vcc, exec, s[0:1]
	v_lshlrev_b32_e32 v0, 3, v2
	s_cbranch_vccnz .LBB42_27
; %bb.12:
	v_sub_co_u32_e32 v6, vcc, v4, v0
	s_ashr_i32 s27, s26, 31
	s_nop 0
	v_subbrev_co_u32_e32 v7, vcc, 0, v5, vcc
	v_lshl_add_u64 v[6:7], s[26:27], 3, v[6:7]
	v_mov_b32_e32 v10, 0
	v_lshl_add_u64 v[6:7], v[6:7], 0, -8
	v_cmp_gt_i32_e32 vcc, s26, v2
	v_cmp_gt_i32_e64 s[0:1], s26, v8
	v_mov_b32_e32 v11, v10
	v_cndmask_b32_e32 v7, v7, v5, vcc
	v_cndmask_b32_e32 v6, v6, v4, vcc
	s_and_saveexec_b64 s[4:5], s[0:1]
	s_cbranch_execz .LBB42_14
; %bb.13:
	flat_load_dwordx2 v[10:11], v[6:7]
.LBB42_14:
	s_or_b64 exec, exec, s[4:5]
	s_movk_i32 s0, 0x108
	v_mad_u32_u24 v3, v8, s0, v0
	s_waitcnt vmcnt(0) lgkmcnt(0)
	ds_write_b64 v3, v[10:11]
	v_add_u32_e32 v3, 8, v8
	v_mul_u32_u24_e32 v1, 0x108, v8
	v_cmp_le_i32_e64 s[0:1], s26, v3
	s_and_saveexec_b64 s[4:5], s[0:1]
	s_xor_b64 s[0:1], exec, s[4:5]
; %bb.15:
	v_mov_b32_e32 v10, 0
	v_add_u32_e32 v3, v1, v0
	v_mov_b32_e32 v11, v10
	ds_write_b64 v3, v[10:11] offset:2112
; %bb.16:
	s_andn2_saveexec_b64 s[0:1], s[0:1]
	s_cbranch_execz .LBB42_18
; %bb.17:
	s_lshl_b32 s4, s24, 3
	s_ashr_i32 s5, s4, 31
	v_lshl_add_u64 v[10:11], s[4:5], 3, v[6:7]
	flat_load_dwordx2 v[10:11], v[10:11]
	v_add_u32_e32 v3, v1, v0
	s_waitcnt vmcnt(0) lgkmcnt(0)
	ds_write_b64 v3, v[10:11] offset:2112
.LBB42_18:
	s_or_b64 exec, exec, s[0:1]
	v_add_u32_e32 v3, 16, v8
	v_cmp_le_i32_e64 s[0:1], s26, v3
	s_and_saveexec_b64 s[4:5], s[0:1]
	s_xor_b64 s[0:1], exec, s[4:5]
; %bb.19:
	v_mov_b32_e32 v10, 0
	v_add_u32_e32 v3, v1, v0
	v_mov_b32_e32 v11, v10
	ds_write_b64 v3, v[10:11] offset:4224
; %bb.20:
	s_andn2_saveexec_b64 s[0:1], s[0:1]
	s_cbranch_execz .LBB42_22
; %bb.21:
	s_lshl_b32 s4, s24, 4
	s_ashr_i32 s5, s4, 31
	v_lshl_add_u64 v[10:11], s[4:5], 3, v[6:7]
	flat_load_dwordx2 v[10:11], v[10:11]
	v_add_u32_e32 v3, v1, v0
	s_waitcnt vmcnt(0) lgkmcnt(0)
	ds_write_b64 v3, v[10:11] offset:4224
.LBB42_22:
	s_or_b64 exec, exec, s[0:1]
	v_add_u32_e32 v3, 24, v8
	v_cmp_le_i32_e64 s[0:1], s26, v3
	s_and_saveexec_b64 s[4:5], s[0:1]
	s_xor_b64 s[0:1], exec, s[4:5]
; %bb.23:
	v_mov_b32_e32 v10, 0
	v_add_u32_e32 v1, v1, v0
	v_mov_b32_e32 v11, v10
	ds_write_b64 v1, v[10:11] offset:6336
                                        ; implicit-def: $vgpr1
; %bb.24:
	s_andn2_saveexec_b64 s[0:1], s[0:1]
	s_cbranch_execz .LBB42_26
; %bb.25:
	s_mul_i32 s4, s24, 24
	s_ashr_i32 s5, s4, 31
	v_lshl_add_u64 v[10:11], s[4:5], 3, v[6:7]
	flat_load_dwordx2 v[10:11], v[10:11]
	v_add_u32_e32 v1, v1, v0
	s_waitcnt vmcnt(0) lgkmcnt(0)
	ds_write_b64 v1, v[10:11] offset:6336
.LBB42_26:
	s_or_b64 exec, exec, s[0:1]
	v_mov_b32_e32 v1, 0
	v_lshl_add_u64 v[6:7], v[6:7], 0, v[0:1]
	s_lshl_b64 s[0:1], s[26:27], 3
	v_mov_b32_e32 v1, s1
	v_subrev_co_u32_e64 v6, s[0:1], s0, v6
	s_nop 1
	v_subb_co_u32_e64 v7, s[0:1], v7, v1, s[0:1]
	v_lshl_add_u64 v[6:7], v[6:7], 0, 8
	v_cndmask_b32_e32 v5, v7, v5, vcc
	v_cndmask_b32_e32 v4, v6, v4, vcc
.LBB42_27:
	v_lshlrev_b32_e32 v9, 2, v8
	v_mul_u32_u24_e32 v3, 0x108, v2
	v_cmp_ge_u32_e64 s[6:7], v9, v2
	s_mov_b64 s[0:1], 0
	s_waitcnt lgkmcnt(0)
	s_barrier
                                        ; implicit-def: $vgpr6
	s_and_saveexec_b64 s[4:5], s[6:7]
	s_xor_b64 s[4:5], exec, s[4:5]
	s_cbranch_execz .LBB42_31
; %bb.28:
	v_cmp_eq_u32_e32 vcc, v9, v2
                                        ; implicit-def: $vgpr6
	s_and_saveexec_b64 s[8:9], vcc
	s_xor_b64 s[8:9], exec, s[8:9]
; %bb.29:
	s_mov_b64 s[0:1], exec
	v_add_u32_e32 v6, v0, v3
; %bb.30:
	s_or_b64 exec, exec, s[8:9]
	s_and_b64 s[0:1], s[0:1], exec
.LBB42_31:
	s_or_saveexec_b64 s[4:5], s[4:5]
	v_lshl_or_b32 v1, v2, 8, v0
	v_mov_b32_e32 v7, 0
	s_xor_b64 exec, exec, s[4:5]
	s_cbranch_execz .LBB42_33
; %bb.32:
	s_movk_i32 s8, 0x420
	v_mad_u32_u24 v6, v8, s8, v0
	ds_read_b64 v[10:11], v6
	v_lshl_add_u32 v6, v9, 3, v1
	s_or_b64 s[0:1], s[0:1], exec
	s_waitcnt lgkmcnt(0)
	v_xor_b32_e32 v7, 0x80000000, v11
	ds_write_b32 v6, v10
.LBB42_33:
	s_or_b64 exec, exec, s[4:5]
	s_and_saveexec_b64 s[4:5], s[0:1]
; %bb.34:
	ds_write_b32 v6, v7 offset:4
; %bb.35:
	s_or_b64 exec, exec, s[4:5]
	v_or_b32_e32 v10, 1, v9
	v_cmp_ge_u32_e64 s[8:9], v10, v2
	s_mov_b64 s[0:1], 0
                                        ; implicit-def: $vgpr6
	s_and_saveexec_b64 s[4:5], s[8:9]
	s_xor_b64 s[4:5], exec, s[4:5]
	s_cbranch_execz .LBB42_105
; %bb.36:
	v_cmp_eq_u32_e32 vcc, v10, v2
                                        ; implicit-def: $vgpr6
	s_and_saveexec_b64 s[10:11], vcc
; %bb.37:
	s_mov_b64 s[0:1], exec
	v_add_u32_e32 v6, v0, v3
; %bb.38:
	s_or_b64 exec, exec, s[10:11]
	s_and_b64 s[0:1], s[0:1], exec
	s_or_saveexec_b64 s[4:5], s[4:5]
	v_mov_b32_e32 v7, 0
	s_xor_b64 exec, exec, s[4:5]
	s_cbranch_execnz .LBB42_106
.LBB42_39:
	s_or_b64 exec, exec, s[4:5]
	s_and_saveexec_b64 s[4:5], s[0:1]
.LBB42_40:
	ds_write_b32 v6, v7 offset:4
.LBB42_41:
	s_or_b64 exec, exec, s[4:5]
	v_or_b32_e32 v11, 2, v9
	v_cmp_ge_u32_e64 s[10:11], v11, v2
	s_mov_b64 s[0:1], 0
                                        ; implicit-def: $vgpr6
	s_and_saveexec_b64 s[4:5], s[10:11]
	s_xor_b64 s[4:5], exec, s[4:5]
	s_cbranch_execz .LBB42_107
; %bb.42:
	v_cmp_eq_u32_e32 vcc, v11, v2
                                        ; implicit-def: $vgpr6
	s_and_saveexec_b64 s[12:13], vcc
; %bb.43:
	s_mov_b64 s[0:1], exec
	v_add_u32_e32 v6, v0, v3
; %bb.44:
	s_or_b64 exec, exec, s[12:13]
	s_and_b64 s[0:1], s[0:1], exec
	s_or_saveexec_b64 s[4:5], s[4:5]
	v_mov_b32_e32 v7, 0
	s_xor_b64 exec, exec, s[4:5]
	s_cbranch_execnz .LBB42_108
.LBB42_45:
	s_or_b64 exec, exec, s[4:5]
	s_and_saveexec_b64 s[4:5], s[0:1]
.LBB42_46:
	ds_write_b32 v6, v7 offset:4
.LBB42_47:
	s_or_b64 exec, exec, s[4:5]
	v_or_b32_e32 v12, 3, v9
	v_cmp_ge_u32_e64 s[12:13], v12, v2
	s_mov_b64 s[0:1], 0
                                        ; implicit-def: $vgpr6
	s_and_saveexec_b64 s[4:5], s[12:13]
	s_xor_b64 s[4:5], exec, s[4:5]
	s_cbranch_execz .LBB42_109
; %bb.48:
	v_cmp_eq_u32_e32 vcc, v12, v2
                                        ; implicit-def: $vgpr6
	s_and_saveexec_b64 s[14:15], vcc
; %bb.49:
	s_mov_b64 s[0:1], exec
	v_add_u32_e32 v6, v0, v3
; %bb.50:
	s_or_b64 exec, exec, s[14:15]
	s_and_b64 s[0:1], s[0:1], exec
                                        ; implicit-def: $vgpr1
	s_or_saveexec_b64 s[4:5], s[4:5]
	v_mov_b32_e32 v7, 0
	s_xor_b64 exec, exec, s[4:5]
	s_cbranch_execnz .LBB42_110
.LBB42_51:
	s_or_b64 exec, exec, s[4:5]
	s_and_saveexec_b64 s[4:5], s[0:1]
.LBB42_52:
	ds_write_b32 v6, v7 offset:4
.LBB42_53:
	s_or_b64 exec, exec, s[4:5]
	s_movk_i32 s0, 0x420
	v_mad_u32_u24 v1, v8, s0, v0
	s_movk_i32 s0, 0x108
	v_mad_u32_u24 v14, v10, s0, v0
	s_waitcnt lgkmcnt(0)
	s_barrier
	v_lshlrev_b32_e32 v13, 3, v9
	ds_read2_b64 v[26:29], v14 offset1:33
	ds_read_b64 v[6:7], v1
	ds_read_b128 v[36:39], v13 offset:9088
	v_mul_u32_u24_e32 v15, 33, v2
	v_lshlrev_b32_e32 v23, 3, v15
	ds_read_b64 v[14:15], v14 offset:528
	ds_read_b128 v[40:43], v13 offset:9104
	v_lshl_add_u32 v24, v8, 3, v23
	s_waitcnt lgkmcnt(2)
	v_pk_mul_f32 v[20:21], v[36:37], v[6:7] op_sel:[1,1] op_sel_hi:[0,1]
	v_pk_fma_f32 v[30:31], v[36:37], v[6:7], v[20:21] neg_lo:[0,0,1] neg_hi:[0,0,1]
	v_pk_fma_f32 v[6:7], v[36:37], v[6:7], v[20:21] op_sel_hi:[1,0,1]
	v_pk_mul_f32 v[20:21], v[38:39], v[26:27] op_sel:[1,1] op_sel_hi:[0,1]
	v_mov_b32_e32 v31, v7
	v_pk_add_f32 v[6:7], v[30:31], 0 op_sel_hi:[1,0]
	v_pk_fma_f32 v[30:31], v[38:39], v[26:27], v[20:21] neg_lo:[0,0,1] neg_hi:[0,0,1]
	v_pk_fma_f32 v[20:21], v[38:39], v[26:27], v[20:21] op_sel_hi:[1,0,1]
	v_mov_b32_e32 v36, 0
	v_mov_b32_e32 v31, v21
	s_waitcnt lgkmcnt(0)
	v_pk_mul_f32 v[20:21], v[40:41], v[28:29] op_sel:[1,1] op_sel_hi:[0,1]
	v_pk_fma_f32 v[26:27], v[40:41], v[28:29], v[20:21] neg_lo:[0,0,1] neg_hi:[0,0,1]
	v_pk_fma_f32 v[20:21], v[40:41], v[28:29], v[20:21] op_sel_hi:[1,0,1]
	v_pk_add_f32 v[6:7], v[6:7], v[30:31]
	v_mov_b32_e32 v27, v21
	v_pk_mul_f32 v[20:21], v[42:43], v[14:15] op_sel:[1,1] op_sel_hi:[0,1]
	v_pk_add_f32 v[6:7], v[6:7], v[26:27]
	v_pk_fma_f32 v[26:27], v[42:43], v[14:15], v[20:21] neg_lo:[0,0,1] neg_hi:[0,0,1]
	v_pk_fma_f32 v[14:15], v[42:43], v[14:15], v[20:21] op_sel_hi:[1,0,1]
	v_mov_b32_e32 v37, v36
	v_mov_b32_e32 v27, v15
	v_pk_add_f32 v[6:7], v[6:7], v[26:27]
	v_cmp_gt_u32_e64 s[4:5], 32, v22
	s_barrier
	ds_write_b64 v24, v[6:7]
	s_waitcnt lgkmcnt(0)
	s_barrier
	s_and_saveexec_b64 s[0:1], s[4:5]
	s_cbranch_execz .LBB42_55
; %bb.54:
	ds_read2_b64 v[26:29], v23 offset1:7
	ds_read2_b64 v[36:39], v23 offset0:1 offset1:2
	ds_read2_b64 v[40:43], v23 offset0:3 offset1:4
	s_waitcnt lgkmcnt(1)
	v_add_f32_e32 v1, v36, v26
	v_add_f32_e32 v6, v37, v27
	;; [unrolled: 1-line block ×4, first 2 shown]
	ds_read2_b64 v[36:39], v23 offset0:5 offset1:6
	s_waitcnt lgkmcnt(1)
	v_add_f32_e32 v1, v1, v40
	v_add_f32_e32 v6, v6, v41
	;; [unrolled: 1-line block ×4, first 2 shown]
	s_waitcnt lgkmcnt(0)
	v_add_f32_e32 v1, v1, v36
	v_add_f32_e32 v7, v6, v37
	;; [unrolled: 1-line block ×4, first 2 shown]
	v_pk_add_f32 v[36:37], v[6:7], v[28:29]
.LBB42_55:
	s_or_b64 exec, exec, s[0:1]
	s_lshl_b32 s38, s24, 5
	s_ashr_i32 s39, s38, 31
	v_cndmask_b32_e64 v1, 0, 1, s[36:37]
	v_lshl_add_u64 v[6:7], s[38:39], 3, v[4:5]
	s_mov_b64 s[0:1], 0x100
	v_cmp_ne_u32_e64 s[14:15], 1, v1
	s_andn2_b64 vcc, exec, s[36:37]
	s_mov_b64 s[36:37], -1
	s_barrier
	s_cbranch_vccnz .LBB42_57
; %bb.56:
	s_lshl_b32 s36, s24, 3
	s_ashr_i32 s37, s36, 31
	s_ashr_i32 s25, s24, 31
	v_lshl_add_u64 v[4:5], s[36:37], 3, v[6:7]
	s_lshl_b64 s[36:37], s[24:25], 6
	v_lshl_add_u64 v[14:15], v[4:5], 0, s[36:37]
	v_lshl_add_u64 v[20:21], v[14:15], 0, s[36:37]
	flat_load_dwordx2 v[26:27], v[6:7] offset:256
	flat_load_dwordx2 v[28:29], v[4:5] offset:256
	flat_load_dwordx2 v[30:31], v[14:15] offset:256
	flat_load_dwordx2 v[38:39], v[20:21] offset:256
	s_movk_i32 s25, 0x108
	v_mad_u32_u24 v1, v8, s25, v0
	s_mov_b64 s[36:37], 0
	s_waitcnt vmcnt(0) lgkmcnt(0)
	ds_write_b64 v1, v[26:27]
	ds_write_b64 v1, v[28:29] offset:2112
	ds_write_b64 v1, v[30:31] offset:4224
	;; [unrolled: 1-line block ×3, first 2 shown]
.LBB42_57:
	s_andn2_b64 vcc, exec, s[36:37]
	v_lshl_add_u64 v[4:5], v[6:7], 0, s[0:1]
	s_cbranch_vccnz .LBB42_73
; %bb.58:
	v_sub_co_u32_e32 v6, vcc, v6, v0
	s_ashr_i32 s27, s26, 31
	s_nop 0
	v_subbrev_co_u32_e32 v7, vcc, 0, v7, vcc
	v_or_b32_e32 v1, 32, v2
	v_lshl_add_u64 v[6:7], s[26:27], 3, v[6:7]
	v_mov_b32_e32 v14, 0
	v_lshl_add_u64 v[6:7], v[6:7], 0, -8
	v_cmp_gt_i32_e32 vcc, s26, v1
	s_sub_i32 s25, s26, 32
	v_cmp_gt_i32_e64 s[0:1], s25, v8
	v_cndmask_b32_e32 v7, v7, v5, vcc
	v_cndmask_b32_e32 v6, v6, v4, vcc
	v_mov_b32_e32 v15, v14
	s_and_saveexec_b64 s[36:37], s[0:1]
	s_cbranch_execz .LBB42_60
; %bb.59:
	flat_load_dwordx2 v[14:15], v[6:7]
.LBB42_60:
	s_or_b64 exec, exec, s[36:37]
	s_movk_i32 s0, 0x108
	v_mad_u32_u24 v20, v8, s0, v0
	s_waitcnt vmcnt(0) lgkmcnt(0)
	ds_write_b64 v20, v[14:15]
	v_add_u32_e32 v14, 8, v8
	v_mul_u32_u24_e32 v1, 0x108, v8
	v_cmp_le_i32_e64 s[0:1], s25, v14
	s_and_saveexec_b64 s[36:37], s[0:1]
	s_xor_b64 s[0:1], exec, s[36:37]
; %bb.61:
	v_mov_b32_e32 v20, 0
	v_add_u32_e32 v14, v1, v0
	v_mov_b32_e32 v21, v20
	ds_write_b64 v14, v[20:21] offset:2112
; %bb.62:
	s_andn2_saveexec_b64 s[0:1], s[0:1]
	s_cbranch_execz .LBB42_64
; %bb.63:
	s_lshl_b32 s36, s24, 3
	s_ashr_i32 s37, s36, 31
	v_lshl_add_u64 v[14:15], s[36:37], 3, v[6:7]
	flat_load_dwordx2 v[14:15], v[14:15]
	v_add_u32_e32 v20, v1, v0
	s_waitcnt vmcnt(0) lgkmcnt(0)
	ds_write_b64 v20, v[14:15] offset:2112
.LBB42_64:
	s_or_b64 exec, exec, s[0:1]
	v_add_u32_e32 v14, 16, v8
	v_cmp_le_i32_e64 s[0:1], s25, v14
	s_and_saveexec_b64 s[36:37], s[0:1]
	s_xor_b64 s[0:1], exec, s[36:37]
; %bb.65:
	v_mov_b32_e32 v20, 0
	v_add_u32_e32 v14, v1, v0
	v_mov_b32_e32 v21, v20
	ds_write_b64 v14, v[20:21] offset:4224
; %bb.66:
	s_andn2_saveexec_b64 s[0:1], s[0:1]
	s_cbranch_execz .LBB42_68
; %bb.67:
	s_lshl_b32 s36, s24, 4
	s_ashr_i32 s37, s36, 31
	v_lshl_add_u64 v[14:15], s[36:37], 3, v[6:7]
	flat_load_dwordx2 v[14:15], v[14:15]
	v_add_u32_e32 v20, v1, v0
	s_waitcnt vmcnt(0) lgkmcnt(0)
	ds_write_b64 v20, v[14:15] offset:4224
.LBB42_68:
	s_or_b64 exec, exec, s[0:1]
	v_add_u32_e32 v14, 24, v8
	v_cmp_le_i32_e64 s[0:1], s25, v14
	s_and_saveexec_b64 s[36:37], s[0:1]
	s_xor_b64 s[0:1], exec, s[36:37]
; %bb.69:
	v_mov_b32_e32 v14, 0
	v_add_u32_e32 v1, v1, v0
	v_mov_b32_e32 v15, v14
	ds_write_b64 v1, v[14:15] offset:6336
                                        ; implicit-def: $vgpr1
; %bb.70:
	s_andn2_saveexec_b64 s[0:1], s[0:1]
	s_cbranch_execz .LBB42_72
; %bb.71:
	s_mul_i32 s36, s24, 24
	s_ashr_i32 s37, s36, 31
	v_lshl_add_u64 v[14:15], s[36:37], 3, v[6:7]
	flat_load_dwordx2 v[14:15], v[14:15]
	v_add_u32_e32 v1, v1, v0
	s_waitcnt vmcnt(0) lgkmcnt(0)
	ds_write_b64 v1, v[14:15] offset:6336
.LBB42_72:
	s_or_b64 exec, exec, s[0:1]
	v_mov_b32_e32 v1, 0
	v_lshl_add_u64 v[6:7], v[6:7], 0, v[0:1]
	s_lshl_b64 s[0:1], s[26:27], 3
	v_mov_b32_e32 v1, s1
	v_subrev_co_u32_e64 v6, s[0:1], s0, v6
	s_nop 1
	v_subb_co_u32_e64 v7, s[0:1], v7, v1, s[0:1]
	s_mov_b64 s[0:1], 0x108
	s_nop 0
	v_lshl_add_u64 v[6:7], v[6:7], 0, s[0:1]
	v_cndmask_b32_e32 v5, v7, v5, vcc
	v_cndmask_b32_e32 v4, v6, v4, vcc
.LBB42_73:
	v_mul_u32_u24_e32 v1, 0x420, v8
	v_add_u32_e32 v6, 0x2380, v13
	v_mul_u32_u24_e32 v7, 0x108, v10
	s_mov_b64 s[0:1], 0
	s_waitcnt lgkmcnt(0)
	s_barrier
                                        ; implicit-def: $vgpr13
	s_and_saveexec_b64 s[36:37], s[6:7]
	s_xor_b64 s[6:7], exec, s[36:37]
	s_cbranch_execz .LBB42_77
; %bb.74:
	v_cmp_eq_u32_e32 vcc, v9, v2
                                        ; implicit-def: $vgpr13
	s_and_saveexec_b64 s[36:37], vcc
	s_xor_b64 s[36:37], exec, s[36:37]
; %bb.75:
	s_mov_b64 s[0:1], exec
	v_add_u32_e32 v13, v0, v3
; %bb.76:
	s_or_b64 exec, exec, s[36:37]
	s_and_b64 s[0:1], s[0:1], exec
.LBB42_77:
	s_or_saveexec_b64 s[6:7], s[6:7]
	v_mov_b32_e32 v14, 0
	v_add_u32_e32 v1, v0, v1
	s_xor_b64 exec, exec, s[6:7]
	s_cbranch_execz .LBB42_79
; %bb.78:
	ds_read_b64 v[20:21], v1
	v_lshl_add_u32 v13, v9, 3, v23
	s_or_b64 s[0:1], s[0:1], exec
	s_waitcnt lgkmcnt(0)
	v_xor_b32_e32 v14, 0x80000000, v21
	ds_write_b32 v13, v20
.LBB42_79:
	s_or_b64 exec, exec, s[6:7]
	s_and_saveexec_b64 s[6:7], s[0:1]
; %bb.80:
	ds_write_b32 v13, v14 offset:4
; %bb.81:
	s_or_b64 exec, exec, s[6:7]
	s_mov_b64 s[0:1], 0
                                        ; implicit-def: $vgpr13
	s_and_saveexec_b64 s[6:7], s[8:9]
	s_xor_b64 s[6:7], exec, s[6:7]
	s_cbranch_execz .LBB42_85
; %bb.82:
	v_cmp_eq_u32_e32 vcc, v10, v2
                                        ; implicit-def: $vgpr13
	s_and_saveexec_b64 s[8:9], vcc
; %bb.83:
	s_mov_b64 s[0:1], exec
	v_add_u32_e32 v13, v0, v3
; %bb.84:
	s_or_b64 exec, exec, s[8:9]
	s_and_b64 s[0:1], s[0:1], exec
.LBB42_85:
	s_or_saveexec_b64 s[6:7], s[6:7]
	v_mov_b32_e32 v10, 0
	v_add_u32_e32 v7, v0, v7
	s_xor_b64 exec, exec, s[6:7]
	s_cbranch_execz .LBB42_87
; %bb.86:
	ds_read_b64 v[14:15], v7
	v_lshl_add_u32 v20, v9, 3, v23
	v_add_u32_e32 v13, 8, v20
	s_or_b64 s[0:1], s[0:1], exec
	s_waitcnt lgkmcnt(0)
	v_xor_b32_e32 v10, 0x80000000, v15
	ds_write_b32 v20, v14 offset:8
.LBB42_87:
	s_or_b64 exec, exec, s[6:7]
	s_and_saveexec_b64 s[6:7], s[0:1]
; %bb.88:
	ds_write_b32 v13, v10 offset:4
; %bb.89:
	s_or_b64 exec, exec, s[6:7]
	s_mov_b64 s[0:1], 0
                                        ; implicit-def: $vgpr10
	s_and_saveexec_b64 s[6:7], s[10:11]
	s_xor_b64 s[6:7], exec, s[6:7]
	s_cbranch_execz .LBB42_111
; %bb.90:
	v_cmp_eq_u32_e32 vcc, v11, v2
                                        ; implicit-def: $vgpr10
	s_and_saveexec_b64 s[8:9], vcc
; %bb.91:
	s_mov_b64 s[0:1], exec
	v_add_u32_e32 v10, v0, v3
; %bb.92:
	s_or_b64 exec, exec, s[8:9]
	s_and_b64 s[0:1], s[0:1], exec
	s_or_saveexec_b64 s[6:7], s[6:7]
	v_mov_b32_e32 v11, 0
	s_xor_b64 exec, exec, s[6:7]
	s_cbranch_execnz .LBB42_112
.LBB42_93:
	s_or_b64 exec, exec, s[6:7]
	s_and_saveexec_b64 s[6:7], s[0:1]
.LBB42_94:
	ds_write_b32 v10, v11 offset:4
.LBB42_95:
	s_or_b64 exec, exec, s[6:7]
	s_mov_b64 s[0:1], 0
                                        ; implicit-def: $vgpr10
	s_and_saveexec_b64 s[6:7], s[12:13]
	s_xor_b64 s[6:7], exec, s[6:7]
	s_cbranch_execz .LBB42_113
; %bb.96:
	v_cmp_eq_u32_e32 vcc, v12, v2
                                        ; implicit-def: $vgpr10
	s_and_saveexec_b64 s[8:9], vcc
; %bb.97:
	s_mov_b64 s[0:1], exec
	v_add_u32_e32 v10, v0, v3
; %bb.98:
	s_or_b64 exec, exec, s[8:9]
	s_and_b64 s[0:1], s[0:1], exec
	s_or_saveexec_b64 s[6:7], s[6:7]
	v_mov_b32_e32 v3, 0
	s_xor_b64 exec, exec, s[6:7]
	s_cbranch_execnz .LBB42_114
.LBB42_99:
	s_or_b64 exec, exec, s[6:7]
	s_and_saveexec_b64 s[6:7], s[0:1]
.LBB42_100:
	ds_write_b32 v10, v3 offset:4
.LBB42_101:
	s_or_b64 exec, exec, s[6:7]
	s_waitcnt lgkmcnt(0)
	s_barrier
	ds_read_b64 v[14:15], v1
	ds_read_b128 v[10:13], v6 offset:256
	ds_read2_b64 v[26:29], v7 offset1:33
	ds_read_b64 v[20:21], v7 offset:528
	ds_read_b128 v[38:41], v6 offset:272
	v_cmp_eq_u32_e64 s[6:7], 1, v8
	s_waitcnt lgkmcnt(3)
	v_pk_mul_f32 v[30:31], v[10:11], v[14:15] op_sel:[1,1] op_sel_hi:[0,1]
	v_pk_fma_f32 v[42:43], v[10:11], v[14:15], v[30:31] neg_lo:[0,0,1] neg_hi:[0,0,1]
	v_pk_fma_f32 v[10:11], v[10:11], v[14:15], v[30:31] op_sel_hi:[1,0,1]
	s_waitcnt lgkmcnt(2)
	v_pk_mul_f32 v[14:15], v[12:13], v[26:27] op_sel:[1,1] op_sel_hi:[0,1]
	v_pk_fma_f32 v[30:31], v[12:13], v[26:27], v[14:15] neg_lo:[0,0,1] neg_hi:[0,0,1]
	v_pk_fma_f32 v[12:13], v[12:13], v[26:27], v[14:15] op_sel_hi:[1,0,1]
	v_mov_b32_e32 v43, v11
	v_mov_b32_e32 v31, v13
	s_waitcnt lgkmcnt(0)
	v_pk_mul_f32 v[12:13], v[38:39], v[28:29] op_sel:[1,1] op_sel_hi:[0,1]
	v_pk_add_f32 v[10:11], v[42:43], 0 op_sel_hi:[1,0]
	v_pk_fma_f32 v[14:15], v[38:39], v[28:29], v[12:13] neg_lo:[0,0,1] neg_hi:[0,0,1]
	v_pk_fma_f32 v[12:13], v[38:39], v[28:29], v[12:13] op_sel_hi:[1,0,1]
	v_pk_add_f32 v[10:11], v[10:11], v[30:31]
	v_mov_b32_e32 v15, v13
	v_pk_mul_f32 v[12:13], v[40:41], v[20:21] op_sel:[1,1] op_sel_hi:[0,1]
	v_pk_add_f32 v[10:11], v[10:11], v[14:15]
	v_pk_fma_f32 v[14:15], v[40:41], v[20:21], v[12:13] neg_lo:[0,0,1] neg_hi:[0,0,1]
	v_pk_fma_f32 v[12:13], v[40:41], v[20:21], v[12:13] op_sel_hi:[1,0,1]
	s_nop 0
	v_mov_b32_e32 v15, v13
	v_pk_add_f32 v[10:11], v[10:11], v[14:15]
	s_barrier
	ds_write_b64 v24, v[10:11]
	s_waitcnt lgkmcnt(0)
	s_barrier
	s_and_saveexec_b64 s[0:1], s[6:7]
	s_cbranch_execz .LBB42_103
; %bb.102:
	ds_read2_b64 v[10:13], v23 offset1:7
	ds_read2_b64 v[26:29], v23 offset0:1 offset1:2
	ds_read2_b64 v[36:39], v23 offset0:3 offset1:4
	s_waitcnt lgkmcnt(1)
	v_add_f32_e32 v1, v26, v10
	v_add_f32_e32 v3, v27, v11
	;; [unrolled: 1-line block ×4, first 2 shown]
	ds_read2_b64 v[26:29], v23 offset0:5 offset1:6
	s_waitcnt lgkmcnt(1)
	v_add_f32_e32 v1, v1, v36
	v_add_f32_e32 v3, v3, v37
	;; [unrolled: 1-line block ×4, first 2 shown]
	s_waitcnt lgkmcnt(0)
	v_add_f32_e32 v10, v1, v26
	v_add_f32_e32 v11, v3, v27
	v_pk_add_f32 v[10:11], v[10:11], v[28:29]
	s_nop 0
	v_pk_add_f32 v[36:37], v[10:11], v[12:13]
.LBB42_103:
	s_or_b64 exec, exec, s[0:1]
	s_lshl_b64 s[0:1], s[38:39], 3
	v_mov_b32_e32 v1, s1
	v_subrev_co_u32_e64 v20, s[0:1], s0, v4
	s_and_b64 vcc, exec, s[14:15]
	s_nop 0
	v_subb_co_u32_e64 v21, s[0:1], v5, v1, s[0:1]
	s_barrier
	s_cbranch_vccnz .LBB42_115
; %bb.104:
	s_lshl_b32 s0, s24, 3
	s_ashr_i32 s1, s0, 31
	s_ashr_i32 s25, s24, 31
	v_lshl_add_u64 v[4:5], s[0:1], 3, v[20:21]
	s_lshl_b64 s[0:1], s[24:25], 6
	v_lshl_add_u64 v[10:11], v[4:5], 0, s[0:1]
	v_lshl_add_u64 v[12:13], v[10:11], 0, s[0:1]
	flat_load_dwordx2 v[14:15], v[20:21]
	flat_load_dwordx2 v[26:27], v[4:5]
	;; [unrolled: 1-line block ×4, first 2 shown]
	s_movk_i32 s0, 0x108
	v_mov_b32_e32 v1, 0x840
	v_mov_b32_e32 v3, 0x1080
	;; [unrolled: 1-line block ×3, first 2 shown]
	v_mul_u32_u24_e32 v4, 0x108, v8
	v_add_u32_e32 v5, 8, v8
	v_add_u32_e32 v7, 16, v8
	;; [unrolled: 1-line block ×3, first 2 shown]
	v_mad_u32_u24 v12, v8, s0, v0
	v_mad_u32_u24 v1, v8, s0, v1
	;; [unrolled: 1-line block ×4, first 2 shown]
	v_add_u32_e32 v13, v0, v1
	v_add_u32_e32 v25, v0, v3
	;; [unrolled: 1-line block ×3, first 2 shown]
	s_waitcnt vmcnt(0) lgkmcnt(0)
	ds_write_b64 v12, v[14:15]
	ds_write_b64 v13, v[26:27]
	;; [unrolled: 1-line block ×4, first 2 shown]
	s_cbranch_execz .LBB42_116
	s_branch .LBB42_131
.LBB42_105:
	s_or_saveexec_b64 s[4:5], s[4:5]
	v_mov_b32_e32 v7, 0
	s_xor_b64 exec, exec, s[4:5]
	s_cbranch_execz .LBB42_39
.LBB42_106:
	s_movk_i32 s10, 0x108
	v_mad_u32_u24 v6, v10, s10, v0
	ds_read_b64 v[12:13], v6
	v_lshl_add_u32 v11, v9, 3, v1
	v_add_u32_e32 v6, 8, v11
	s_or_b64 s[0:1], s[0:1], exec
	s_waitcnt lgkmcnt(0)
	v_xor_b32_e32 v7, 0x80000000, v13
	ds_write_b32 v11, v12 offset:8
	s_or_b64 exec, exec, s[4:5]
	s_and_saveexec_b64 s[4:5], s[0:1]
	s_cbranch_execnz .LBB42_40
	s_branch .LBB42_41
.LBB42_107:
	s_or_saveexec_b64 s[4:5], s[4:5]
	v_mov_b32_e32 v7, 0
	s_xor_b64 exec, exec, s[4:5]
	s_cbranch_execz .LBB42_45
.LBB42_108:
	s_movk_i32 s12, 0x108
	v_mad_u32_u24 v6, v11, s12, v0
	ds_read_b64 v[12:13], v6
	v_lshl_add_u32 v14, v9, 3, v1
	v_add_u32_e32 v6, 16, v14
	s_or_b64 s[0:1], s[0:1], exec
	s_waitcnt lgkmcnt(0)
	v_xor_b32_e32 v7, 0x80000000, v13
	ds_write_b32 v14, v12 offset:16
	s_or_b64 exec, exec, s[4:5]
	s_and_saveexec_b64 s[4:5], s[0:1]
	s_cbranch_execnz .LBB42_46
	s_branch .LBB42_47
.LBB42_109:
	s_or_saveexec_b64 s[4:5], s[4:5]
	v_mov_b32_e32 v7, 0
	s_xor_b64 exec, exec, s[4:5]
	s_cbranch_execz .LBB42_51
.LBB42_110:
	s_movk_i32 s14, 0x108
	v_mad_u32_u24 v6, v12, s14, v0
	ds_read_b64 v[14:15], v6
	v_lshl_add_u32 v1, v9, 3, v1
	v_add_u32_e32 v6, 24, v1
	s_or_b64 s[0:1], s[0:1], exec
	s_waitcnt lgkmcnt(0)
	v_xor_b32_e32 v7, 0x80000000, v15
	ds_write_b32 v1, v14 offset:24
	s_or_b64 exec, exec, s[4:5]
	s_and_saveexec_b64 s[4:5], s[0:1]
	s_cbranch_execnz .LBB42_52
	s_branch .LBB42_53
.LBB42_111:
	s_or_saveexec_b64 s[6:7], s[6:7]
	v_mov_b32_e32 v11, 0
	s_xor_b64 exec, exec, s[6:7]
	s_cbranch_execz .LBB42_93
.LBB42_112:
	ds_read_b64 v[14:15], v7 offset:264
	v_lshl_add_u32 v13, v9, 3, v23
	v_add_u32_e32 v10, 16, v13
	s_or_b64 s[0:1], s[0:1], exec
	s_waitcnt lgkmcnt(0)
	v_xor_b32_e32 v11, 0x80000000, v15
	ds_write_b32 v13, v14 offset:16
	s_or_b64 exec, exec, s[6:7]
	s_and_saveexec_b64 s[6:7], s[0:1]
	s_cbranch_execnz .LBB42_94
	s_branch .LBB42_95
.LBB42_113:
	s_or_saveexec_b64 s[6:7], s[6:7]
	v_mov_b32_e32 v3, 0
	s_xor_b64 exec, exec, s[6:7]
	s_cbranch_execz .LBB42_99
.LBB42_114:
	ds_read_b64 v[12:13], v7 offset:528
	v_lshl_add_u32 v11, v9, 3, v23
	v_add_u32_e32 v10, 24, v11
	s_or_b64 s[0:1], s[0:1], exec
	s_waitcnt lgkmcnt(0)
	v_xor_b32_e32 v3, 0x80000000, v13
	ds_write_b32 v11, v12 offset:24
	s_or_b64 exec, exec, s[6:7]
	s_and_saveexec_b64 s[6:7], s[0:1]
	s_cbranch_execnz .LBB42_100
	s_branch .LBB42_101
.LBB42_115:
                                        ; implicit-def: $vgpr4
                                        ; implicit-def: $vgpr5
                                        ; implicit-def: $vgpr1
                                        ; implicit-def: $vgpr7
                                        ; implicit-def: $vgpr3
                                        ; implicit-def: $vgpr10
                                        ; implicit-def: $vgpr11
.LBB42_116:
	v_or_b32_e32 v1, 32, v2
	v_lshlrev_b32_e32 v2, 3, v1
	v_sub_co_u32_e32 v2, vcc, v20, v2
	s_ashr_i32 s27, s26, 31
	s_nop 0
	v_subbrev_co_u32_e32 v3, vcc, 0, v21, vcc
	v_lshl_add_u64 v[2:3], s[26:27], 3, v[2:3]
	v_mov_b32_e32 v10, 0
	v_lshl_add_u64 v[2:3], v[2:3], 0, -8
	v_cmp_gt_i32_e32 vcc, s26, v1
	v_cmp_gt_i32_e64 s[0:1], s26, v8
	v_mov_b32_e32 v11, v10
	v_cndmask_b32_e32 v3, v3, v21, vcc
	v_cndmask_b32_e32 v2, v2, v20, vcc
	s_and_saveexec_b64 s[8:9], s[0:1]
	s_cbranch_execz .LBB42_118
; %bb.117:
	flat_load_dwordx2 v[10:11], v[2:3]
.LBB42_118:
	s_or_b64 exec, exec, s[8:9]
	s_movk_i32 s0, 0x108
	v_add_u32_e32 v5, 8, v8
	v_mul_u32_u24_e32 v4, 0x108, v8
	v_mad_u32_u24 v1, v8, s0, v0
	v_cmp_le_i32_e64 s[0:1], s26, v5
	s_waitcnt vmcnt(0) lgkmcnt(0)
	ds_write_b64 v1, v[10:11]
	s_and_saveexec_b64 s[8:9], s[0:1]
	s_xor_b64 s[0:1], exec, s[8:9]
; %bb.119:
	v_mov_b32_e32 v10, 0
	v_add_u32_e32 v1, v4, v0
	v_mov_b32_e32 v11, v10
	ds_write_b64 v1, v[10:11] offset:2112
; %bb.120:
	s_andn2_saveexec_b64 s[0:1], s[0:1]
	s_cbranch_execz .LBB42_122
; %bb.121:
	s_lshl_b32 s8, s24, 3
	s_ashr_i32 s9, s8, 31
	v_lshl_add_u64 v[10:11], s[8:9], 3, v[2:3]
	flat_load_dwordx2 v[10:11], v[10:11]
	v_add_u32_e32 v1, v4, v0
	s_waitcnt vmcnt(0) lgkmcnt(0)
	ds_write_b64 v1, v[10:11] offset:2112
.LBB42_122:
	s_or_b64 exec, exec, s[0:1]
	v_add_u32_e32 v7, 16, v8
	v_cmp_le_i32_e64 s[0:1], s26, v7
	s_and_saveexec_b64 s[8:9], s[0:1]
	s_xor_b64 s[0:1], exec, s[8:9]
; %bb.123:
	v_mov_b32_e32 v10, 0
	v_add_u32_e32 v1, v4, v0
	v_mov_b32_e32 v11, v10
	ds_write_b64 v1, v[10:11] offset:4224
; %bb.124:
	s_andn2_saveexec_b64 s[0:1], s[0:1]
	s_cbranch_execz .LBB42_126
; %bb.125:
	s_lshl_b32 s8, s24, 4
	s_ashr_i32 s9, s8, 31
	v_lshl_add_u64 v[10:11], s[8:9], 3, v[2:3]
	flat_load_dwordx2 v[10:11], v[10:11]
	v_add_u32_e32 v1, v4, v0
	s_waitcnt vmcnt(0) lgkmcnt(0)
	ds_write_b64 v1, v[10:11] offset:4224
.LBB42_126:
	s_or_b64 exec, exec, s[0:1]
	v_add_u32_e32 v10, 24, v8
	v_cmp_le_i32_e64 s[0:1], s26, v10
                                        ; implicit-def: $vgpr11
	s_and_saveexec_b64 s[8:9], s[0:1]
	s_xor_b64 s[0:1], exec, s[8:9]
; %bb.127:
	v_add_u32_e32 v11, 0x18c0, v4
	v_mov_b32_e32 v12, 0
	v_add_u32_e32 v1, v0, v11
	v_mov_b32_e32 v13, v12
	ds_write_b64 v1, v[12:13]
; %bb.128:
	s_andn2_saveexec_b64 s[0:1], s[0:1]
	s_cbranch_execz .LBB42_130
; %bb.129:
	s_mul_i32 s8, s24, 24
	s_ashr_i32 s9, s8, 31
	v_lshl_add_u64 v[12:13], s[8:9], 3, v[2:3]
	flat_load_dwordx2 v[12:13], v[12:13]
	v_add_u32_e32 v11, 0x18c0, v4
	v_add_u32_e32 v1, v0, v11
	s_waitcnt vmcnt(0) lgkmcnt(0)
	ds_write_b64 v1, v[12:13]
.LBB42_130:
	s_or_b64 exec, exec, s[0:1]
	v_mov_b32_e32 v1, 0
	v_lshl_add_u64 v[2:3], v[2:3], 0, v[0:1]
	s_lshl_b64 s[0:1], s[26:27], 3
	v_mov_b32_e32 v1, s1
	v_subrev_co_u32_e64 v2, s[0:1], s0, v2
	s_nop 1
	v_subb_co_u32_e64 v3, s[0:1], v3, v1, s[0:1]
	s_mov_b64 s[0:1], 0x108
	s_nop 0
	v_lshl_add_u64 v[2:3], v[2:3], 0, s[0:1]
	v_cndmask_b32_e32 v21, v3, v21, vcc
	v_cndmask_b32_e32 v20, v2, v20, vcc
	v_add_u32_e32 v1, 0x840, v4
	v_add_u32_e32 v3, 0x1080, v4
.LBB42_131:
	v_add_u32_e32 v25, v0, v4
	v_add_u32_e32 v28, v0, v1
	v_lshlrev_b32_e32 v30, 3, v5
	v_add_u32_e32 v40, v0, v3
	v_lshlrev_b32_e32 v46, 3, v7
	;; [unrolled: 2-line block ×3, first 2 shown]
	v_lshl_add_u32 v0, v9, 3, v23
	s_waitcnt lgkmcnt(0)
	s_barrier
	v_lshlrev_b32_e32 v35, 3, v8
	ds_read2_b64 v[8:11], v0 offset1:1
	ds_read2_b64 v[0:3], v0 offset0:2 offset1:3
	ds_read_b128 v[12:15], v6 offset:256
	ds_read_b128 v[4:7], v6 offset:272
	ds_read_b64 v[26:27], v25
	ds_read_b64 v[28:29], v28
	ds_read_b64 v[30:31], v30 offset:9088
	ds_read_b64 v[38:39], v35 offset:9088
	ds_read_b64 v[40:41], v40
	ds_read2_b32 v[42:43], v42 offset1:1
	ds_read_b64 v[44:45], v44 offset:9088
	ds_read_b64 v[46:47], v46 offset:9088
	s_waitcnt lgkmcnt(4)
	v_pk_mul_f32 v[48:49], v[38:39], v[26:27] op_sel:[1,1] op_sel_hi:[0,1]
	v_pk_fma_f32 v[50:51], v[38:39], v[26:27], v[48:49] neg_lo:[0,0,1] neg_hi:[0,0,1]
	v_pk_fma_f32 v[26:27], v[38:39], v[26:27], v[48:49] op_sel_hi:[1,0,1]
	v_pk_mul_f32 v[38:39], v[30:31], v[28:29] op_sel:[1,1] op_sel_hi:[0,1]
	v_pk_fma_f32 v[48:49], v[30:31], v[28:29], v[38:39] neg_lo:[0,0,1] neg_hi:[0,0,1]
	v_pk_fma_f32 v[28:29], v[30:31], v[28:29], v[38:39] op_sel_hi:[1,0,1]
	v_mov_b32_e32 v51, v27
	v_mov_b32_e32 v49, v29
	s_waitcnt lgkmcnt(0)
	v_pk_mul_f32 v[28:29], v[46:47], v[40:41] op_sel:[1,1] op_sel_hi:[0,1]
	v_pk_add_f32 v[26:27], v[50:51], 0 op_sel_hi:[1,0]
	v_pk_fma_f32 v[30:31], v[46:47], v[40:41], v[28:29] neg_lo:[0,0,1] neg_hi:[0,0,1]
	v_pk_fma_f32 v[28:29], v[46:47], v[40:41], v[28:29] op_sel_hi:[1,0,1]
	v_pk_add_f32 v[26:27], v[26:27], v[48:49]
	v_mov_b32_e32 v31, v29
	v_pk_mul_f32 v[28:29], v[44:45], v[42:43] op_sel:[1,1] op_sel_hi:[0,1]
	v_pk_add_f32 v[26:27], v[26:27], v[30:31]
	v_pk_fma_f32 v[30:31], v[44:45], v[42:43], v[28:29] neg_lo:[0,0,1] neg_hi:[0,0,1]
	v_pk_fma_f32 v[28:29], v[44:45], v[42:43], v[28:29] op_sel_hi:[1,0,1]
	s_nop 0
	v_mov_b32_e32 v31, v29
	v_pk_add_f32 v[26:27], v[26:27], v[30:31]
	s_barrier
	ds_write_b64 v24, v[26:27]
	s_waitcnt lgkmcnt(0)
	s_barrier
	s_and_saveexec_b64 s[0:1], s[6:7]
	s_cbranch_execz .LBB42_133
; %bb.132:
	ds_read2_b64 v[26:29], v23 offset1:1
	ds_read2_b64 v[38:41], v23 offset0:2 offset1:3
	ds_read2_b64 v[42:45], v23 offset0:4 offset1:5
	s_waitcnt lgkmcnt(2)
	v_pk_add_f32 v[26:27], v[36:37], v[26:27]
	s_nop 0
	v_pk_add_f32 v[30:31], v[26:27], v[28:29]
	ds_read2_b64 v[26:29], v23 offset0:6 offset1:7
	s_waitcnt lgkmcnt(2)
	v_pk_add_f32 v[30:31], v[30:31], v[38:39]
	s_nop 0
	v_pk_add_f32 v[30:31], v[30:31], v[40:41]
	s_waitcnt lgkmcnt(1)
	v_pk_add_f32 v[30:31], v[30:31], v[42:43]
	s_nop 0
	v_pk_add_f32 v[30:31], v[30:31], v[44:45]
	;; [unrolled: 4-line block ×3, first 2 shown]
.LBB42_133:
	s_or_b64 exec, exec, s[0:1]
	v_pk_mul_f32 v[26:27], v[8:9], v[12:13] op_sel:[1,1] op_sel_hi:[1,0]
	s_nop 0
	v_pk_fma_f32 v[28:29], v[8:9], v[12:13], v[26:27]
	v_pk_fma_f32 v[8:9], v[8:9], v[12:13], v[26:27] op_sel_hi:[0,1,1] neg_lo:[0,0,1] neg_hi:[0,0,1]
	v_mov_b32_e32 v12, v11
	v_pk_mul_f32 v[12:13], v[12:13], v[14:15] op_sel:[0,1] op_sel_hi:[0,0]
	v_pk_fma_f32 v[26:27], v[10:11], v[14:15], v[12:13]
	v_pk_fma_f32 v[10:11], v[10:11], v[14:15], v[12:13] op_sel_hi:[0,1,1] neg_lo:[0,0,1] neg_hi:[0,0,1]
	v_mov_b32_e32 v29, v9
	v_mov_b32_e32 v27, v11
	v_pk_mul_f32 v[10:11], v[0:1], v[4:5] op_sel:[1,1] op_sel_hi:[1,0]
	v_pk_add_f32 v[8:9], v[28:29], 0 op_sel_hi:[1,0]
	v_pk_fma_f32 v[12:13], v[0:1], v[4:5], v[10:11]
	v_pk_fma_f32 v[0:1], v[0:1], v[4:5], v[10:11] op_sel_hi:[0,1,1] neg_lo:[0,0,1] neg_hi:[0,0,1]
	v_mov_b32_e32 v4, v3
	v_pk_add_f32 v[8:9], v[8:9], v[26:27]
	v_mov_b32_e32 v13, v1
	v_pk_mul_f32 v[4:5], v[4:5], v[6:7] op_sel:[0,1] op_sel_hi:[0,0]
	v_pk_add_f32 v[0:1], v[8:9], v[12:13]
	v_pk_fma_f32 v[8:9], v[2:3], v[6:7], v[4:5]
	v_pk_fma_f32 v[2:3], v[2:3], v[6:7], v[4:5] op_sel_hi:[0,1,1] neg_lo:[0,0,1] neg_hi:[0,0,1]
	v_mov_b32_e32 v9, v3
	v_pk_add_f32 v[0:1], v[0:1], v[8:9]
	s_barrier
	ds_write_b64 v24, v[0:1]
	s_waitcnt lgkmcnt(0)
	s_barrier
	s_and_saveexec_b64 s[0:1], s[4:5]
	s_cbranch_execz .LBB42_135
; %bb.134:
	ds_read2_b64 v[0:3], v23 offset1:1
	ds_read2_b64 v[4:7], v23 offset0:2 offset1:3
	ds_read2_b64 v[8:11], v23 offset0:4 offset1:5
	s_waitcnt lgkmcnt(2)
	v_pk_add_f32 v[0:1], v[36:37], v[0:1]
	s_nop 0
	v_pk_add_f32 v[12:13], v[0:1], v[2:3]
	ds_read2_b64 v[0:3], v23 offset0:6 offset1:7
	s_waitcnt lgkmcnt(2)
	v_pk_add_f32 v[4:5], v[12:13], v[4:5]
	s_nop 0
	v_pk_add_f32 v[4:5], v[4:5], v[6:7]
	s_waitcnt lgkmcnt(1)
	v_pk_add_f32 v[4:5], v[4:5], v[8:9]
	s_nop 0
	v_pk_add_f32 v[4:5], v[4:5], v[10:11]
	;; [unrolled: 4-line block ×3, first 2 shown]
.LBB42_135:
	s_or_b64 exec, exec, s[0:1]
	s_mul_hi_u32 s0, s21, s20
	s_mul_i32 s40, s40, s20
	s_add_i32 s0, s0, s40
	s_mul_i32 s4, s21, s20
	s_mul_i32 s0, s0, s33
	s_mul_hi_u32 s1, s4, s33
	s_add_i32 s1, s1, s0
	s_mul_i32 s0, s4, s33
	s_lshl_b64 s[0:1], s[0:1], 3
	s_add_u32 s4, s22, s0
	s_mul_i32 s0, s21, s2
	s_addc_u32 s5, s23, s1
	s_ashr_i32 s1, s0, 31
	s_lshl_b64 s[0:1], s[0:1], 3
	s_add_u32 s6, s4, s0
	v_cmp_le_i32_e32 vcc, s26, v34
	s_addc_u32 s7, s5, s1
	s_and_b64 vcc, s[34:35], vcc
	s_cmp_lt_i32 s2, 1
	v_lshlrev_b32_e32 v74, 3, v34
	s_barrier
	s_cbranch_scc1 .LBB42_142
; %bb.136:
	s_mul_i32 s0, s3, s28
	s_ashr_i32 s1, s0, 31
	s_lshl_b64 s[0:1], s[0:1], 3
	v_mov_b32_e32 v0, s1
	v_subrev_co_u32_e64 v38, s[0:1], s0, v16
	v_lshlrev_b64 v[2:3], 3, v[18:19]
	s_nop 0
	v_subb_co_u32_e64 v39, s[0:1], v17, v0, s[0:1]
	s_lshl_b64 s[0:1], s[30:31], 3
	s_nop 0
	v_mov_b32_e32 v1, s1
	v_subrev_co_u32_e64 v0, s[0:1], s0, v20
	s_ashr_i32 s27, s26, 31
	s_nop 0
	v_subb_co_u32_e64 v1, s[0:1], v21, v1, s[0:1]
	s_movk_i32 s0, 0xff00
	s_mov_b32 s1, -1
	v_lshl_add_u64 v[0:1], v[0:1], 0, s[0:1]
	v_sub_co_u32_e64 v0, s[0:1], v0, v2
	v_mul_lo_u32 v2, v33, s24
	v_lshl_add_u32 v2, v2, 2, v34
	v_subb_co_u32_e64 v1, s[0:1], v1, v3, s[0:1]
	v_ashrrev_i32_e32 v3, 31, v2
	v_lshl_add_u64 v[0:1], v[2:3], 3, v[0:1]
	v_sub_co_u32_e64 v2, s[0:1], v0, v74
	v_lshrrev_b32_e32 v4, 4, v22
	s_nop 0
	v_subbrev_co_u32_e64 v3, s[0:1], 0, v1, s[0:1]
	v_lshl_add_u64 v[2:3], s[26:27], 3, v[2:3]
	v_lshl_add_u64 v[2:3], v[2:3], 0, -8
	v_cndmask_b32_e32 v41, v1, v3, vcc
	v_cndmask_b32_e32 v40, v0, v2, vcc
	v_mov_b32_e32 v0, 0x2180
	s_movk_i32 s0, 0x860
	v_and_b32_e32 v1, 48, v34
	v_and_b32_e32 v5, 15, v34
	v_lshl_add_u32 v76, v33, 5, v0
	v_mad_u32_u24 v78, v33, s0, v74
	v_lshlrev_b32_e32 v0, 5, v4
	s_movk_i32 s0, 0x218
	v_lshlrev_b32_e32 v1, 3, v1
	v_mad_u32_u24 v79, v5, s0, v0
	v_mul_i32_i24_e32 v0, 0xffffffe8, v4
	v_mad_u32_u24 v80, v5, s0, v1
	v_or_b32_e32 v1, 0x78, v74
	s_ashr_i32 s25, s24, 31
	v_mov_b32_e32 v35, 0
	s_lshl_b32 s3, s3, 6
	v_add_u32_e32 v75, 0x2180, v74
	v_add_u32_e32 v77, 0x2380, v74
	v_cmp_gt_u32_e64 s[4:5], 64, v22
	v_mad_u32_u24 v81, v5, s0, v1
	s_lshl_b64 s[0:1], s[24:25], 3
	s_lshl_b64 s[8:9], s[24:25], 9
	s_lshl_b64 s[10:11], s[24:25], 4
	s_mul_hi_i32 s13, s24, 24
	s_mul_i32 s12, s24, 24
	s_mul_hi_i32 s15, s24, 0x90
	s_mul_i32 s14, s24, 0x90
	;; [unrolled: 2-line block ×10, first 2 shown]
	s_lshl_b64 s[40:41], s[24:25], 8
	s_mul_hi_i32 s43, s24, 0x88
	s_mul_i32 s42, s24, 0x88
	s_lshl_b64 s[24:25], s[24:25], 7
	s_mov_b32 s44, 0
	v_add_u32_e32 v82, v79, v0
	s_branch .LBB42_138
.LBB42_137:                             ;   in Loop: Header=BB42_138 Depth=1
	s_or_b64 exec, exec, s[46:47]
	v_pk_mul_f32 v[84:85], v[48:49], v[4:5] op_sel:[1,1] op_sel_hi:[0,1]
	v_mov_b32_e32 v86, v7
	v_pk_fma_f32 v[92:93], v[48:49], v[4:5], v[84:85] neg_lo:[0,0,1] neg_hi:[0,0,1]
	v_pk_fma_f32 v[4:5], v[48:49], v[4:5], v[84:85] op_sel_hi:[1,0,1]
	v_pk_mul_f32 v[86:87], v[46:47], v[86:87] op_sel:[1,0] op_sel_hi:[0,0]
	v_mov_b32_e32 v93, v5
	v_pk_mul_f32 v[88:89], v[44:45], v[0:1] op_sel:[1,1] op_sel_hi:[0,1]
	v_pk_add_f32 v[4:5], v[36:37], v[92:93]
	v_pk_fma_f32 v[36:37], v[46:47], v[6:7], v[86:87] neg_lo:[0,0,1] neg_hi:[0,0,1]
	v_pk_fma_f32 v[6:7], v[46:47], v[6:7], v[86:87] op_sel_hi:[1,0,1]
	v_mov_b32_e32 v90, v3
	v_mov_b32_e32 v37, v7
	v_pk_fma_f32 v[6:7], v[44:45], v[0:1], v[88:89] neg_lo:[0,0,1] neg_hi:[0,0,1]
	v_pk_fma_f32 v[0:1], v[44:45], v[0:1], v[88:89] op_sel_hi:[1,0,1]
	v_pk_mul_f32 v[90:91], v[42:43], v[90:91] op_sel:[1,0] op_sel_hi:[0,0]
	v_pk_add_f32 v[4:5], v[4:5], v[36:37]
	v_mov_b32_e32 v7, v1
	v_pk_add_f32 v[0:1], v[4:5], v[6:7]
	v_pk_fma_f32 v[4:5], v[42:43], v[2:3], v[90:91] neg_lo:[0,0,1] neg_hi:[0,0,1]
	v_pk_fma_f32 v[2:3], v[42:43], v[2:3], v[90:91] op_sel_hi:[1,0,1]
	s_add_i32 s2, s2, -1
	v_mov_b32_e32 v5, v3
	v_pk_add_f32 v[0:1], v[0:1], v[4:5]
	v_pk_mul_f32 v[2:3], v[52:53], v[12:13] op_sel:[1,1] op_sel_hi:[0,1]
	v_mov_b32_e32 v4, v15
	v_pk_mul_f32 v[4:5], v[50:51], v[4:5] op_sel:[1,0] op_sel_hi:[0,0]
	v_pk_fma_f32 v[6:7], v[52:53], v[12:13], v[2:3] neg_lo:[0,0,1] neg_hi:[0,0,1]
	v_pk_fma_f32 v[2:3], v[52:53], v[12:13], v[2:3] op_sel_hi:[1,0,1]
	s_add_i32 s44, s44, s3
	v_mov_b32_e32 v7, v3
	v_pk_fma_f32 v[2:3], v[50:51], v[14:15], v[4:5] neg_lo:[0,0,1] neg_hi:[0,0,1]
	v_pk_fma_f32 v[4:5], v[50:51], v[14:15], v[4:5] op_sel_hi:[1,0,1]
	v_pk_add_f32 v[0:1], v[0:1], v[6:7]
	v_mov_b32_e32 v3, v5
	v_pk_add_f32 v[0:1], v[0:1], v[2:3]
	v_pk_mul_f32 v[2:3], v[54:55], v[8:9] op_sel:[1,1] op_sel_hi:[0,1]
	v_pk_fma_f32 v[4:5], v[54:55], v[8:9], v[2:3] neg_lo:[0,0,1] neg_hi:[0,0,1]
	v_pk_fma_f32 v[2:3], v[54:55], v[8:9], v[2:3] op_sel_hi:[1,0,1]
	v_mov_b32_e32 v8, v23
	v_mov_b32_e32 v2, v11
	;; [unrolled: 1-line block ×3, first 2 shown]
	v_pk_mul_f32 v[2:3], v[56:57], v[2:3] op_sel:[1,0] op_sel_hi:[0,0]
	v_pk_fma_f32 v[6:7], v[56:57], v[10:11], v[2:3] neg_lo:[0,0,1] neg_hi:[0,0,1]
	v_pk_fma_f32 v[2:3], v[56:57], v[10:11], v[2:3] op_sel_hi:[1,0,1]
	v_pk_add_f32 v[0:1], v[0:1], v[4:5]
	v_mov_b32_e32 v7, v3
	v_pk_mul_f32 v[2:3], v[64:65], v[16:17] op_sel:[1,1] op_sel_hi:[0,1]
	v_mov_b32_e32 v4, v19
	v_pk_mul_f32 v[4:5], v[62:63], v[4:5] op_sel:[1,0] op_sel_hi:[0,0]
	v_pk_fma_f32 v[10:11], v[64:65], v[16:17], v[2:3] neg_lo:[0,0,1] neg_hi:[0,0,1]
	v_pk_fma_f32 v[2:3], v[64:65], v[16:17], v[2:3] op_sel_hi:[1,0,1]
	v_pk_add_f32 v[0:1], v[0:1], v[6:7]
	v_mov_b32_e32 v11, v3
	v_pk_fma_f32 v[2:3], v[62:63], v[18:19], v[4:5] neg_lo:[0,0,1] neg_hi:[0,0,1]
	v_pk_fma_f32 v[4:5], v[62:63], v[18:19], v[4:5] op_sel_hi:[1,0,1]
	v_pk_mul_f32 v[6:7], v[60:61], v[20:21] op_sel:[1,1] op_sel_hi:[0,1]
	v_pk_add_f32 v[0:1], v[0:1], v[10:11]
	v_mov_b32_e32 v3, v5
	v_pk_add_f32 v[0:1], v[0:1], v[2:3]
	v_pk_fma_f32 v[2:3], v[60:61], v[20:21], v[6:7] neg_lo:[0,0,1] neg_hi:[0,0,1]
	v_pk_fma_f32 v[4:5], v[60:61], v[20:21], v[6:7] op_sel_hi:[1,0,1]
	v_pk_mul_f32 v[8:9], v[58:59], v[8:9] op_sel:[1,0] op_sel_hi:[0,0]
	v_mov_b32_e32 v3, v5
	v_pk_add_f32 v[0:1], v[0:1], v[2:3]
	v_pk_fma_f32 v[2:3], v[58:59], v[22:23], v[8:9] neg_lo:[0,0,1] neg_hi:[0,0,1]
	v_pk_fma_f32 v[4:5], v[58:59], v[22:23], v[8:9] op_sel_hi:[1,0,1]
	v_pk_mul_f32 v[6:7], v[68:69], v[28:29] op_sel:[1,1] op_sel_hi:[0,1]
	v_mov_b32_e32 v3, v5
	v_pk_add_f32 v[0:1], v[0:1], v[2:3]
	v_pk_mul_f32 v[2:3], v[72:73], v[24:25] op_sel:[1,1] op_sel_hi:[0,1]
	v_mov_b32_e32 v4, v27
	v_pk_mul_f32 v[4:5], v[70:71], v[4:5] op_sel:[1,0] op_sel_hi:[0,0]
	v_pk_fma_f32 v[10:11], v[72:73], v[24:25], v[2:3] neg_lo:[0,0,1] neg_hi:[0,0,1]
	v_pk_fma_f32 v[2:3], v[72:73], v[24:25], v[2:3] op_sel_hi:[1,0,1]
	v_mov_b32_e32 v8, v31
	v_mov_b32_e32 v11, v3
	v_pk_fma_f32 v[2:3], v[70:71], v[26:27], v[4:5] neg_lo:[0,0,1] neg_hi:[0,0,1]
	v_pk_fma_f32 v[4:5], v[70:71], v[26:27], v[4:5] op_sel_hi:[1,0,1]
	v_pk_mul_f32 v[8:9], v[66:67], v[8:9] op_sel:[1,0] op_sel_hi:[0,0]
	v_mov_b32_e32 v3, v5
	v_pk_fma_f32 v[4:5], v[68:69], v[28:29], v[6:7] neg_lo:[0,0,1] neg_hi:[0,0,1]
	v_pk_fma_f32 v[6:7], v[68:69], v[28:29], v[6:7] op_sel_hi:[1,0,1]
	v_pk_add_f32 v[0:1], v[0:1], v[10:11]
	v_mov_b32_e32 v5, v7
	v_pk_fma_f32 v[6:7], v[66:67], v[30:31], v[8:9] neg_lo:[0,0,1] neg_hi:[0,0,1]
	v_pk_fma_f32 v[8:9], v[66:67], v[30:31], v[8:9] op_sel_hi:[1,0,1]
	v_pk_add_f32 v[0:1], v[0:1], v[2:3]
	v_mov_b32_e32 v7, v9
	v_pk_add_f32 v[0:1], v[0:1], v[4:5]
	v_lshl_add_u64 v[40:41], v[40:41], 0, s[8:9]
	v_pk_add_f32 v[36:37], v[0:1], v[6:7]
	s_cmp_eq_u32 s2, 0
	v_add_u32_e32 v34, 64, v34
	s_barrier
	s_cbranch_scc1 .LBB42_142
.LBB42_138:                             ; =>This Inner Loop Header: Depth=1
	s_and_saveexec_b64 s[46:47], s[18:19]
	s_cbranch_execz .LBB42_140
; %bb.139:                              ;   in Loop: Header=BB42_138 Depth=1
	s_ashr_i32 s45, s44, 31
	v_lshl_add_u64 v[0:1], s[44:45], 3, v[38:39]
	flat_load_dwordx2 v[0:1], v[0:1]
	s_waitcnt vmcnt(0) lgkmcnt(0)
	ds_write_b64 v75, v[0:1]
.LBB42_140:                             ;   in Loop: Header=BB42_138 Depth=1
	s_or_b64 exec, exec, s[46:47]
	v_lshl_add_u64 v[0:1], v[40:41], 0, s[0:1]
	s_waitcnt lgkmcnt(0)
	s_barrier
	flat_load_dwordx2 v[48:49], v[40:41]
	flat_load_dwordx2 v[46:47], v[0:1]
	v_lshl_add_u64 v[0:1], v[40:41], 0, s[10:11]
	flat_load_dwordx2 v[44:45], v[0:1]
	v_lshl_add_u64 v[0:1], v[40:41], 0, s[12:13]
	flat_load_dwordx2 v[42:43], v[0:1]
	ds_read_b64 v[8:9], v77
	ds_read_b128 v[4:7], v76
	ds_read_b128 v[0:3], v76 offset:16
	v_lshl_add_u64 v[10:11], v[40:41], 0, s[24:25]
	v_lshl_add_u64 v[68:69], v[40:41], 0, s[36:37]
	s_waitcnt vmcnt(0) lgkmcnt(0)
	v_mul_f32_e32 v12, v49, v9
	v_mul_f32_e32 v13, v49, v8
	v_mul_f32_e32 v14, v47, v9
	v_mul_f32_e32 v15, v47, v8
	v_mul_f32_e32 v16, v45, v9
	v_mul_f32_e32 v17, v45, v8
	v_mul_f32_e32 v18, v43, v9
	v_mul_f32_e32 v19, v43, v8
	v_fmac_f32_e32 v12, v48, v8
	v_fma_f32 v13, v48, v9, -v13
	v_fmac_f32_e32 v14, v46, v8
	v_fma_f32 v15, v46, v9, -v15
	;; [unrolled: 2-line block ×4, first 2 shown]
	v_lshl_add_u64 v[8:9], v[40:41], 0, s[42:43]
	ds_write2_b64 v78, v[12:13], v[14:15] offset1:67
	ds_write2_b64 v78, v[16:17], v[18:19] offset0:134 offset1:201
	s_waitcnt lgkmcnt(0)
	s_barrier
	ds_read2_b64 v[24:27], v79 offset1:1
	ds_read2_b64 v[28:31], v79 offset0:2 offset1:3
	s_waitcnt lgkmcnt(0)
	s_barrier
	flat_load_dwordx2 v[52:53], v[10:11]
	flat_load_dwordx2 v[50:51], v[8:9]
	v_lshl_add_u64 v[8:9], v[40:41], 0, s[14:15]
	flat_load_dwordx2 v[54:55], v[8:9]
	v_lshl_add_u64 v[8:9], v[40:41], 0, s[20:21]
	flat_load_dwordx2 v[56:57], v[8:9]
	ds_read_b64 v[16:17], v77
	v_lshl_add_u64 v[18:19], v[40:41], 0, s[40:41]
	ds_read_b128 v[12:15], v76 offset:128
	ds_read_b128 v[8:11], v76 offset:144
	v_pk_add_f32 v[24:25], v[24:25], 0 op_sel_hi:[1,0]
	s_waitcnt vmcnt(0) lgkmcnt(0)
	v_mul_f32_e32 v20, v53, v17
	v_mul_f32_e32 v21, v53, v16
	;; [unrolled: 1-line block ×8, first 2 shown]
	v_fma_f32 v21, v52, v17, -v21
	v_fmac_f32_e32 v20, v52, v16
	v_fmac_f32_e32 v22, v50, v16
	v_fma_f32 v23, v50, v17, -v23
	v_fmac_f32_e32 v58, v54, v16
	v_fma_f32 v59, v54, v17, -v59
	v_fmac_f32_e32 v60, v56, v16
	v_fma_f32 v61, v56, v17, -v61
	v_lshl_add_u64 v[16:17], v[40:41], 0, s[38:39]
	ds_write2_b64 v78, v[20:21], v[22:23] offset1:67
	ds_write2_b64 v78, v[58:59], v[60:61] offset0:134 offset1:201
	s_waitcnt lgkmcnt(0)
	s_barrier
	ds_read2_b64 v[84:87], v79 offset1:1
	ds_read2_b64 v[88:91], v79 offset0:2 offset1:3
	s_waitcnt lgkmcnt(0)
	s_barrier
	flat_load_dwordx2 v[64:65], v[18:19]
	flat_load_dwordx2 v[62:63], v[16:17]
	v_lshl_add_u64 v[16:17], v[40:41], 0, s[22:23]
	flat_load_dwordx2 v[60:61], v[16:17]
	v_lshl_add_u64 v[16:17], v[40:41], 0, s[26:27]
	flat_load_dwordx2 v[58:59], v[16:17]
	ds_read_b64 v[66:67], v77
	ds_read_b128 v[16:19], v76 offset:256
	ds_read_b128 v[20:23], v76 offset:272
	v_pk_add_f32 v[24:25], v[24:25], v[26:27]
	s_waitcnt vmcnt(0) lgkmcnt(0)
	v_mul_f32_e32 v70, v65, v67
	v_mul_f32_e32 v71, v65, v66
	v_mul_f32_e32 v72, v63, v67
	v_mul_f32_e32 v73, v63, v66
	v_mul_f32_e32 v92, v61, v67
	v_mul_f32_e32 v83, v61, v66
	v_mul_f32_e32 v95, v59, v66
	v_mul_f32_e32 v94, v59, v67
	v_fma_f32 v71, v64, v67, -v71
	v_fma_f32 v73, v62, v67, -v73
	;; [unrolled: 1-line block ×4, first 2 shown]
	v_fmac_f32_e32 v70, v64, v66
	v_fmac_f32_e32 v72, v62, v66
	;; [unrolled: 1-line block ×4, first 2 shown]
	v_lshl_add_u64 v[66:67], v[40:41], 0, s[34:35]
	ds_write2_b64 v78, v[70:71], v[72:73] offset1:67
	ds_write2_b64 v78, v[92:93], v[94:95] offset0:134 offset1:201
	s_waitcnt lgkmcnt(0)
	s_barrier
	ds_read2_b64 v[92:95], v79 offset1:1
	ds_read2_b64 v[96:99], v79 offset0:2 offset1:3
	s_waitcnt lgkmcnt(0)
	s_barrier
	flat_load_dwordx2 v[72:73], v[68:69]
	flat_load_dwordx2 v[70:71], v[66:67]
	v_lshl_add_u64 v[66:67], v[40:41], 0, s[28:29]
	flat_load_dwordx2 v[68:69], v[66:67]
	v_lshl_add_u64 v[66:67], v[40:41], 0, s[30:31]
	flat_load_dwordx2 v[66:67], v[66:67]
	v_pk_add_f32 v[24:25], v[24:25], v[28:29]
	s_nop 0
	v_pk_add_f32 v[100:101], v[24:25], v[30:31]
	v_pk_add_f32 v[24:25], v[84:85], 0 op_sel_hi:[1,0]
	s_nop 0
	v_pk_add_f32 v[24:25], v[24:25], v[86:87]
	v_pk_add_f32 v[86:87], v[92:93], 0 op_sel_hi:[1,0]
	v_pk_add_f32 v[24:25], v[24:25], v[88:89]
	v_pk_add_f32 v[86:87], v[86:87], v[94:95]
	;; [unrolled: 1-line block ×3, first 2 shown]
	ds_read_b64 v[84:85], v77
	ds_read_b128 v[24:27], v76 offset:384
	ds_read_b128 v[28:31], v76 offset:400
	v_pk_add_f32 v[86:87], v[86:87], v[96:97]
	s_waitcnt vmcnt(0) lgkmcnt(0)
	v_mul_f32_e32 v83, v73, v84
	v_pk_add_f32 v[92:93], v[86:87], v[98:99]
	v_mul_f32_e32 v86, v73, v85
	v_mul_f32_e32 v89, v71, v84
	;; [unrolled: 1-line block ×7, first 2 shown]
	v_fma_f32 v87, v72, v85, -v83
	v_fma_f32 v89, v70, v85, -v89
	v_fmac_f32_e32 v86, v72, v84
	v_fmac_f32_e32 v88, v70, v84
	v_fma_f32 v91, v68, v85, -v91
	v_fmac_f32_e32 v90, v68, v84
	v_fma_f32 v95, v66, v85, -v95
	v_fmac_f32_e32 v94, v66, v84
	ds_write2_b64 v78, v[86:87], v[88:89] offset1:67
	ds_write2_b64 v78, v[90:91], v[94:95] offset0:134 offset1:201
	s_waitcnt lgkmcnt(0)
	s_barrier
	ds_read2_b64 v[84:87], v79 offset1:1
	ds_read2_b64 v[88:91], v79 offset0:2 offset1:3
	s_waitcnt lgkmcnt(0)
	s_barrier
	v_pk_add_f32 v[84:85], v[84:85], 0 op_sel_hi:[1,0]
	ds_write2_b64 v82, v[100:101], v[102:103] offset1:16
	v_pk_add_f32 v[84:85], v[84:85], v[86:87]
	s_nop 0
	v_pk_add_f32 v[84:85], v[84:85], v[88:89]
	s_nop 0
	v_pk_add_f32 v[84:85], v[84:85], v[90:91]
	ds_write2_b64 v82, v[92:93], v[84:85] offset0:32 offset1:48
	s_waitcnt lgkmcnt(0)
	s_barrier
	s_and_saveexec_b64 s[46:47], s[4:5]
	s_cbranch_execz .LBB42_137
; %bb.141:                              ;   in Loop: Header=BB42_138 Depth=1
	ds_read_b64 v[92:93], v80
	ds_read2_b64 v[84:87], v80 offset0:1 offset1:2
	ds_read2_b64 v[88:91], v80 offset0:3 offset1:4
	v_lshl_add_u64 v[96:97], v[34:35], 3, s[6:7]
	s_waitcnt lgkmcnt(1)
	v_add_f32_e32 v83, v84, v92
	v_add_f32_e32 v84, v85, v93
	;; [unrolled: 1-line block ×4, first 2 shown]
	ds_read2_b64 v[84:87], v80 offset0:5 offset1:6
	s_waitcnt lgkmcnt(1)
	v_add_f32_e32 v83, v83, v88
	v_add_f32_e32 v88, v92, v89
	;; [unrolled: 1-line block ×4, first 2 shown]
	ds_read2_b64 v[88:91], v80 offset0:7 offset1:8
	s_waitcnt lgkmcnt(1)
	v_pk_add_f32 v[84:85], v[92:93], v[84:85]
	ds_read2_b64 v[92:95], v80 offset0:9 offset1:10
	v_pk_add_f32 v[84:85], v[84:85], v[86:87]
	s_waitcnt lgkmcnt(1)
	v_pk_add_f32 v[84:85], v[84:85], v[88:89]
	s_nop 0
	v_pk_add_f32 v[88:89], v[84:85], v[90:91]
	ds_read2_b64 v[84:87], v80 offset0:11 offset1:12
	s_waitcnt lgkmcnt(1)
	v_pk_add_f32 v[92:93], v[88:89], v[92:93]
	ds_read2_b64 v[88:91], v80 offset0:13 offset1:14
	v_pk_add_f32 v[92:93], v[92:93], v[94:95]
	ds_read_b64 v[94:95], v81
	s_waitcnt lgkmcnt(2)
	v_pk_add_f32 v[84:85], v[92:93], v[84:85]
	s_nop 0
	v_pk_add_f32 v[84:85], v[84:85], v[86:87]
	s_waitcnt lgkmcnt(1)
	v_pk_add_f32 v[84:85], v[84:85], v[88:89]
	s_nop 0
	v_pk_add_f32 v[84:85], v[84:85], v[90:91]
	s_waitcnt lgkmcnt(0)
	v_pk_add_f32 v[84:85], v[84:85], v[94:95]
	global_store_dwordx2 v[96:97], v[84:85], off
	s_branch .LBB42_137
.LBB42_142:
	s_movk_i32 s0, 0x218
	v_mad_u32_u24 v0, v33, s0, v74
	s_nor_b64 s[0:1], s[16:17], vcc
	ds_write_b64 v0, v[36:37]
	s_waitcnt lgkmcnt(0)
	s_barrier
	s_and_saveexec_b64 s[2:3], s[0:1]
	s_cbranch_execz .LBB42_144
; %bb.143:
	ds_read2_b64 v[0:3], v74 offset1:67
	ds_read2_b64 v[4:7], v74 offset0:134 offset1:201
	v_ashrrev_i32_e32 v33, 31, v32
	v_lshl_add_u64 v[8:9], v[32:33], 3, s[6:7]
	s_waitcnt lgkmcnt(1)
	v_pk_add_f32 v[0:1], v[2:3], v[0:1]
	s_waitcnt lgkmcnt(0)
	v_pk_add_f32 v[0:1], v[4:5], v[0:1]
	s_nop 0
	v_pk_add_f32 v[0:1], v[0:1], v[6:7]
	global_store_dwordx2 v[8:9], v[0:1], off
.LBB42_144:
	s_endpgm
	.section	.rodata,"a",@progbits
	.p2align	6, 0x0
	.amdhsa_kernel _ZL26rocblas_hemvn_kernel_lowerILb1ELi64ELi4ELi33ELi32ELi16EiPK19rocblas_complex_numIfEPKS3_PS1_EviT6_lT7_lT5_lS8_lS9_lS7_lT8_i
		.amdhsa_group_segment_fixed_size 9600
		.amdhsa_private_segment_fixed_size 0
		.amdhsa_kernarg_size 376
		.amdhsa_user_sgpr_count 2
		.amdhsa_user_sgpr_dispatch_ptr 0
		.amdhsa_user_sgpr_queue_ptr 0
		.amdhsa_user_sgpr_kernarg_segment_ptr 1
		.amdhsa_user_sgpr_dispatch_id 0
		.amdhsa_user_sgpr_kernarg_preload_length 0
		.amdhsa_user_sgpr_kernarg_preload_offset 0
		.amdhsa_user_sgpr_private_segment_size 0
		.amdhsa_uses_dynamic_stack 0
		.amdhsa_enable_private_segment 0
		.amdhsa_system_sgpr_workgroup_id_x 1
		.amdhsa_system_sgpr_workgroup_id_y 0
		.amdhsa_system_sgpr_workgroup_id_z 1
		.amdhsa_system_sgpr_workgroup_info 0
		.amdhsa_system_vgpr_workitem_id 1
		.amdhsa_next_free_vgpr 104
		.amdhsa_next_free_sgpr 48
		.amdhsa_accum_offset 104
		.amdhsa_reserve_vcc 1
		.amdhsa_float_round_mode_32 0
		.amdhsa_float_round_mode_16_64 0
		.amdhsa_float_denorm_mode_32 3
		.amdhsa_float_denorm_mode_16_64 3
		.amdhsa_dx10_clamp 1
		.amdhsa_ieee_mode 1
		.amdhsa_fp16_overflow 0
		.amdhsa_tg_split 0
		.amdhsa_exception_fp_ieee_invalid_op 0
		.amdhsa_exception_fp_denorm_src 0
		.amdhsa_exception_fp_ieee_div_zero 0
		.amdhsa_exception_fp_ieee_overflow 0
		.amdhsa_exception_fp_ieee_underflow 0
		.amdhsa_exception_fp_ieee_inexact 0
		.amdhsa_exception_int_div_zero 0
	.end_amdhsa_kernel
	.section	.text._ZL26rocblas_hemvn_kernel_lowerILb1ELi64ELi4ELi33ELi32ELi16EiPK19rocblas_complex_numIfEPKS3_PS1_EviT6_lT7_lT5_lS8_lS9_lS7_lT8_i,"axG",@progbits,_ZL26rocblas_hemvn_kernel_lowerILb1ELi64ELi4ELi33ELi32ELi16EiPK19rocblas_complex_numIfEPKS3_PS1_EviT6_lT7_lT5_lS8_lS9_lS7_lT8_i,comdat
.Lfunc_end42:
	.size	_ZL26rocblas_hemvn_kernel_lowerILb1ELi64ELi4ELi33ELi32ELi16EiPK19rocblas_complex_numIfEPKS3_PS1_EviT6_lT7_lT5_lS8_lS9_lS7_lT8_i, .Lfunc_end42-_ZL26rocblas_hemvn_kernel_lowerILb1ELi64ELi4ELi33ELi32ELi16EiPK19rocblas_complex_numIfEPKS3_PS1_EviT6_lT7_lT5_lS8_lS9_lS7_lT8_i
                                        ; -- End function
	.set _ZL26rocblas_hemvn_kernel_lowerILb1ELi64ELi4ELi33ELi32ELi16EiPK19rocblas_complex_numIfEPKS3_PS1_EviT6_lT7_lT5_lS8_lS9_lS7_lT8_i.num_vgpr, 104
	.set _ZL26rocblas_hemvn_kernel_lowerILb1ELi64ELi4ELi33ELi32ELi16EiPK19rocblas_complex_numIfEPKS3_PS1_EviT6_lT7_lT5_lS8_lS9_lS7_lT8_i.num_agpr, 0
	.set _ZL26rocblas_hemvn_kernel_lowerILb1ELi64ELi4ELi33ELi32ELi16EiPK19rocblas_complex_numIfEPKS3_PS1_EviT6_lT7_lT5_lS8_lS9_lS7_lT8_i.numbered_sgpr, 48
	.set _ZL26rocblas_hemvn_kernel_lowerILb1ELi64ELi4ELi33ELi32ELi16EiPK19rocblas_complex_numIfEPKS3_PS1_EviT6_lT7_lT5_lS8_lS9_lS7_lT8_i.num_named_barrier, 0
	.set _ZL26rocblas_hemvn_kernel_lowerILb1ELi64ELi4ELi33ELi32ELi16EiPK19rocblas_complex_numIfEPKS3_PS1_EviT6_lT7_lT5_lS8_lS9_lS7_lT8_i.private_seg_size, 0
	.set _ZL26rocblas_hemvn_kernel_lowerILb1ELi64ELi4ELi33ELi32ELi16EiPK19rocblas_complex_numIfEPKS3_PS1_EviT6_lT7_lT5_lS8_lS9_lS7_lT8_i.uses_vcc, 1
	.set _ZL26rocblas_hemvn_kernel_lowerILb1ELi64ELi4ELi33ELi32ELi16EiPK19rocblas_complex_numIfEPKS3_PS1_EviT6_lT7_lT5_lS8_lS9_lS7_lT8_i.uses_flat_scratch, 0
	.set _ZL26rocblas_hemvn_kernel_lowerILb1ELi64ELi4ELi33ELi32ELi16EiPK19rocblas_complex_numIfEPKS3_PS1_EviT6_lT7_lT5_lS8_lS9_lS7_lT8_i.has_dyn_sized_stack, 0
	.set _ZL26rocblas_hemvn_kernel_lowerILb1ELi64ELi4ELi33ELi32ELi16EiPK19rocblas_complex_numIfEPKS3_PS1_EviT6_lT7_lT5_lS8_lS9_lS7_lT8_i.has_recursion, 0
	.set _ZL26rocblas_hemvn_kernel_lowerILb1ELi64ELi4ELi33ELi32ELi16EiPK19rocblas_complex_numIfEPKS3_PS1_EviT6_lT7_lT5_lS8_lS9_lS7_lT8_i.has_indirect_call, 0
	.section	.AMDGPU.csdata,"",@progbits
; Kernel info:
; codeLenInByte = 8132
; TotalNumSgprs: 54
; NumVgprs: 104
; NumAgprs: 0
; TotalNumVgprs: 104
; ScratchSize: 0
; MemoryBound: 1
; FloatMode: 240
; IeeeMode: 1
; LDSByteSize: 9600 bytes/workgroup (compile time only)
; SGPRBlocks: 6
; VGPRBlocks: 12
; NumSGPRsForWavesPerEU: 54
; NumVGPRsForWavesPerEU: 104
; AccumOffset: 104
; Occupancy: 4
; WaveLimiterHint : 1
; COMPUTE_PGM_RSRC2:SCRATCH_EN: 0
; COMPUTE_PGM_RSRC2:USER_SGPR: 2
; COMPUTE_PGM_RSRC2:TRAP_HANDLER: 0
; COMPUTE_PGM_RSRC2:TGID_X_EN: 1
; COMPUTE_PGM_RSRC2:TGID_Y_EN: 0
; COMPUTE_PGM_RSRC2:TGID_Z_EN: 1
; COMPUTE_PGM_RSRC2:TIDIG_COMP_CNT: 1
; COMPUTE_PGM_RSRC3_GFX90A:ACCUM_OFFSET: 25
; COMPUTE_PGM_RSRC3_GFX90A:TG_SPLIT: 0
	.section	.text._ZL36rocblas_hemvn_kernel_lower_block_sumILi64EiPK19rocblas_complex_numIfEPKPS1_S1_EviT1_lS7_lT2_lT0_lPT3_i,"axG",@progbits,_ZL36rocblas_hemvn_kernel_lower_block_sumILi64EiPK19rocblas_complex_numIfEPKPS1_S1_EviT1_lS7_lT2_lT0_lPT3_i,comdat
	.globl	_ZL36rocblas_hemvn_kernel_lower_block_sumILi64EiPK19rocblas_complex_numIfEPKPS1_S1_EviT1_lS7_lT2_lT0_lPT3_i ; -- Begin function _ZL36rocblas_hemvn_kernel_lower_block_sumILi64EiPK19rocblas_complex_numIfEPKPS1_S1_EviT1_lS7_lT2_lT0_lPT3_i
	.p2align	8
	.type	_ZL36rocblas_hemvn_kernel_lower_block_sumILi64EiPK19rocblas_complex_numIfEPKPS1_S1_EviT1_lS7_lT2_lT0_lPT3_i,@function
_ZL36rocblas_hemvn_kernel_lower_block_sumILi64EiPK19rocblas_complex_numIfEPKPS1_S1_EviT1_lS7_lT2_lT0_lPT3_i: ; @_ZL36rocblas_hemvn_kernel_lower_block_sumILi64EiPK19rocblas_complex_numIfEPKPS1_S1_EviT1_lS7_lT2_lT0_lPT3_i
; %bb.0:
	s_load_dwordx8 s[4:11], s[0:1], 0x8
	s_mov_b32 s12, s3
	s_mov_b32 s13, 0
	s_waitcnt lgkmcnt(0)
	s_mul_i32 s3, s7, s3
	s_mul_hi_u32 s7, s6, s12
	s_add_i32 s7, s7, s3
	s_mul_i32 s6, s6, s12
	s_lshl_b64 s[6:7], s[6:7], 3
	s_add_u32 s4, s4, s6
	s_mul_i32 s3, s11, s12
	s_mul_hi_u32 s6, s10, s12
	s_addc_u32 s5, s5, s7
	s_add_i32 s11, s6, s3
	s_mul_i32 s10, s10, s12
	s_load_dwordx2 s[6:7], s[4:5], 0x0
	s_lshl_b64 s[4:5], s[10:11], 3
	s_add_u32 s4, s8, s4
	s_addc_u32 s5, s9, s5
	s_load_dwordx2 s[8:9], s[4:5], 0x0
	s_waitcnt lgkmcnt(0)
	s_or_b32 s3, s6, s7
	s_bitset0_b32 s3, 31
	s_cmp_eq_u32 s3, 0
	s_cselect_b64 s[4:5], -1, 0
	v_cmp_eq_f32_e64 s[10:11], s8, 1.0
	v_cmp_eq_f32_e64 s[14:15], s9, 0
	s_and_b64 s[10:11], s[10:11], s[14:15]
	s_and_b64 s[10:11], s[4:5], s[10:11]
	s_and_b64 vcc, exec, s[10:11]
	s_cbranch_vccnz .LBB43_17
; %bb.1:
	s_load_dwordx4 s[16:19], s[0:1], 0x28
	s_load_dword s3, s[0:1], 0x38
	s_load_dword s14, s[0:1], 0x0
	s_lshl_b64 s[10:11], s[12:13], 3
	v_lshl_or_b32 v4, s2, 6, v0
	s_waitcnt lgkmcnt(0)
	s_add_u32 s10, s16, s10
	s_addc_u32 s11, s17, s11
	s_load_dwordx2 s[10:11], s[10:11], 0x0
	s_lshl_b64 s[18:19], s[18:19], 3
	s_mov_b64 s[16:17], -1
	s_waitcnt lgkmcnt(0)
	s_add_u32 s10, s10, s18
	s_addc_u32 s11, s11, s19
	s_andn2_b64 vcc, exec, s[4:5]
	v_cmp_gt_i32_e64 s[4:5], s14, v4
	s_cbranch_vccnz .LBB43_7
; %bb.2:
	s_and_saveexec_b64 s[16:17], s[4:5]
	s_cbranch_execz .LBB43_6
; %bb.3:
	v_cmp_neq_f32_e64 s[4:5], s8, 0
	v_cmp_neq_f32_e64 s[18:19], s9, 0
	v_mul_lo_u32 v2, s3, v4
	v_ashrrev_i32_e32 v3, 31, v2
	s_or_b64 s[4:5], s[4:5], s[18:19]
	v_mov_b32_e32 v0, 0
	s_andn2_b64 vcc, exec, s[4:5]
	v_lshl_add_u64 v[2:3], v[2:3], 3, s[10:11]
	v_mov_b32_e32 v1, 0
	s_cbranch_vccnz .LBB43_5
; %bb.4:
	flat_load_dwordx2 v[6:7], v[2:3]
	s_waitcnt vmcnt(0) lgkmcnt(0)
	v_pk_mul_f32 v[8:9], v[6:7], s[8:9] op_sel:[1,1] op_sel_hi:[1,0]
	s_nop 0
	v_pk_fma_f32 v[0:1], v[6:7], s[8:9], v[8:9] neg_lo:[0,0,1] neg_hi:[0,0,1]
	v_pk_fma_f32 v[6:7], v[6:7], s[8:9], v[8:9] op_sel_hi:[0,1,1]
	v_mov_b32_e32 v1, v7
.LBB43_5:
	flat_store_dwordx2 v[2:3], v[0:1]
.LBB43_6:
	s_or_b64 exec, exec, s[16:17]
	s_mov_b64 s[16:17], 0
.LBB43_7:
	s_andn2_b64 vcc, exec, s[16:17]
	s_cbranch_vccnz .LBB43_17
; %bb.8:
	v_cmp_gt_i32_e32 vcc, s14, v4
	s_and_saveexec_b64 s[4:5], vcc
	s_cbranch_execz .LBB43_17
; %bb.9:
	s_load_dword s4, s[0:1], 0x58
	v_mov_b32_e32 v1, 0
	v_mov_b32_e32 v0, v1
	s_waitcnt lgkmcnt(0)
	s_cmp_ge_i32 s2, s4
	s_cbranch_scc1 .LBB43_12
; %bb.10:
	s_ashr_i32 s15, s14, 31
	s_mul_i32 s5, s14, s2
	s_load_dwordx2 s[0:1], s[0:1], 0x48
	v_add_u32_e32 v0, s5, v4
	s_mul_hi_u32 s5, s14, s12
	s_mul_i32 s13, s15, s12
	s_add_i32 s5, s5, s13
	s_mul_i32 s12, s14, s12
	s_mul_i32 s5, s5, s4
	s_mul_hi_u32 s13, s12, s4
	s_add_i32 s13, s13, s5
	s_mul_i32 s12, s12, s4
	s_lshl_b64 s[12:13], s[12:13], 3
	s_waitcnt lgkmcnt(0)
	s_add_u32 s0, s0, s12
	v_ashrrev_i32_e32 v1, 31, v0
	s_addc_u32 s1, s1, s13
	v_lshl_add_u64 v[2:3], v[0:1], 3, s[0:1]
	v_mov_b32_e32 v0, 0
	s_lshl_b64 s[0:1], s[14:15], 3
	v_mov_b32_e32 v1, v0
.LBB43_11:                              ; =>This Inner Loop Header: Depth=1
	global_load_dwordx2 v[6:7], v[2:3], off
	s_add_i32 s2, s2, 1
	v_lshl_add_u64 v[2:3], v[2:3], 0, s[0:1]
	s_cmp_ge_i32 s2, s4
	s_waitcnt vmcnt(0)
	v_pk_add_f32 v[0:1], v[0:1], v[6:7]
	s_cbranch_scc0 .LBB43_11
.LBB43_12:
	v_cmp_neq_f32_e64 s[0:1], s8, 0
	v_cmp_neq_f32_e64 s[4:5], s9, 0
	s_or_b64 s[0:1], s[0:1], s[4:5]
	v_pk_mul_f32 v[6:7], v[0:1], s[6:7] op_sel:[1,1] op_sel_hi:[1,0]
	v_mul_lo_u32 v4, s3, v4
	s_andn2_b64 vcc, exec, s[0:1]
	v_pk_fma_f32 v[2:3], v[0:1], s[6:7], v[6:7] op_sel_hi:[0,1,1]
	v_ashrrev_i32_e32 v5, 31, v4
	s_cbranch_vccz .LBB43_14
; %bb.13:
	v_pk_mul_f32 v[8:9], v[0:1], s[6:7]
	s_nop 0
	v_sub_f32_e32 v2, v8, v6
	s_cbranch_execz .LBB43_15
	s_branch .LBB43_16
.LBB43_14:
.LBB43_15:
	v_lshl_add_u64 v[8:9], v[4:5], 3, s[10:11]
	flat_load_dwordx2 v[8:9], v[8:9]
	v_pk_fma_f32 v[0:1], v[0:1], s[6:7], v[6:7] neg_lo:[0,0,1] neg_hi:[0,0,1]
	s_waitcnt vmcnt(0) lgkmcnt(0)
	v_pk_mul_f32 v[6:7], v[8:9], s[8:9] op_sel:[1,1] op_sel_hi:[1,0]
	s_nop 0
	v_pk_fma_f32 v[10:11], v[8:9], s[8:9], v[6:7] neg_lo:[0,0,1] neg_hi:[0,0,1]
	v_pk_fma_f32 v[6:7], v[8:9], s[8:9], v[6:7] op_sel_hi:[0,1,1]
	v_mov_b32_e32 v11, v7
	v_mov_b32_e32 v1, v3
	v_pk_add_f32 v[2:3], v[0:1], v[10:11]
.LBB43_16:
	v_lshl_add_u64 v[0:1], v[4:5], 3, s[10:11]
	flat_store_dwordx2 v[0:1], v[2:3]
.LBB43_17:
	s_endpgm
	.section	.rodata,"a",@progbits
	.p2align	6, 0x0
	.amdhsa_kernel _ZL36rocblas_hemvn_kernel_lower_block_sumILi64EiPK19rocblas_complex_numIfEPKPS1_S1_EviT1_lS7_lT2_lT0_lPT3_i
		.amdhsa_group_segment_fixed_size 0
		.amdhsa_private_segment_fixed_size 0
		.amdhsa_kernarg_size 344
		.amdhsa_user_sgpr_count 2
		.amdhsa_user_sgpr_dispatch_ptr 0
		.amdhsa_user_sgpr_queue_ptr 0
		.amdhsa_user_sgpr_kernarg_segment_ptr 1
		.amdhsa_user_sgpr_dispatch_id 0
		.amdhsa_user_sgpr_kernarg_preload_length 0
		.amdhsa_user_sgpr_kernarg_preload_offset 0
		.amdhsa_user_sgpr_private_segment_size 0
		.amdhsa_uses_dynamic_stack 0
		.amdhsa_enable_private_segment 0
		.amdhsa_system_sgpr_workgroup_id_x 1
		.amdhsa_system_sgpr_workgroup_id_y 0
		.amdhsa_system_sgpr_workgroup_id_z 1
		.amdhsa_system_sgpr_workgroup_info 0
		.amdhsa_system_vgpr_workitem_id 0
		.amdhsa_next_free_vgpr 12
		.amdhsa_next_free_sgpr 20
		.amdhsa_accum_offset 12
		.amdhsa_reserve_vcc 1
		.amdhsa_float_round_mode_32 0
		.amdhsa_float_round_mode_16_64 0
		.amdhsa_float_denorm_mode_32 3
		.amdhsa_float_denorm_mode_16_64 3
		.amdhsa_dx10_clamp 1
		.amdhsa_ieee_mode 1
		.amdhsa_fp16_overflow 0
		.amdhsa_tg_split 0
		.amdhsa_exception_fp_ieee_invalid_op 0
		.amdhsa_exception_fp_denorm_src 0
		.amdhsa_exception_fp_ieee_div_zero 0
		.amdhsa_exception_fp_ieee_overflow 0
		.amdhsa_exception_fp_ieee_underflow 0
		.amdhsa_exception_fp_ieee_inexact 0
		.amdhsa_exception_int_div_zero 0
	.end_amdhsa_kernel
	.section	.text._ZL36rocblas_hemvn_kernel_lower_block_sumILi64EiPK19rocblas_complex_numIfEPKPS1_S1_EviT1_lS7_lT2_lT0_lPT3_i,"axG",@progbits,_ZL36rocblas_hemvn_kernel_lower_block_sumILi64EiPK19rocblas_complex_numIfEPKPS1_S1_EviT1_lS7_lT2_lT0_lPT3_i,comdat
.Lfunc_end43:
	.size	_ZL36rocblas_hemvn_kernel_lower_block_sumILi64EiPK19rocblas_complex_numIfEPKPS1_S1_EviT1_lS7_lT2_lT0_lPT3_i, .Lfunc_end43-_ZL36rocblas_hemvn_kernel_lower_block_sumILi64EiPK19rocblas_complex_numIfEPKPS1_S1_EviT1_lS7_lT2_lT0_lPT3_i
                                        ; -- End function
	.set _ZL36rocblas_hemvn_kernel_lower_block_sumILi64EiPK19rocblas_complex_numIfEPKPS1_S1_EviT1_lS7_lT2_lT0_lPT3_i.num_vgpr, 12
	.set _ZL36rocblas_hemvn_kernel_lower_block_sumILi64EiPK19rocblas_complex_numIfEPKPS1_S1_EviT1_lS7_lT2_lT0_lPT3_i.num_agpr, 0
	.set _ZL36rocblas_hemvn_kernel_lower_block_sumILi64EiPK19rocblas_complex_numIfEPKPS1_S1_EviT1_lS7_lT2_lT0_lPT3_i.numbered_sgpr, 20
	.set _ZL36rocblas_hemvn_kernel_lower_block_sumILi64EiPK19rocblas_complex_numIfEPKPS1_S1_EviT1_lS7_lT2_lT0_lPT3_i.num_named_barrier, 0
	.set _ZL36rocblas_hemvn_kernel_lower_block_sumILi64EiPK19rocblas_complex_numIfEPKPS1_S1_EviT1_lS7_lT2_lT0_lPT3_i.private_seg_size, 0
	.set _ZL36rocblas_hemvn_kernel_lower_block_sumILi64EiPK19rocblas_complex_numIfEPKPS1_S1_EviT1_lS7_lT2_lT0_lPT3_i.uses_vcc, 1
	.set _ZL36rocblas_hemvn_kernel_lower_block_sumILi64EiPK19rocblas_complex_numIfEPKPS1_S1_EviT1_lS7_lT2_lT0_lPT3_i.uses_flat_scratch, 0
	.set _ZL36rocblas_hemvn_kernel_lower_block_sumILi64EiPK19rocblas_complex_numIfEPKPS1_S1_EviT1_lS7_lT2_lT0_lPT3_i.has_dyn_sized_stack, 0
	.set _ZL36rocblas_hemvn_kernel_lower_block_sumILi64EiPK19rocblas_complex_numIfEPKPS1_S1_EviT1_lS7_lT2_lT0_lPT3_i.has_recursion, 0
	.set _ZL36rocblas_hemvn_kernel_lower_block_sumILi64EiPK19rocblas_complex_numIfEPKPS1_S1_EviT1_lS7_lT2_lT0_lPT3_i.has_indirect_call, 0
	.section	.AMDGPU.csdata,"",@progbits
; Kernel info:
; codeLenInByte = 712
; TotalNumSgprs: 26
; NumVgprs: 12
; NumAgprs: 0
; TotalNumVgprs: 12
; ScratchSize: 0
; MemoryBound: 0
; FloatMode: 240
; IeeeMode: 1
; LDSByteSize: 0 bytes/workgroup (compile time only)
; SGPRBlocks: 3
; VGPRBlocks: 1
; NumSGPRsForWavesPerEU: 26
; NumVGPRsForWavesPerEU: 12
; AccumOffset: 12
; Occupancy: 8
; WaveLimiterHint : 1
; COMPUTE_PGM_RSRC2:SCRATCH_EN: 0
; COMPUTE_PGM_RSRC2:USER_SGPR: 2
; COMPUTE_PGM_RSRC2:TRAP_HANDLER: 0
; COMPUTE_PGM_RSRC2:TGID_X_EN: 1
; COMPUTE_PGM_RSRC2:TGID_Y_EN: 0
; COMPUTE_PGM_RSRC2:TGID_Z_EN: 1
; COMPUTE_PGM_RSRC2:TIDIG_COMP_CNT: 0
; COMPUTE_PGM_RSRC3_GFX90A:ACCUM_OFFSET: 2
; COMPUTE_PGM_RSRC3_GFX90A:TG_SPLIT: 0
	.section	.text._ZL26rocblas_hemvn_kernel_lowerILb1ELi64ELi4ELi33ELi32ELi16El19rocblas_complex_numIfEPKPKS1_PS1_EviT6_lT7_lT5_lS8_lS9_lS7_lT8_i,"axG",@progbits,_ZL26rocblas_hemvn_kernel_lowerILb1ELi64ELi4ELi33ELi32ELi16El19rocblas_complex_numIfEPKPKS1_PS1_EviT6_lT7_lT5_lS8_lS9_lS7_lT8_i,comdat
	.globl	_ZL26rocblas_hemvn_kernel_lowerILb1ELi64ELi4ELi33ELi32ELi16El19rocblas_complex_numIfEPKPKS1_PS1_EviT6_lT7_lT5_lS8_lS9_lS7_lT8_i ; -- Begin function _ZL26rocblas_hemvn_kernel_lowerILb1ELi64ELi4ELi33ELi32ELi16El19rocblas_complex_numIfEPKPKS1_PS1_EviT6_lT7_lT5_lS8_lS9_lS7_lT8_i
	.p2align	8
	.type	_ZL26rocblas_hemvn_kernel_lowerILb1ELi64ELi4ELi33ELi32ELi16El19rocblas_complex_numIfEPKPKS1_PS1_EviT6_lT7_lT5_lS8_lS9_lS7_lT8_i,@function
_ZL26rocblas_hemvn_kernel_lowerILb1ELi64ELi4ELi33ELi32ELi16El19rocblas_complex_numIfEPKPKS1_PS1_EviT6_lT7_lT5_lS8_lS9_lS7_lT8_i: ; @_ZL26rocblas_hemvn_kernel_lowerILb1ELi64ELi4ELi33ELi32ELi16El19rocblas_complex_numIfEPKPKS1_PS1_EviT6_lT7_lT5_lS8_lS9_lS7_lT8_i
; %bb.0:
	s_load_dwordx2 s[4:5], s[0:1], 0x84
	s_add_u32 s10, s0, 0x78
	s_mov_b32 s28, s3
	s_addc_u32 s11, s1, 0
	s_waitcnt lgkmcnt(0)
	s_and_b32 s3, s5, 0xffff
	s_lshr_b32 s5, s4, 16
	s_and_b32 s4, s4, 0xffff
	s_mul_i32 s4, s5, s4
	s_mul_i32 s4, s4, s3
	s_cmpk_lg_i32 s4, 0x100
	s_cbranch_scc1 .LBB44_144
; %bb.1:
	s_load_dwordx2 s[4:5], s[0:1], 0x4
	s_waitcnt lgkmcnt(0)
	s_or_b32 s3, s4, s5
	s_bitset0_b32 s3, 31
	s_cmp_lg_u32 s3, 0
	s_mov_b64 s[4:5], -1
	s_cbranch_scc1 .LBB44_3
; %bb.2:
	s_load_dwordx2 s[4:5], s[0:1], 0x58
	s_waitcnt lgkmcnt(0)
	v_cmp_eq_f32_e64 s[6:7], s4, 1.0
	v_cmp_eq_f32_e64 s[4:5], s5, 0
	s_and_b64 s[4:5], s[6:7], s[4:5]
	s_andn2_b64 vcc, exec, s[4:5]
	s_mov_b64 s[4:5], 0
.LBB44_3:
	s_andn2_b64 vcc, exec, s[4:5]
	s_cbranch_vccnz .LBB44_144
; %bb.4:
	s_load_dword s3, s[0:1], 0x0
	s_load_dwordx4 s[4:7], s[0:1], 0x18
	s_load_dwordx2 s[24:25], s[0:1], 0x28
	s_load_dwordx4 s[12:15], s[0:1], 0x38
	s_mov_b32 s29, 0
	s_lshl_b64 s[8:9], s[28:29], 3
	s_waitcnt lgkmcnt(0)
	s_add_u32 s4, s4, s8
	s_addc_u32 s5, s5, s9
	s_add_u32 s12, s12, s8
	s_addc_u32 s13, s13, s9
	s_load_dwordx2 s[16:17], s[12:13], 0x0
	s_load_dword s29, s[10:11], 0x0
	s_load_dwordx2 s[22:23], s[0:1], 0x48
	s_load_dwordx2 s[8:9], s[4:5], 0x0
	s_lshl_b64 s[4:5], s[14:15], 3
	s_waitcnt lgkmcnt(0)
	s_add_u32 s4, s16, s4
	s_addc_u32 s5, s17, s5
	s_ashr_i32 s33, s3, 31
	s_lshr_b32 s11, s33, 26
	s_add_i32 s11, s3, s11
	v_and_b32_e32 v77, 0x3ff, v0
	s_lshl_b32 s34, s2, 6
	s_andn2_b32 s11, s11, 63
	s_add_i32 s10, s29, -1
	s_sub_i32 s11, s3, s11
	v_add_u32_e32 v32, s34, v77
	s_cmp_eq_u32 s2, s10
	v_ashrrev_i32_e32 v33, 31, v32
	v_bfe_u32 v76, v0, 10, 10
	s_cselect_b32 s30, s11, 0
	v_mul_lo_u32 v2, s22, v33
	v_mul_lo_u32 v3, s23, v32
	v_mad_u64_u32 v[0:1], s[10:11], s22, v32, 0
	v_add3_u32 v1, v1, v2, v3
	v_lshl_add_u64 v[16:17], v[0:1], 3, s[4:5]
	v_cmp_ne_u32_e64 s[4:5], 0, v76
	v_cmp_eq_u32_e64 s[18:19], 0, v76
	s_and_saveexec_b64 s[10:11], s[18:19]
	s_cbranch_execz .LBB44_9
; %bb.5:
	s_cmp_lg_u32 s30, 0
	s_cselect_b64 s[12:13], -1, 0
	v_cmp_le_i32_e32 vcc, s30, v77
	v_mov_b32_e32 v0, 0x2380
	s_and_b64 s[12:13], s[12:13], vcc
	v_lshl_add_u32 v0, v77, 3, v0
	s_and_saveexec_b64 s[14:15], s[12:13]
	s_xor_b64 s[12:13], exec, s[14:15]
; %bb.6:
	v_mov_b32_e32 v2, 0
	v_mov_b32_e32 v3, v2
	ds_write_b64 v0, v[2:3]
                                        ; implicit-def: $vgpr0
; %bb.7:
	s_andn2_saveexec_b64 s[12:13], s[12:13]
	s_cbranch_execz .LBB44_9
; %bb.8:
	flat_load_dwordx2 v[2:3], v[16:17]
	s_waitcnt vmcnt(0) lgkmcnt(0)
	ds_write_b64 v0, v[2:3]
.LBB44_9:
	s_or_b64 exec, exec, s[10:11]
	s_lshl_b64 s[6:7], s[6:7], 3
	s_add_u32 s8, s8, s6
	s_addc_u32 s9, s9, s7
	s_ashr_i32 s35, s34, 31
	v_lshl_add_u32 v22, v76, 6, v77
	s_lshl_b64 s[6:7], s[34:35], 3
	v_and_b32_e32 v0, 31, v77
	v_lshrrev_b32_e32 v8, 5, v22
	s_add_u32 s6, s8, s6
	v_mov_b32_e32 v1, 0
	s_addc_u32 s7, s9, s7
	v_mad_u64_u32 v[18:19], s[8:9], s24, v8, v[0:1]
	v_mov_b32_e32 v2, v19
	v_mad_u64_u32 v[2:3], s[8:9], s25, v8, v[2:3]
	v_mov_b32_e32 v19, v2
	v_lshl_add_u64 v[2:3], v[18:19], 3, s[6:7]
	s_mul_hi_u32 s6, s24, s34
	s_mul_i32 s7, s24, s35
	s_add_i32 s6, s6, s7
	s_mul_i32 s7, s25, s34
	s_add_i32 s37, s6, s7
	s_cmp_lg_u32 s30, 0
	s_mul_i32 s36, s24, s34
	s_cselect_b64 s[38:39], -1, 0
	s_cmp_eq_u32 s30, 0
	v_lshl_add_u64 v[2:3], s[36:37], 3, v[2:3]
	s_cselect_b64 s[20:21], -1, 0
	s_mov_b64 s[6:7], -1
	s_and_b64 vcc, exec, s[38:39]
	s_cbranch_vccnz .LBB44_11
; %bb.10:
	s_lshl_b64 s[6:7], s[24:25], 6
	v_lshl_add_u64 v[4:5], v[2:3], 0, s[6:7]
	v_lshl_add_u64 v[6:7], v[4:5], 0, s[6:7]
	;; [unrolled: 1-line block ×3, first 2 shown]
	flat_load_dwordx2 v[12:13], v[2:3]
	flat_load_dwordx2 v[14:15], v[4:5]
	;; [unrolled: 1-line block ×4, first 2 shown]
	v_mul_u32_u24_e32 v1, 0x108, v8
	v_lshl_add_u32 v1, v0, 3, v1
	s_mov_b64 s[6:7], 0
	s_waitcnt vmcnt(0) lgkmcnt(0)
	ds_write_b64 v1, v[12:13]
	ds_write_b64 v1, v[14:15] offset:2112
	ds_write_b64 v1, v[20:21] offset:4224
	;; [unrolled: 1-line block ×3, first 2 shown]
.LBB44_11:
	s_andn2_b64 vcc, exec, s[6:7]
	s_cbranch_vccnz .LBB44_27
; %bb.12:
	v_lshlrev_b32_e32 v4, 3, v0
	v_sub_co_u32_e32 v6, vcc, v2, v4
	s_ashr_i32 s31, s30, 31
	s_nop 0
	v_subbrev_co_u32_e32 v7, vcc, 0, v3, vcc
	v_lshl_add_u64 v[6:7], s[30:31], 3, v[6:7]
	v_mov_b32_e32 v10, 0
	v_lshl_add_u64 v[6:7], v[6:7], 0, -8
	v_cmp_gt_i32_e32 vcc, s30, v0
	v_cmp_gt_i32_e64 s[6:7], s30, v8
	v_mov_b32_e32 v11, v10
	v_cndmask_b32_e32 v7, v7, v3, vcc
	v_cndmask_b32_e32 v6, v6, v2, vcc
	s_and_saveexec_b64 s[8:9], s[6:7]
	s_cbranch_execz .LBB44_14
; %bb.13:
	flat_load_dwordx2 v[10:11], v[6:7]
.LBB44_14:
	s_or_b64 exec, exec, s[8:9]
	v_lshlrev_b32_e32 v1, 3, v0
	s_movk_i32 s6, 0x108
	v_mad_u32_u24 v9, v8, s6, v1
	s_waitcnt vmcnt(0) lgkmcnt(0)
	ds_write_b64 v9, v[10:11]
	v_add_u32_e32 v9, 8, v8
	v_mul_u32_u24_e32 v5, 0x108, v8
	v_cmp_le_i32_e64 s[6:7], s30, v9
	s_and_saveexec_b64 s[8:9], s[6:7]
	s_xor_b64 s[6:7], exec, s[8:9]
; %bb.15:
	v_mov_b32_e32 v10, 0
	v_add_u32_e32 v9, v5, v1
	v_mov_b32_e32 v11, v10
	ds_write_b64 v9, v[10:11] offset:2112
; %bb.16:
	s_andn2_saveexec_b64 s[6:7], s[6:7]
	s_cbranch_execz .LBB44_18
; %bb.17:
	s_lshl_b64 s[8:9], s[24:25], 6
	v_lshl_add_u64 v[10:11], v[6:7], 0, s[8:9]
	flat_load_dwordx2 v[10:11], v[10:11]
	v_add_u32_e32 v9, v5, v1
	s_waitcnt vmcnt(0) lgkmcnt(0)
	ds_write_b64 v9, v[10:11] offset:2112
.LBB44_18:
	s_or_b64 exec, exec, s[6:7]
	v_add_u32_e32 v9, 16, v8
	v_cmp_le_i32_e64 s[6:7], s30, v9
	s_and_saveexec_b64 s[8:9], s[6:7]
	s_xor_b64 s[6:7], exec, s[8:9]
; %bb.19:
	v_mov_b32_e32 v10, 0
	v_add_u32_e32 v9, v5, v1
	v_mov_b32_e32 v11, v10
	ds_write_b64 v9, v[10:11] offset:4224
; %bb.20:
	s_andn2_saveexec_b64 s[6:7], s[6:7]
	s_cbranch_execz .LBB44_22
; %bb.21:
	s_lshl_b64 s[8:9], s[24:25], 7
	v_lshl_add_u64 v[10:11], v[6:7], 0, s[8:9]
	flat_load_dwordx2 v[10:11], v[10:11]
	v_add_u32_e32 v9, v5, v1
	s_waitcnt vmcnt(0) lgkmcnt(0)
	ds_write_b64 v9, v[10:11] offset:4224
.LBB44_22:
	s_or_b64 exec, exec, s[6:7]
	v_add_u32_e32 v9, 24, v8
	v_cmp_le_i32_e64 s[6:7], s30, v9
	s_and_saveexec_b64 s[8:9], s[6:7]
	s_xor_b64 s[6:7], exec, s[8:9]
; %bb.23:
	v_mov_b32_e32 v10, 0
	v_add_u32_e32 v1, v5, v1
	v_mov_b32_e32 v11, v10
	ds_write_b64 v1, v[10:11] offset:6336
                                        ; implicit-def: $vgpr5
                                        ; implicit-def: $vgpr1
; %bb.24:
	s_andn2_saveexec_b64 s[6:7], s[6:7]
	s_cbranch_execz .LBB44_26
; %bb.25:
	v_mov_b32_e32 v9, 0xc0
	v_mad_u64_u32 v[10:11], s[8:9], s24, v9, v[6:7]
	s_mul_i32 s8, s25, 0xc0
	s_nop 0
	v_add_u32_e32 v11, s8, v11
	flat_load_dwordx2 v[10:11], v[10:11]
	v_add_u32_e32 v1, v5, v1
	s_waitcnt vmcnt(0) lgkmcnt(0)
	ds_write_b64 v1, v[10:11] offset:6336
.LBB44_26:
	s_or_b64 exec, exec, s[6:7]
	v_mov_b32_e32 v5, 0
	v_lshl_add_u64 v[4:5], v[6:7], 0, v[4:5]
	s_lshl_b64 s[6:7], s[30:31], 3
	v_mov_b32_e32 v1, s7
	v_subrev_co_u32_e64 v4, s[6:7], s6, v4
	s_nop 1
	v_subb_co_u32_e64 v5, s[6:7], v5, v1, s[6:7]
	v_lshl_add_u64 v[4:5], v[4:5], 0, 8
	v_cndmask_b32_e32 v3, v5, v3, vcc
	v_cndmask_b32_e32 v2, v4, v2, vcc
.LBB44_27:
	v_lshlrev_b32_e32 v1, 2, v8
	v_lshlrev_b32_e32 v9, 3, v0
	v_mul_u32_u24_e32 v10, 0x108, v0
	v_cmp_ge_u32_e64 s[8:9], v1, v0
	s_mov_b64 s[6:7], 0
	s_waitcnt lgkmcnt(0)
	s_barrier
                                        ; implicit-def: $vgpr5
	s_and_saveexec_b64 s[10:11], s[8:9]
	s_xor_b64 s[10:11], exec, s[10:11]
	s_cbranch_execz .LBB44_31
; %bb.28:
	v_cmp_eq_u32_e32 vcc, v1, v0
                                        ; implicit-def: $vgpr5
	s_and_saveexec_b64 s[12:13], vcc
	s_xor_b64 s[12:13], exec, s[12:13]
; %bb.29:
	s_mov_b64 s[6:7], exec
	v_add_u32_e32 v5, v9, v10
; %bb.30:
	s_or_b64 exec, exec, s[12:13]
	s_and_b64 s[6:7], s[6:7], exec
.LBB44_31:
	s_or_saveexec_b64 s[10:11], s[10:11]
	v_lshl_or_b32 v4, v0, 8, v9
	v_mov_b32_e32 v6, 0
	s_xor_b64 exec, exec, s[10:11]
	s_cbranch_execz .LBB44_33
; %bb.32:
	s_movk_i32 s12, 0x420
	v_mad_u32_u24 v5, v8, s12, v9
	ds_read_b64 v[12:13], v5
	v_lshl_add_u32 v5, v1, 3, v4
	s_or_b64 s[6:7], s[6:7], exec
	s_waitcnt lgkmcnt(0)
	v_xor_b32_e32 v6, 0x80000000, v13
	ds_write_b32 v5, v12
.LBB44_33:
	s_or_b64 exec, exec, s[10:11]
	s_and_saveexec_b64 s[10:11], s[6:7]
; %bb.34:
	ds_write_b32 v5, v6 offset:4
; %bb.35:
	s_or_b64 exec, exec, s[10:11]
	v_or_b32_e32 v11, 1, v1
	v_cmp_ge_u32_e64 s[10:11], v11, v0
	s_mov_b64 s[6:7], 0
                                        ; implicit-def: $vgpr5
	s_and_saveexec_b64 s[12:13], s[10:11]
	s_xor_b64 s[12:13], exec, s[12:13]
	s_cbranch_execz .LBB44_105
; %bb.36:
	v_cmp_eq_u32_e32 vcc, v11, v0
                                        ; implicit-def: $vgpr5
	s_and_saveexec_b64 s[14:15], vcc
; %bb.37:
	s_mov_b64 s[6:7], exec
	v_add_u32_e32 v5, v9, v10
; %bb.38:
	s_or_b64 exec, exec, s[14:15]
	s_and_b64 s[6:7], s[6:7], exec
	s_or_saveexec_b64 s[12:13], s[12:13]
	v_mov_b32_e32 v6, 0
	s_xor_b64 exec, exec, s[12:13]
	s_cbranch_execnz .LBB44_106
.LBB44_39:
	s_or_b64 exec, exec, s[12:13]
	s_and_saveexec_b64 s[12:13], s[6:7]
.LBB44_40:
	ds_write_b32 v5, v6 offset:4
.LBB44_41:
	s_or_b64 exec, exec, s[12:13]
	v_or_b32_e32 v12, 2, v1
	v_cmp_ge_u32_e64 s[12:13], v12, v0
	s_mov_b64 s[6:7], 0
                                        ; implicit-def: $vgpr5
	s_and_saveexec_b64 s[14:15], s[12:13]
	s_xor_b64 s[14:15], exec, s[14:15]
	s_cbranch_execz .LBB44_107
; %bb.42:
	v_cmp_eq_u32_e32 vcc, v12, v0
                                        ; implicit-def: $vgpr5
	s_and_saveexec_b64 s[16:17], vcc
; %bb.43:
	s_mov_b64 s[6:7], exec
	v_add_u32_e32 v5, v9, v10
; %bb.44:
	s_or_b64 exec, exec, s[16:17]
	s_and_b64 s[6:7], s[6:7], exec
	s_or_saveexec_b64 s[14:15], s[14:15]
	v_mov_b32_e32 v6, 0
	s_xor_b64 exec, exec, s[14:15]
	s_cbranch_execnz .LBB44_108
.LBB44_45:
	s_or_b64 exec, exec, s[14:15]
	s_and_saveexec_b64 s[14:15], s[6:7]
.LBB44_46:
	ds_write_b32 v5, v6 offset:4
.LBB44_47:
	s_or_b64 exec, exec, s[14:15]
	v_or_b32_e32 v13, 3, v1
	v_cmp_ge_u32_e64 s[14:15], v13, v0
	s_mov_b64 s[6:7], 0
                                        ; implicit-def: $vgpr5
	s_and_saveexec_b64 s[16:17], s[14:15]
	s_xor_b64 s[16:17], exec, s[16:17]
	s_cbranch_execz .LBB44_109
; %bb.48:
	v_cmp_eq_u32_e32 vcc, v13, v0
                                        ; implicit-def: $vgpr5
	s_and_saveexec_b64 s[26:27], vcc
; %bb.49:
	s_mov_b64 s[6:7], exec
	v_add_u32_e32 v5, v9, v10
; %bb.50:
	s_or_b64 exec, exec, s[26:27]
	s_and_b64 s[6:7], s[6:7], exec
                                        ; implicit-def: $vgpr4
	s_or_saveexec_b64 s[16:17], s[16:17]
	v_mov_b32_e32 v6, 0
	s_xor_b64 exec, exec, s[16:17]
	s_cbranch_execnz .LBB44_110
.LBB44_51:
	s_or_b64 exec, exec, s[16:17]
	s_and_saveexec_b64 s[16:17], s[6:7]
.LBB44_52:
	ds_write_b32 v5, v6 offset:4
.LBB44_53:
	s_or_b64 exec, exec, s[16:17]
	s_movk_i32 s6, 0x420
	v_mad_u32_u24 v15, v8, s6, v9
	s_movk_i32 s6, 0x108
	v_mad_u32_u24 v25, v11, s6, v9
	s_waitcnt lgkmcnt(0)
	s_barrier
	v_lshlrev_b32_e32 v14, 3, v1
	ds_read2_b64 v[4:7], v25 offset1:33
	ds_read_b64 v[20:21], v15
	ds_read_b128 v[26:29], v14 offset:9088
	ds_read_b64 v[30:31], v25 offset:528
	ds_read_b128 v[36:39], v14 offset:9104
	v_mul_u32_u24_e32 v23, 33, v0
	v_lshlrev_b32_e32 v23, 3, v23
	v_lshl_add_u32 v24, v8, 3, v23
	s_waitcnt lgkmcnt(2)
	v_pk_mul_f32 v[34:35], v[26:27], v[20:21] op_sel:[1,1] op_sel_hi:[0,1]
	v_pk_fma_f32 v[40:41], v[26:27], v[20:21], v[34:35] neg_lo:[0,0,1] neg_hi:[0,0,1]
	v_pk_fma_f32 v[20:21], v[26:27], v[20:21], v[34:35] op_sel_hi:[1,0,1]
	v_pk_mul_f32 v[26:27], v[28:29], v[4:5] op_sel:[1,1] op_sel_hi:[0,1]
	v_mov_b32_e32 v41, v21
	v_pk_add_f32 v[20:21], v[40:41], 0 op_sel_hi:[1,0]
	v_pk_fma_f32 v[40:41], v[28:29], v[4:5], v[26:27] neg_lo:[0,0,1] neg_hi:[0,0,1]
	v_pk_fma_f32 v[4:5], v[28:29], v[4:5], v[26:27] op_sel_hi:[1,0,1]
	v_mov_b32_e32 v34, 0
	v_mov_b32_e32 v41, v5
	v_pk_add_f32 v[4:5], v[20:21], v[40:41]
	s_waitcnt lgkmcnt(0)
	v_pk_mul_f32 v[20:21], v[36:37], v[6:7] op_sel:[1,1] op_sel_hi:[0,1]
	v_pk_fma_f32 v[26:27], v[36:37], v[6:7], v[20:21] neg_lo:[0,0,1] neg_hi:[0,0,1]
	v_pk_fma_f32 v[6:7], v[36:37], v[6:7], v[20:21] op_sel_hi:[1,0,1]
	v_mov_b32_e32 v35, v34
	v_mov_b32_e32 v27, v7
	v_pk_mul_f32 v[6:7], v[38:39], v[30:31] op_sel:[1,1] op_sel_hi:[0,1]
	v_pk_fma_f32 v[20:21], v[38:39], v[30:31], v[6:7] neg_lo:[0,0,1] neg_hi:[0,0,1]
	v_pk_fma_f32 v[6:7], v[38:39], v[30:31], v[6:7] op_sel_hi:[1,0,1]
	v_pk_add_f32 v[4:5], v[4:5], v[26:27]
	v_mov_b32_e32 v21, v7
	v_pk_add_f32 v[4:5], v[4:5], v[20:21]
	v_cmp_gt_u32_e64 s[6:7], 32, v22
	s_barrier
	ds_write_b64 v24, v[4:5]
	s_waitcnt lgkmcnt(0)
	s_barrier
	s_and_saveexec_b64 s[16:17], s[6:7]
	s_cbranch_execz .LBB44_55
; %bb.54:
	ds_read2_b64 v[4:7], v23 offset1:7
	ds_read2_b64 v[26:29], v23 offset0:1 offset1:2
	ds_read2_b64 v[34:37], v23 offset0:3 offset1:4
	s_waitcnt lgkmcnt(1)
	v_add_f32_e32 v4, v26, v4
	v_add_f32_e32 v5, v27, v5
	;; [unrolled: 1-line block ×4, first 2 shown]
	ds_read2_b64 v[26:29], v23 offset0:5 offset1:6
	s_waitcnt lgkmcnt(1)
	v_add_f32_e32 v4, v4, v34
	v_add_f32_e32 v5, v5, v35
	;; [unrolled: 1-line block ×4, first 2 shown]
	s_waitcnt lgkmcnt(0)
	v_add_f32_e32 v4, v4, v26
	v_add_f32_e32 v5, v5, v27
	;; [unrolled: 1-line block ×4, first 2 shown]
	v_pk_add_f32 v[34:35], v[4:5], v[6:7]
.LBB44_55:
	s_or_b64 exec, exec, s[16:17]
	s_lshl_b64 s[26:27], s[24:25], 8
	v_lshl_add_u64 v[6:7], v[2:3], 0, s[26:27]
	v_cndmask_b32_e64 v2, 0, 1, s[20:21]
	s_mov_b64 s[40:41], 0x100
	v_cmp_ne_u32_e64 s[16:17], 1, v2
	s_andn2_b64 vcc, exec, s[20:21]
	s_mov_b64 s[20:21], -1
	s_barrier
	s_cbranch_vccnz .LBB44_57
; %bb.56:
	s_lshl_b64 s[20:21], s[24:25], 6
	v_lshl_add_u64 v[2:3], v[6:7], 0, s[20:21]
	v_lshl_add_u64 v[4:5], v[2:3], 0, s[20:21]
	;; [unrolled: 1-line block ×3, first 2 shown]
	flat_load_dwordx2 v[26:27], v[6:7] offset:256
	flat_load_dwordx2 v[28:29], v[2:3] offset:256
	;; [unrolled: 1-line block ×4, first 2 shown]
	s_movk_i32 s20, 0x108
	v_mad_u32_u24 v2, v8, s20, v9
	s_mov_b64 s[20:21], 0
	s_waitcnt vmcnt(0) lgkmcnt(0)
	ds_write_b64 v2, v[26:27]
	ds_write_b64 v2, v[28:29] offset:2112
	ds_write_b64 v2, v[30:31] offset:4224
	;; [unrolled: 1-line block ×3, first 2 shown]
.LBB44_57:
	s_andn2_b64 vcc, exec, s[20:21]
	v_lshl_add_u64 v[2:3], v[6:7], 0, s[40:41]
	s_cbranch_vccnz .LBB44_73
; %bb.58:
	v_lshlrev_b32_e32 v4, 3, v0
	v_sub_co_u32_e32 v6, vcc, v6, v4
	s_ashr_i32 s31, s30, 31
	s_nop 0
	v_subbrev_co_u32_e32 v7, vcc, 0, v7, vcc
	v_or_b32_e32 v5, 32, v0
	v_lshl_add_u64 v[6:7], s[30:31], 3, v[6:7]
	v_mov_b32_e32 v20, 0
	v_lshl_add_u64 v[6:7], v[6:7], 0, -8
	v_cmp_gt_i32_e32 vcc, s30, v5
	s_sub_i32 s42, s30, 32
	v_cmp_gt_i32_e64 s[20:21], s42, v8
	v_cndmask_b32_e32 v7, v7, v3, vcc
	v_cndmask_b32_e32 v6, v6, v2, vcc
	v_mov_b32_e32 v21, v20
	s_and_saveexec_b64 s[40:41], s[20:21]
	s_cbranch_execz .LBB44_60
; %bb.59:
	flat_load_dwordx2 v[20:21], v[6:7]
.LBB44_60:
	s_or_b64 exec, exec, s[40:41]
	s_movk_i32 s20, 0x108
	v_mad_u32_u24 v15, v8, s20, v9
	s_waitcnt vmcnt(0) lgkmcnt(0)
	ds_write_b64 v15, v[20:21]
	v_add_u32_e32 v15, 8, v8
	v_mul_u32_u24_e32 v5, 0x108, v8
	v_cmp_le_i32_e64 s[20:21], s42, v15
	s_and_saveexec_b64 s[40:41], s[20:21]
	s_xor_b64 s[20:21], exec, s[40:41]
; %bb.61:
	v_mov_b32_e32 v20, 0
	v_add_u32_e32 v15, v5, v9
	v_mov_b32_e32 v21, v20
	ds_write_b64 v15, v[20:21] offset:2112
; %bb.62:
	s_andn2_saveexec_b64 s[20:21], s[20:21]
	s_cbranch_execz .LBB44_64
; %bb.63:
	s_lshl_b64 s[40:41], s[24:25], 6
	v_lshl_add_u64 v[20:21], v[6:7], 0, s[40:41]
	flat_load_dwordx2 v[20:21], v[20:21]
	v_add_u32_e32 v15, v5, v9
	s_waitcnt vmcnt(0) lgkmcnt(0)
	ds_write_b64 v15, v[20:21] offset:2112
.LBB44_64:
	s_or_b64 exec, exec, s[20:21]
	v_add_u32_e32 v15, 16, v8
	v_cmp_le_i32_e64 s[20:21], s42, v15
	s_and_saveexec_b64 s[40:41], s[20:21]
	s_xor_b64 s[20:21], exec, s[40:41]
; %bb.65:
	v_mov_b32_e32 v20, 0
	v_add_u32_e32 v15, v5, v9
	v_mov_b32_e32 v21, v20
	ds_write_b64 v15, v[20:21] offset:4224
; %bb.66:
	s_andn2_saveexec_b64 s[20:21], s[20:21]
	s_cbranch_execz .LBB44_68
; %bb.67:
	s_lshl_b64 s[40:41], s[24:25], 7
	v_lshl_add_u64 v[20:21], v[6:7], 0, s[40:41]
	flat_load_dwordx2 v[20:21], v[20:21]
	v_add_u32_e32 v15, v5, v9
	s_waitcnt vmcnt(0) lgkmcnt(0)
	ds_write_b64 v15, v[20:21] offset:4224
.LBB44_68:
	s_or_b64 exec, exec, s[20:21]
	v_add_u32_e32 v15, 24, v8
	v_cmp_le_i32_e64 s[20:21], s42, v15
	s_and_saveexec_b64 s[40:41], s[20:21]
	s_xor_b64 s[20:21], exec, s[40:41]
; %bb.69:
	v_mov_b32_e32 v20, 0
	v_add_u32_e32 v5, v5, v9
	v_mov_b32_e32 v21, v20
	ds_write_b64 v5, v[20:21] offset:6336
                                        ; implicit-def: $vgpr5
; %bb.70:
	s_andn2_saveexec_b64 s[20:21], s[20:21]
	s_cbranch_execz .LBB44_72
; %bb.71:
	v_mov_b32_e32 v15, 0xc0
	v_mad_u64_u32 v[20:21], s[40:41], s24, v15, v[6:7]
	s_mul_i32 s40, s25, 0xc0
	s_nop 0
	v_add_u32_e32 v21, s40, v21
	flat_load_dwordx2 v[20:21], v[20:21]
	v_add_u32_e32 v5, v5, v9
	s_waitcnt vmcnt(0) lgkmcnt(0)
	ds_write_b64 v5, v[20:21] offset:6336
.LBB44_72:
	s_or_b64 exec, exec, s[20:21]
	v_mov_b32_e32 v5, 0
	v_lshl_add_u64 v[4:5], v[6:7], 0, v[4:5]
	s_lshl_b64 s[20:21], s[30:31], 3
	v_mov_b32_e32 v6, s21
	v_subrev_co_u32_e64 v4, s[20:21], s20, v4
	s_nop 1
	v_subb_co_u32_e64 v5, s[20:21], v5, v6, s[20:21]
	s_mov_b64 s[20:21], 0x108
	s_nop 0
	v_lshl_add_u64 v[4:5], v[4:5], 0, s[20:21]
	v_cndmask_b32_e32 v3, v5, v3, vcc
	v_cndmask_b32_e32 v2, v4, v2, vcc
.LBB44_73:
	v_mul_u32_u24_e32 v5, 0x420, v8
	v_add_u32_e32 v4, 0x2380, v14
	v_mul_u32_u24_e32 v6, 0x108, v11
	s_lshl_b64 s[20:21], s[24:25], 5
	s_mov_b64 s[40:41], 0
	s_waitcnt lgkmcnt(0)
	s_barrier
                                        ; implicit-def: $vgpr7
	s_and_saveexec_b64 s[42:43], s[8:9]
	s_xor_b64 s[8:9], exec, s[42:43]
	s_cbranch_execz .LBB44_77
; %bb.74:
	v_cmp_eq_u32_e32 vcc, v1, v0
                                        ; implicit-def: $vgpr7
	s_and_saveexec_b64 s[42:43], vcc
	s_xor_b64 s[42:43], exec, s[42:43]
; %bb.75:
	s_mov_b64 s[40:41], exec
	v_add_u32_e32 v7, v9, v10
; %bb.76:
	s_or_b64 exec, exec, s[42:43]
	s_and_b64 s[40:41], s[40:41], exec
.LBB44_77:
	s_or_saveexec_b64 s[8:9], s[8:9]
	v_mov_b32_e32 v14, 0
	v_add_u32_e32 v5, v9, v5
	s_xor_b64 exec, exec, s[8:9]
	s_cbranch_execz .LBB44_79
; %bb.78:
	ds_read_b64 v[20:21], v5
	v_lshl_add_u32 v7, v1, 3, v23
	s_or_b64 s[40:41], s[40:41], exec
	s_waitcnt lgkmcnt(0)
	v_xor_b32_e32 v14, 0x80000000, v21
	ds_write_b32 v7, v20
.LBB44_79:
	s_or_b64 exec, exec, s[8:9]
	s_and_saveexec_b64 s[8:9], s[40:41]
; %bb.80:
	ds_write_b32 v7, v14 offset:4
; %bb.81:
	s_or_b64 exec, exec, s[8:9]
	s_mov_b64 s[8:9], 0
                                        ; implicit-def: $vgpr7
	s_and_saveexec_b64 s[40:41], s[10:11]
	s_xor_b64 s[10:11], exec, s[40:41]
	s_cbranch_execz .LBB44_85
; %bb.82:
	v_cmp_eq_u32_e32 vcc, v11, v0
                                        ; implicit-def: $vgpr7
	s_and_saveexec_b64 s[40:41], vcc
; %bb.83:
	s_mov_b64 s[8:9], exec
	v_add_u32_e32 v7, v9, v10
; %bb.84:
	s_or_b64 exec, exec, s[40:41]
	s_and_b64 s[8:9], s[8:9], exec
.LBB44_85:
	s_or_saveexec_b64 s[10:11], s[10:11]
	v_mov_b32_e32 v11, 0
	v_add_u32_e32 v6, v9, v6
	s_xor_b64 exec, exec, s[10:11]
	s_cbranch_execz .LBB44_87
; %bb.86:
	ds_read_b64 v[14:15], v6
	v_lshl_add_u32 v20, v1, 3, v23
	v_add_u32_e32 v7, 8, v20
	s_or_b64 s[8:9], s[8:9], exec
	s_waitcnt lgkmcnt(0)
	v_xor_b32_e32 v11, 0x80000000, v15
	ds_write_b32 v20, v14 offset:8
.LBB44_87:
	s_or_b64 exec, exec, s[10:11]
	s_and_saveexec_b64 s[10:11], s[8:9]
; %bb.88:
	ds_write_b32 v7, v11 offset:4
; %bb.89:
	s_or_b64 exec, exec, s[10:11]
	s_mov_b64 s[8:9], 0
                                        ; implicit-def: $vgpr7
	s_and_saveexec_b64 s[10:11], s[12:13]
	s_xor_b64 s[10:11], exec, s[10:11]
	s_cbranch_execz .LBB44_111
; %bb.90:
	v_cmp_eq_u32_e32 vcc, v12, v0
                                        ; implicit-def: $vgpr7
	s_and_saveexec_b64 s[12:13], vcc
; %bb.91:
	s_mov_b64 s[8:9], exec
	v_add_u32_e32 v7, v9, v10
; %bb.92:
	s_or_b64 exec, exec, s[12:13]
	s_and_b64 s[8:9], s[8:9], exec
	s_or_saveexec_b64 s[10:11], s[10:11]
	v_mov_b32_e32 v11, 0
	s_xor_b64 exec, exec, s[10:11]
	s_cbranch_execnz .LBB44_112
.LBB44_93:
	s_or_b64 exec, exec, s[10:11]
	s_and_saveexec_b64 s[10:11], s[8:9]
.LBB44_94:
	ds_write_b32 v7, v11 offset:4
.LBB44_95:
	s_or_b64 exec, exec, s[10:11]
	s_mov_b64 s[8:9], 0
                                        ; implicit-def: $vgpr7
	s_and_saveexec_b64 s[10:11], s[14:15]
	s_xor_b64 s[10:11], exec, s[10:11]
	s_cbranch_execz .LBB44_113
; %bb.96:
	v_cmp_eq_u32_e32 vcc, v13, v0
                                        ; implicit-def: $vgpr7
	s_and_saveexec_b64 s[12:13], vcc
; %bb.97:
	s_mov_b64 s[8:9], exec
	v_add_u32_e32 v7, v9, v10
; %bb.98:
	s_or_b64 exec, exec, s[12:13]
	s_and_b64 s[8:9], s[8:9], exec
	s_or_saveexec_b64 s[10:11], s[10:11]
	v_mov_b32_e32 v10, 0
	s_xor_b64 exec, exec, s[10:11]
	s_cbranch_execnz .LBB44_114
.LBB44_99:
	s_or_b64 exec, exec, s[10:11]
	s_and_saveexec_b64 s[10:11], s[8:9]
.LBB44_100:
	ds_write_b32 v7, v10 offset:4
.LBB44_101:
	s_or_b64 exec, exec, s[10:11]
	s_waitcnt lgkmcnt(0)
	s_barrier
	ds_read_b64 v[14:15], v5
	ds_read_b128 v[10:13], v4 offset:256
	ds_read2_b64 v[26:29], v6 offset1:33
	ds_read_b64 v[6:7], v6 offset:528
	ds_read_b128 v[36:39], v4 offset:272
	v_cmp_eq_u32_e64 s[8:9], 1, v8
	s_waitcnt lgkmcnt(3)
	v_pk_mul_f32 v[20:21], v[10:11], v[14:15] op_sel:[1,1] op_sel_hi:[0,1]
	v_pk_fma_f32 v[30:31], v[10:11], v[14:15], v[20:21] neg_lo:[0,0,1] neg_hi:[0,0,1]
	v_pk_fma_f32 v[10:11], v[10:11], v[14:15], v[20:21] op_sel_hi:[1,0,1]
	s_waitcnt lgkmcnt(2)
	v_pk_mul_f32 v[14:15], v[12:13], v[26:27] op_sel:[1,1] op_sel_hi:[0,1]
	v_pk_fma_f32 v[20:21], v[12:13], v[26:27], v[14:15] neg_lo:[0,0,1] neg_hi:[0,0,1]
	v_pk_fma_f32 v[12:13], v[12:13], v[26:27], v[14:15] op_sel_hi:[1,0,1]
	v_mov_b32_e32 v31, v11
	v_mov_b32_e32 v21, v13
	s_waitcnt lgkmcnt(0)
	v_pk_mul_f32 v[12:13], v[36:37], v[28:29] op_sel:[1,1] op_sel_hi:[0,1]
	v_pk_add_f32 v[10:11], v[30:31], 0 op_sel_hi:[1,0]
	v_pk_fma_f32 v[14:15], v[36:37], v[28:29], v[12:13] neg_lo:[0,0,1] neg_hi:[0,0,1]
	v_pk_fma_f32 v[12:13], v[36:37], v[28:29], v[12:13] op_sel_hi:[1,0,1]
	v_pk_add_f32 v[10:11], v[10:11], v[20:21]
	v_mov_b32_e32 v15, v13
	v_pk_mul_f32 v[12:13], v[38:39], v[6:7] op_sel:[1,1] op_sel_hi:[0,1]
	v_pk_add_f32 v[10:11], v[10:11], v[14:15]
	v_pk_fma_f32 v[14:15], v[38:39], v[6:7], v[12:13] neg_lo:[0,0,1] neg_hi:[0,0,1]
	v_pk_fma_f32 v[6:7], v[38:39], v[6:7], v[12:13] op_sel_hi:[1,0,1]
	s_nop 0
	v_mov_b32_e32 v15, v7
	v_pk_add_f32 v[6:7], v[10:11], v[14:15]
	s_barrier
	ds_write_b64 v24, v[6:7]
	s_waitcnt lgkmcnt(0)
	s_barrier
	s_and_saveexec_b64 s[10:11], s[8:9]
	s_cbranch_execz .LBB44_103
; %bb.102:
	ds_read2_b64 v[10:13], v23 offset1:7
	ds_read2_b64 v[26:29], v23 offset0:1 offset1:2
	ds_read2_b64 v[34:37], v23 offset0:3 offset1:4
	s_waitcnt lgkmcnt(1)
	v_add_f32_e32 v5, v26, v10
	v_add_f32_e32 v6, v27, v11
	v_add_f32_e32 v5, v28, v5
	v_add_f32_e32 v6, v29, v6
	ds_read2_b64 v[26:29], v23 offset0:5 offset1:6
	s_waitcnt lgkmcnt(1)
	v_add_f32_e32 v5, v5, v34
	v_add_f32_e32 v6, v6, v35
	;; [unrolled: 1-line block ×4, first 2 shown]
	s_waitcnt lgkmcnt(0)
	v_add_f32_e32 v6, v5, v26
	v_add_f32_e32 v7, v7, v27
	v_pk_add_f32 v[6:7], v[6:7], v[28:29]
	s_nop 0
	v_pk_add_f32 v[34:35], v[6:7], v[12:13]
.LBB44_103:
	s_or_b64 exec, exec, s[10:11]
	s_lshl_b64 s[10:11], s[20:21], 3
	v_mov_b32_e32 v5, s11
	v_subrev_co_u32_e64 v20, s[10:11], s10, v2
	s_and_b64 vcc, exec, s[16:17]
	s_nop 0
	v_subb_co_u32_e64 v21, s[10:11], v3, v5, s[10:11]
	s_barrier
	s_cbranch_vccnz .LBB44_115
; %bb.104:
	s_lshl_b64 s[10:11], s[24:25], 6
	v_lshl_add_u64 v[2:3], v[20:21], 0, s[10:11]
	v_lshl_add_u64 v[6:7], v[2:3], 0, s[10:11]
	;; [unrolled: 1-line block ×3, first 2 shown]
	flat_load_dwordx2 v[12:13], v[20:21]
	flat_load_dwordx2 v[14:15], v[2:3]
	;; [unrolled: 1-line block ×4, first 2 shown]
	s_movk_i32 s10, 0x108
	v_mov_b32_e32 v2, 0x840
	v_mov_b32_e32 v3, 0x1080
	v_mov_b32_e32 v11, 0x18c0
	v_mul_u32_u24_e32 v5, 0x108, v8
	v_add_u32_e32 v6, 8, v8
	v_add_u32_e32 v7, 16, v8
	;; [unrolled: 1-line block ×3, first 2 shown]
	v_mad_u32_u24 v25, v8, s10, v9
	v_mad_u32_u24 v2, v8, s10, v2
	;; [unrolled: 1-line block ×4, first 2 shown]
	v_add_u32_e32 v30, v9, v2
	v_add_u32_e32 v31, v9, v3
	;; [unrolled: 1-line block ×3, first 2 shown]
	s_waitcnt vmcnt(0) lgkmcnt(0)
	ds_write_b64 v25, v[12:13]
	ds_write_b64 v30, v[14:15]
	;; [unrolled: 1-line block ×4, first 2 shown]
	s_cbranch_execz .LBB44_116
	s_branch .LBB44_131
.LBB44_105:
	s_or_saveexec_b64 s[12:13], s[12:13]
	v_mov_b32_e32 v6, 0
	s_xor_b64 exec, exec, s[12:13]
	s_cbranch_execz .LBB44_39
.LBB44_106:
	s_movk_i32 s14, 0x108
	v_mad_u32_u24 v5, v11, s14, v9
	ds_read_b64 v[12:13], v5
	v_lshl_add_u32 v7, v1, 3, v4
	v_add_u32_e32 v5, 8, v7
	s_or_b64 s[6:7], s[6:7], exec
	s_waitcnt lgkmcnt(0)
	v_xor_b32_e32 v6, 0x80000000, v13
	ds_write_b32 v7, v12 offset:8
	s_or_b64 exec, exec, s[12:13]
	s_and_saveexec_b64 s[12:13], s[6:7]
	s_cbranch_execnz .LBB44_40
	s_branch .LBB44_41
.LBB44_107:
	s_or_saveexec_b64 s[14:15], s[14:15]
	v_mov_b32_e32 v6, 0
	s_xor_b64 exec, exec, s[14:15]
	s_cbranch_execz .LBB44_45
.LBB44_108:
	s_movk_i32 s16, 0x108
	v_mad_u32_u24 v5, v12, s16, v9
	ds_read_b64 v[14:15], v5
	v_lshl_add_u32 v7, v1, 3, v4
	v_add_u32_e32 v5, 16, v7
	s_or_b64 s[6:7], s[6:7], exec
	s_waitcnt lgkmcnt(0)
	v_xor_b32_e32 v6, 0x80000000, v15
	ds_write_b32 v7, v14 offset:16
	s_or_b64 exec, exec, s[14:15]
	s_and_saveexec_b64 s[14:15], s[6:7]
	s_cbranch_execnz .LBB44_46
	s_branch .LBB44_47
.LBB44_109:
	s_or_saveexec_b64 s[16:17], s[16:17]
	v_mov_b32_e32 v6, 0
	s_xor_b64 exec, exec, s[16:17]
	s_cbranch_execz .LBB44_51
.LBB44_110:
	s_movk_i32 s26, 0x108
	v_mad_u32_u24 v5, v13, s26, v9
	ds_read_b64 v[14:15], v5
	v_lshl_add_u32 v4, v1, 3, v4
	v_add_u32_e32 v5, 24, v4
	s_or_b64 s[6:7], s[6:7], exec
	s_waitcnt lgkmcnt(0)
	v_xor_b32_e32 v6, 0x80000000, v15
	ds_write_b32 v4, v14 offset:24
	s_or_b64 exec, exec, s[16:17]
	s_and_saveexec_b64 s[16:17], s[6:7]
	s_cbranch_execnz .LBB44_52
	s_branch .LBB44_53
.LBB44_111:
	s_or_saveexec_b64 s[10:11], s[10:11]
	v_mov_b32_e32 v11, 0
	s_xor_b64 exec, exec, s[10:11]
	s_cbranch_execz .LBB44_93
.LBB44_112:
	ds_read_b64 v[14:15], v6 offset:264
	v_lshl_add_u32 v12, v1, 3, v23
	v_add_u32_e32 v7, 16, v12
	s_or_b64 s[8:9], s[8:9], exec
	s_waitcnt lgkmcnt(0)
	v_xor_b32_e32 v11, 0x80000000, v15
	ds_write_b32 v12, v14 offset:16
	s_or_b64 exec, exec, s[10:11]
	s_and_saveexec_b64 s[10:11], s[8:9]
	s_cbranch_execnz .LBB44_94
	s_branch .LBB44_95
.LBB44_113:
	s_or_saveexec_b64 s[10:11], s[10:11]
	v_mov_b32_e32 v10, 0
	s_xor_b64 exec, exec, s[10:11]
	s_cbranch_execz .LBB44_99
.LBB44_114:
	ds_read_b64 v[12:13], v6 offset:528
	v_lshl_add_u32 v11, v1, 3, v23
	v_add_u32_e32 v7, 24, v11
	s_or_b64 s[8:9], s[8:9], exec
	s_waitcnt lgkmcnt(0)
	v_xor_b32_e32 v10, 0x80000000, v13
	ds_write_b32 v11, v12 offset:24
	s_or_b64 exec, exec, s[10:11]
	s_and_saveexec_b64 s[10:11], s[8:9]
	s_cbranch_execnz .LBB44_100
	s_branch .LBB44_101
.LBB44_115:
                                        ; implicit-def: $vgpr5
                                        ; implicit-def: $vgpr6
                                        ; implicit-def: $vgpr2
                                        ; implicit-def: $vgpr7
                                        ; implicit-def: $vgpr3
                                        ; implicit-def: $vgpr10
                                        ; implicit-def: $vgpr11
.LBB44_116:
	v_or_b32_e32 v5, 32, v0
	v_lshlrev_b32_e32 v2, 3, v5
	v_sub_co_u32_e32 v2, vcc, v20, v2
	s_ashr_i32 s31, s30, 31
	s_nop 0
	v_subbrev_co_u32_e32 v3, vcc, 0, v21, vcc
	v_lshl_add_u64 v[2:3], s[30:31], 3, v[2:3]
	v_mov_b32_e32 v6, 0
	v_lshl_add_u64 v[2:3], v[2:3], 0, -8
	v_cmp_gt_i32_e32 vcc, s30, v5
	v_cmp_gt_i32_e64 s[10:11], s30, v8
	v_mov_b32_e32 v7, v6
	v_cndmask_b32_e32 v3, v3, v21, vcc
	v_cndmask_b32_e32 v2, v2, v20, vcc
	s_and_saveexec_b64 s[12:13], s[10:11]
	s_cbranch_execz .LBB44_118
; %bb.117:
	flat_load_dwordx2 v[6:7], v[2:3]
.LBB44_118:
	s_or_b64 exec, exec, s[12:13]
	s_movk_i32 s10, 0x108
	v_mad_u32_u24 v10, v8, s10, v9
	s_waitcnt vmcnt(0) lgkmcnt(0)
	ds_write_b64 v10, v[6:7]
	v_add_u32_e32 v6, 8, v8
	v_mul_u32_u24_e32 v5, 0x108, v8
	v_cmp_le_i32_e64 s[10:11], s30, v6
	s_and_saveexec_b64 s[12:13], s[10:11]
	s_xor_b64 s[10:11], exec, s[12:13]
; %bb.119:
	v_mov_b32_e32 v10, 0
	v_add_u32_e32 v7, v5, v9
	v_mov_b32_e32 v11, v10
	ds_write_b64 v7, v[10:11] offset:2112
; %bb.120:
	s_andn2_saveexec_b64 s[10:11], s[10:11]
	s_cbranch_execz .LBB44_122
; %bb.121:
	s_lshl_b64 s[12:13], s[24:25], 6
	v_lshl_add_u64 v[10:11], v[2:3], 0, s[12:13]
	flat_load_dwordx2 v[10:11], v[10:11]
	v_add_u32_e32 v7, v5, v9
	s_waitcnt vmcnt(0) lgkmcnt(0)
	ds_write_b64 v7, v[10:11] offset:2112
.LBB44_122:
	s_or_b64 exec, exec, s[10:11]
	v_add_u32_e32 v7, 16, v8
	v_cmp_le_i32_e64 s[10:11], s30, v7
	s_and_saveexec_b64 s[12:13], s[10:11]
	s_xor_b64 s[10:11], exec, s[12:13]
; %bb.123:
	v_mov_b32_e32 v12, 0
	v_add_u32_e32 v10, v5, v9
	v_mov_b32_e32 v13, v12
	ds_write_b64 v10, v[12:13] offset:4224
; %bb.124:
	s_andn2_saveexec_b64 s[10:11], s[10:11]
	s_cbranch_execz .LBB44_126
; %bb.125:
	s_lshl_b64 s[12:13], s[24:25], 7
	v_lshl_add_u64 v[10:11], v[2:3], 0, s[12:13]
	flat_load_dwordx2 v[10:11], v[10:11]
	v_add_u32_e32 v12, v5, v9
	s_waitcnt vmcnt(0) lgkmcnt(0)
	ds_write_b64 v12, v[10:11] offset:4224
.LBB44_126:
	s_or_b64 exec, exec, s[10:11]
	v_add_u32_e32 v10, 24, v8
	v_cmp_le_i32_e64 s[10:11], s30, v10
                                        ; implicit-def: $vgpr11
	s_and_saveexec_b64 s[12:13], s[10:11]
	s_xor_b64 s[10:11], exec, s[12:13]
; %bb.127:
	v_add_u32_e32 v11, 0x18c0, v5
	v_mov_b32_e32 v14, 0
	v_add_u32_e32 v12, v9, v11
	v_mov_b32_e32 v15, v14
	ds_write_b64 v12, v[14:15]
; %bb.128:
	s_andn2_saveexec_b64 s[10:11], s[10:11]
	s_cbranch_execz .LBB44_130
; %bb.129:
	v_mov_b32_e32 v11, 0xc0
	v_mad_u64_u32 v[12:13], s[12:13], s24, v11, v[2:3]
	s_mul_i32 s12, s25, 0xc0
	s_nop 0
	v_add_u32_e32 v13, s12, v13
	flat_load_dwordx2 v[12:13], v[12:13]
	v_add_u32_e32 v11, 0x18c0, v5
	v_add_u32_e32 v14, v9, v11
	s_waitcnt vmcnt(0) lgkmcnt(0)
	ds_write_b64 v14, v[12:13]
.LBB44_130:
	s_or_b64 exec, exec, s[10:11]
	v_lshlrev_b32_e32 v12, 3, v0
	v_mov_b32_e32 v13, 0
	v_lshl_add_u64 v[2:3], v[2:3], 0, v[12:13]
	s_lshl_b64 s[10:11], s[30:31], 3
	v_mov_b32_e32 v0, s11
	v_subrev_co_u32_e64 v2, s[10:11], s10, v2
	s_nop 1
	v_subb_co_u32_e64 v3, s[10:11], v3, v0, s[10:11]
	s_mov_b64 s[10:11], 0x108
	s_nop 0
	v_lshl_add_u64 v[2:3], v[2:3], 0, s[10:11]
	v_cndmask_b32_e32 v21, v3, v21, vcc
	v_cndmask_b32_e32 v20, v2, v20, vcc
	v_add_u32_e32 v2, 0x840, v5
	v_add_u32_e32 v3, 0x1080, v5
.LBB44_131:
	v_lshlrev_b32_e32 v36, 3, v8
	v_add_u32_e32 v28, v9, v2
	v_lshlrev_b32_e32 v30, 3, v6
	v_add_u32_e32 v38, v9, v3
	;; [unrolled: 2-line block ×3, first 2 shown]
	v_lshlrev_b32_e32 v42, 3, v10
	v_lshl_add_u32 v0, v1, 3, v23
	s_waitcnt lgkmcnt(0)
	s_barrier
	v_add_u32_e32 v25, v9, v5
	ds_read2_b64 v[8:11], v0 offset1:1
	ds_read2_b64 v[0:3], v0 offset0:2 offset1:3
	ds_read_b128 v[12:15], v4 offset:256
	ds_read_b128 v[4:7], v4 offset:272
	ds_read_b64 v[26:27], v25
	ds_read_b64 v[28:29], v28
	ds_read_b64 v[30:31], v30 offset:9088
	ds_read_b64 v[36:37], v36 offset:9088
	ds_read_b64 v[38:39], v38
	ds_read2_b32 v[40:41], v40 offset1:1
	ds_read_b64 v[42:43], v42 offset:9088
	ds_read_b64 v[44:45], v44 offset:9088
	s_waitcnt lgkmcnt(4)
	v_pk_mul_f32 v[46:47], v[36:37], v[26:27] op_sel:[1,1] op_sel_hi:[0,1]
	v_pk_fma_f32 v[48:49], v[36:37], v[26:27], v[46:47] neg_lo:[0,0,1] neg_hi:[0,0,1]
	v_pk_fma_f32 v[26:27], v[36:37], v[26:27], v[46:47] op_sel_hi:[1,0,1]
	v_pk_mul_f32 v[36:37], v[30:31], v[28:29] op_sel:[1,1] op_sel_hi:[0,1]
	v_pk_fma_f32 v[46:47], v[30:31], v[28:29], v[36:37] neg_lo:[0,0,1] neg_hi:[0,0,1]
	v_pk_fma_f32 v[28:29], v[30:31], v[28:29], v[36:37] op_sel_hi:[1,0,1]
	v_mov_b32_e32 v49, v27
	v_mov_b32_e32 v47, v29
	s_waitcnt lgkmcnt(0)
	v_pk_mul_f32 v[28:29], v[44:45], v[38:39] op_sel:[1,1] op_sel_hi:[0,1]
	v_pk_add_f32 v[26:27], v[48:49], 0 op_sel_hi:[1,0]
	v_pk_fma_f32 v[30:31], v[44:45], v[38:39], v[28:29] neg_lo:[0,0,1] neg_hi:[0,0,1]
	v_pk_fma_f32 v[28:29], v[44:45], v[38:39], v[28:29] op_sel_hi:[1,0,1]
	v_pk_add_f32 v[26:27], v[26:27], v[46:47]
	v_mov_b32_e32 v31, v29
	v_pk_mul_f32 v[28:29], v[42:43], v[40:41] op_sel:[1,1] op_sel_hi:[0,1]
	v_pk_add_f32 v[26:27], v[26:27], v[30:31]
	v_pk_fma_f32 v[30:31], v[42:43], v[40:41], v[28:29] neg_lo:[0,0,1] neg_hi:[0,0,1]
	v_pk_fma_f32 v[28:29], v[42:43], v[40:41], v[28:29] op_sel_hi:[1,0,1]
	s_nop 0
	v_mov_b32_e32 v31, v29
	v_pk_add_f32 v[26:27], v[26:27], v[30:31]
	s_barrier
	ds_write_b64 v24, v[26:27]
	s_waitcnt lgkmcnt(0)
	s_barrier
	s_and_saveexec_b64 s[10:11], s[8:9]
	s_cbranch_execz .LBB44_133
; %bb.132:
	ds_read2_b64 v[26:29], v23 offset1:1
	ds_read2_b64 v[36:39], v23 offset0:2 offset1:3
	ds_read2_b64 v[40:43], v23 offset0:4 offset1:5
	s_waitcnt lgkmcnt(2)
	v_pk_add_f32 v[26:27], v[34:35], v[26:27]
	s_nop 0
	v_pk_add_f32 v[30:31], v[26:27], v[28:29]
	ds_read2_b64 v[26:29], v23 offset0:6 offset1:7
	s_waitcnt lgkmcnt(2)
	v_pk_add_f32 v[30:31], v[30:31], v[36:37]
	s_nop 0
	v_pk_add_f32 v[30:31], v[30:31], v[38:39]
	s_waitcnt lgkmcnt(1)
	v_pk_add_f32 v[30:31], v[30:31], v[40:41]
	s_nop 0
	v_pk_add_f32 v[30:31], v[30:31], v[42:43]
	;; [unrolled: 4-line block ×3, first 2 shown]
.LBB44_133:
	s_or_b64 exec, exec, s[10:11]
	v_pk_mul_f32 v[26:27], v[8:9], v[12:13] op_sel:[1,1] op_sel_hi:[1,0]
	s_nop 0
	v_pk_fma_f32 v[28:29], v[8:9], v[12:13], v[26:27]
	v_pk_fma_f32 v[8:9], v[8:9], v[12:13], v[26:27] op_sel_hi:[0,1,1] neg_lo:[0,0,1] neg_hi:[0,0,1]
	v_mov_b32_e32 v12, v11
	v_pk_mul_f32 v[12:13], v[12:13], v[14:15] op_sel:[0,1] op_sel_hi:[0,0]
	v_pk_fma_f32 v[26:27], v[10:11], v[14:15], v[12:13]
	v_pk_fma_f32 v[10:11], v[10:11], v[14:15], v[12:13] op_sel_hi:[0,1,1] neg_lo:[0,0,1] neg_hi:[0,0,1]
	v_mov_b32_e32 v29, v9
	v_mov_b32_e32 v27, v11
	v_pk_mul_f32 v[10:11], v[0:1], v[4:5] op_sel:[1,1] op_sel_hi:[1,0]
	v_pk_add_f32 v[8:9], v[28:29], 0 op_sel_hi:[1,0]
	v_pk_fma_f32 v[12:13], v[0:1], v[4:5], v[10:11]
	v_pk_fma_f32 v[0:1], v[0:1], v[4:5], v[10:11] op_sel_hi:[0,1,1] neg_lo:[0,0,1] neg_hi:[0,0,1]
	v_mov_b32_e32 v4, v3
	v_pk_add_f32 v[8:9], v[8:9], v[26:27]
	v_mov_b32_e32 v13, v1
	v_pk_mul_f32 v[4:5], v[4:5], v[6:7] op_sel:[0,1] op_sel_hi:[0,0]
	v_pk_add_f32 v[0:1], v[8:9], v[12:13]
	v_pk_fma_f32 v[8:9], v[2:3], v[6:7], v[4:5]
	v_pk_fma_f32 v[2:3], v[2:3], v[6:7], v[4:5] op_sel_hi:[0,1,1] neg_lo:[0,0,1] neg_hi:[0,0,1]
	v_mov_b32_e32 v9, v3
	v_pk_add_f32 v[0:1], v[0:1], v[8:9]
	s_barrier
	ds_write_b64 v24, v[0:1]
	s_waitcnt lgkmcnt(0)
	s_barrier
	s_and_saveexec_b64 s[8:9], s[6:7]
	s_cbranch_execz .LBB44_135
; %bb.134:
	ds_read2_b64 v[0:3], v23 offset1:1
	ds_read2_b64 v[4:7], v23 offset0:2 offset1:3
	ds_read2_b64 v[8:11], v23 offset0:4 offset1:5
	s_waitcnt lgkmcnt(2)
	v_pk_add_f32 v[0:1], v[34:35], v[0:1]
	s_nop 0
	v_pk_add_f32 v[12:13], v[0:1], v[2:3]
	ds_read2_b64 v[0:3], v23 offset0:6 offset1:7
	s_waitcnt lgkmcnt(2)
	v_pk_add_f32 v[4:5], v[12:13], v[4:5]
	s_nop 0
	v_pk_add_f32 v[4:5], v[4:5], v[6:7]
	s_waitcnt lgkmcnt(1)
	v_pk_add_f32 v[4:5], v[4:5], v[8:9]
	s_nop 0
	v_pk_add_f32 v[4:5], v[4:5], v[10:11]
	;; [unrolled: 4-line block ×3, first 2 shown]
.LBB44_135:
	s_or_b64 exec, exec, s[8:9]
	s_load_dwordx2 s[0:1], s[0:1], 0x68
	s_mul_hi_u32 s6, s3, s28
	s_mul_i32 s33, s33, s28
	s_add_i32 s6, s6, s33
	s_mul_i32 s8, s3, s28
	s_mul_i32 s6, s6, s29
	s_mul_hi_u32 s7, s8, s29
	s_add_i32 s7, s7, s6
	s_mul_i32 s6, s8, s29
	s_lshl_b64 s[6:7], s[6:7], 3
	s_waitcnt lgkmcnt(0)
	s_add_u32 s6, s0, s6
	s_mul_i32 s0, s3, s2
	s_addc_u32 s7, s1, s7
	s_ashr_i32 s1, s0, 31
	s_lshl_b64 s[0:1], s[0:1], 3
	s_add_u32 s6, s6, s0
	v_cmp_le_i32_e32 vcc, s30, v77
	s_addc_u32 s7, s7, s1
	s_and_b64 vcc, s[38:39], vcc
	s_cmp_lt_i32 s2, 1
	v_lshlrev_b32_e32 v36, 3, v77
	s_barrier
	s_cbranch_scc1 .LBB44_142
; %bb.136:
	s_mul_i32 s0, s22, s35
	s_mul_hi_u32 s1, s22, s34
	s_add_i32 s0, s1, s0
	s_mul_i32 s1, s23, s34
	s_add_i32 s1, s0, s1
	s_mul_i32 s0, s22, s34
	s_lshl_b64 s[0:1], s[0:1], 3
	v_mov_b32_e32 v0, s1
	v_subrev_co_u32_e64 v38, s[0:1], s0, v16
	v_lshlrev_b64 v[2:3], 3, v[18:19]
	s_nop 0
	v_subb_co_u32_e64 v39, s[0:1], v17, v0, s[0:1]
	s_lshl_b64 s[0:1], s[36:37], 3
	s_nop 0
	v_mov_b32_e32 v1, s1
	v_subrev_co_u32_e64 v0, s[0:1], s0, v20
	v_lshlrev_b32_e32 v5, 2, v76
	s_nop 0
	v_subb_co_u32_e64 v1, s[0:1], v21, v1, s[0:1]
	s_movk_i32 s0, 0xff00
	s_mov_b32 s1, -1
	v_lshl_add_u64 v[0:1], v[0:1], 0, s[0:1]
	v_sub_co_u32_e64 v0, s[0:1], v0, v2
	s_ashr_i32 s31, s30, 31
	s_nop 0
	v_subb_co_u32_e64 v1, s[0:1], v1, v3, s[0:1]
	v_mad_u64_u32 v[2:3], s[0:1], s24, v5, 0
	v_mov_b32_e32 v4, v3
	v_mad_u64_u32 v[4:5], s[0:1], s25, v5, v[4:5]
	v_mov_b32_e32 v3, v4
	v_lshl_add_u64 v[0:1], v[2:3], 3, v[0:1]
	v_mov_b32_e32 v41, 0
	v_lshl_add_u64 v[2:3], s[30:31], 3, v[0:1]
	v_mov_b32_e32 v37, v41
	v_lshl_add_u64 v[2:3], v[2:3], 0, -8
	v_lshl_add_u64 v[0:1], v[0:1], 0, v[36:37]
	v_cndmask_b32_e32 v43, v1, v3, vcc
	v_and_b32_e32 v1, 48, v77
	v_lshrrev_b32_e32 v6, 4, v22
	v_and_b32_e32 v7, 15, v77
	v_cndmask_b32_e32 v42, v0, v2, vcc
	v_mov_b32_e32 v0, 0x2180
	s_movk_i32 s3, 0x218
	v_lshlrev_b32_e32 v1, 3, v1
	v_lshl_add_u32 v78, v76, 5, v0
	v_lshlrev_b32_e32 v0, 5, v6
	v_mad_u32_u24 v82, v7, s3, v1
	v_or_b32_e32 v1, 0x78, v36
	v_mad_u32_u24 v81, v7, s3, v0
	v_mad_u32_u24 v83, v7, s3, v1
	s_mul_i32 s3, s25, 24
	s_mul_hi_u32 s14, s24, 24
	s_add_i32 s15, s14, s3
	s_mul_i32 s3, s25, 0x90
	s_mul_hi_u32 s16, s24, 0x90
	s_add_i32 s17, s16, s3
	;; [unrolled: 3-line block ×9, first 2 shown]
	s_mul_i32 s3, s25, 0x108
	s_mul_hi_u32 s33, s24, 0x108
	s_movk_i32 s0, 0x860
	v_mul_i32_i24_e32 v0, 0xffffffe8, v6
	s_add_i32 s43, s33, s3
	s_mul_i32 s3, s25, 0x88
	s_mul_hi_u32 s33, s24, 0x88
	v_add_u32_e32 v37, 0x2180, v36
	v_add_u32_e32 v79, 0x2380, v36
	v_mad_u32_u24 v80, v76, s0, v36
	v_cmp_gt_u32_e64 s[0:1], 64, v22
	s_lshl_b64 s[8:9], s[24:25], 3
	s_lshl_b64 s[10:11], s[24:25], 9
	s_lshl_b64 s[12:13], s[24:25], 4
	s_mul_i32 s14, s24, 24
	s_mul_i32 s16, s24, 0x90
	;; [unrolled: 1-line block ×10, first 2 shown]
	s_add_i32 s45, s33, s3
	s_mul_i32 s44, s24, 0x88
	s_lshl_b64 s[24:25], s[24:25], 7
	s_mov_b32 s3, 0
	v_add_u32_e32 v84, v81, v0
	s_branch .LBB44_138
.LBB44_137:                             ;   in Loop: Header=BB44_138 Depth=1
	s_or_b64 exec, exec, s[46:47]
	v_pk_mul_f32 v[86:87], v[50:51], v[4:5] op_sel:[1,1] op_sel_hi:[0,1]
	v_mov_b32_e32 v40, v7
	v_pk_fma_f32 v[94:95], v[50:51], v[4:5], v[86:87] neg_lo:[0,0,1] neg_hi:[0,0,1]
	v_pk_fma_f32 v[4:5], v[50:51], v[4:5], v[86:87] op_sel_hi:[1,0,1]
	v_pk_mul_f32 v[88:89], v[48:49], v[40:41] op_sel:[1,0] op_sel_hi:[0,0]
	v_mov_b32_e32 v95, v5
	v_pk_mul_f32 v[90:91], v[46:47], v[0:1] op_sel:[1,1] op_sel_hi:[0,1]
	v_pk_add_f32 v[4:5], v[34:35], v[94:95]
	v_pk_fma_f32 v[34:35], v[48:49], v[6:7], v[88:89] neg_lo:[0,0,1] neg_hi:[0,0,1]
	v_pk_fma_f32 v[6:7], v[48:49], v[6:7], v[88:89] op_sel_hi:[1,0,1]
	v_mov_b32_e32 v40, v3
	v_mov_b32_e32 v35, v7
	v_pk_fma_f32 v[6:7], v[46:47], v[0:1], v[90:91] neg_lo:[0,0,1] neg_hi:[0,0,1]
	v_pk_fma_f32 v[0:1], v[46:47], v[0:1], v[90:91] op_sel_hi:[1,0,1]
	v_pk_mul_f32 v[92:93], v[44:45], v[40:41] op_sel:[1,0] op_sel_hi:[0,0]
	v_pk_add_f32 v[4:5], v[4:5], v[34:35]
	v_mov_b32_e32 v7, v1
	v_pk_add_f32 v[0:1], v[4:5], v[6:7]
	v_pk_fma_f32 v[4:5], v[44:45], v[2:3], v[92:93] neg_lo:[0,0,1] neg_hi:[0,0,1]
	v_pk_fma_f32 v[2:3], v[44:45], v[2:3], v[92:93] op_sel_hi:[1,0,1]
	s_add_i32 s3, s3, 64
	v_mov_b32_e32 v5, v3
	v_pk_add_f32 v[0:1], v[0:1], v[4:5]
	v_pk_mul_f32 v[2:3], v[54:55], v[12:13] op_sel:[1,1] op_sel_hi:[0,1]
	v_mov_b32_e32 v4, v15
	v_pk_mul_f32 v[4:5], v[52:53], v[4:5] op_sel:[1,0] op_sel_hi:[0,0]
	v_pk_fma_f32 v[6:7], v[54:55], v[12:13], v[2:3] neg_lo:[0,0,1] neg_hi:[0,0,1]
	v_pk_fma_f32 v[2:3], v[54:55], v[12:13], v[2:3] op_sel_hi:[1,0,1]
	s_add_i32 s2, s2, -1
	v_mov_b32_e32 v7, v3
	v_pk_fma_f32 v[2:3], v[52:53], v[14:15], v[4:5] neg_lo:[0,0,1] neg_hi:[0,0,1]
	v_pk_fma_f32 v[4:5], v[52:53], v[14:15], v[4:5] op_sel_hi:[1,0,1]
	v_pk_add_f32 v[0:1], v[0:1], v[6:7]
	v_mov_b32_e32 v3, v5
	v_pk_add_f32 v[0:1], v[0:1], v[2:3]
	v_pk_mul_f32 v[2:3], v[56:57], v[8:9] op_sel:[1,1] op_sel_hi:[0,1]
	v_pk_fma_f32 v[4:5], v[56:57], v[8:9], v[2:3] neg_lo:[0,0,1] neg_hi:[0,0,1]
	v_pk_fma_f32 v[2:3], v[56:57], v[8:9], v[2:3] op_sel_hi:[1,0,1]
	v_mov_b32_e32 v8, v23
	v_mov_b32_e32 v2, v11
	;; [unrolled: 1-line block ×3, first 2 shown]
	v_pk_mul_f32 v[2:3], v[58:59], v[2:3] op_sel:[1,0] op_sel_hi:[0,0]
	v_pk_fma_f32 v[6:7], v[58:59], v[10:11], v[2:3] neg_lo:[0,0,1] neg_hi:[0,0,1]
	v_pk_fma_f32 v[2:3], v[58:59], v[10:11], v[2:3] op_sel_hi:[1,0,1]
	v_pk_add_f32 v[0:1], v[0:1], v[4:5]
	v_mov_b32_e32 v7, v3
	v_pk_mul_f32 v[2:3], v[66:67], v[16:17] op_sel:[1,1] op_sel_hi:[0,1]
	v_mov_b32_e32 v4, v19
	v_pk_mul_f32 v[4:5], v[64:65], v[4:5] op_sel:[1,0] op_sel_hi:[0,0]
	v_pk_fma_f32 v[10:11], v[66:67], v[16:17], v[2:3] neg_lo:[0,0,1] neg_hi:[0,0,1]
	v_pk_fma_f32 v[2:3], v[66:67], v[16:17], v[2:3] op_sel_hi:[1,0,1]
	v_pk_add_f32 v[0:1], v[0:1], v[6:7]
	v_mov_b32_e32 v11, v3
	v_pk_fma_f32 v[2:3], v[64:65], v[18:19], v[4:5] neg_lo:[0,0,1] neg_hi:[0,0,1]
	v_pk_fma_f32 v[4:5], v[64:65], v[18:19], v[4:5] op_sel_hi:[1,0,1]
	v_pk_mul_f32 v[6:7], v[62:63], v[20:21] op_sel:[1,1] op_sel_hi:[0,1]
	v_pk_add_f32 v[0:1], v[0:1], v[10:11]
	v_mov_b32_e32 v3, v5
	v_pk_add_f32 v[0:1], v[0:1], v[2:3]
	v_pk_fma_f32 v[2:3], v[62:63], v[20:21], v[6:7] neg_lo:[0,0,1] neg_hi:[0,0,1]
	v_pk_fma_f32 v[4:5], v[62:63], v[20:21], v[6:7] op_sel_hi:[1,0,1]
	v_pk_mul_f32 v[8:9], v[60:61], v[8:9] op_sel:[1,0] op_sel_hi:[0,0]
	v_mov_b32_e32 v3, v5
	v_pk_add_f32 v[0:1], v[0:1], v[2:3]
	v_pk_fma_f32 v[2:3], v[60:61], v[22:23], v[8:9] neg_lo:[0,0,1] neg_hi:[0,0,1]
	v_pk_fma_f32 v[4:5], v[60:61], v[22:23], v[8:9] op_sel_hi:[1,0,1]
	v_pk_mul_f32 v[6:7], v[70:71], v[28:29] op_sel:[1,1] op_sel_hi:[0,1]
	v_mov_b32_e32 v3, v5
	v_pk_add_f32 v[0:1], v[0:1], v[2:3]
	v_pk_mul_f32 v[2:3], v[74:75], v[24:25] op_sel:[1,1] op_sel_hi:[0,1]
	v_mov_b32_e32 v4, v27
	v_pk_mul_f32 v[4:5], v[72:73], v[4:5] op_sel:[1,0] op_sel_hi:[0,0]
	v_pk_fma_f32 v[10:11], v[74:75], v[24:25], v[2:3] neg_lo:[0,0,1] neg_hi:[0,0,1]
	v_pk_fma_f32 v[2:3], v[74:75], v[24:25], v[2:3] op_sel_hi:[1,0,1]
	v_mov_b32_e32 v8, v31
	v_mov_b32_e32 v11, v3
	v_pk_fma_f32 v[2:3], v[72:73], v[26:27], v[4:5] neg_lo:[0,0,1] neg_hi:[0,0,1]
	v_pk_fma_f32 v[4:5], v[72:73], v[26:27], v[4:5] op_sel_hi:[1,0,1]
	v_pk_mul_f32 v[8:9], v[68:69], v[8:9] op_sel:[1,0] op_sel_hi:[0,0]
	v_mov_b32_e32 v3, v5
	v_pk_fma_f32 v[4:5], v[70:71], v[28:29], v[6:7] neg_lo:[0,0,1] neg_hi:[0,0,1]
	v_pk_fma_f32 v[6:7], v[70:71], v[28:29], v[6:7] op_sel_hi:[1,0,1]
	v_pk_add_f32 v[0:1], v[0:1], v[10:11]
	v_mov_b32_e32 v5, v7
	v_pk_fma_f32 v[6:7], v[68:69], v[30:31], v[8:9] neg_lo:[0,0,1] neg_hi:[0,0,1]
	v_pk_fma_f32 v[8:9], v[68:69], v[30:31], v[8:9] op_sel_hi:[1,0,1]
	v_pk_add_f32 v[0:1], v[0:1], v[2:3]
	v_mov_b32_e32 v7, v9
	v_pk_add_f32 v[0:1], v[0:1], v[4:5]
	s_cmp_eq_u32 s2, 0
	v_pk_add_f32 v[34:35], v[0:1], v[6:7]
	v_lshl_add_u64 v[42:43], v[42:43], 0, s[10:11]
	s_barrier
	s_cbranch_scc1 .LBB44_142
.LBB44_138:                             ; =>This Inner Loop Header: Depth=1
	s_and_saveexec_b64 s[46:47], s[18:19]
	s_cbranch_execz .LBB44_140
; %bb.139:                              ;   in Loop: Header=BB44_138 Depth=1
	s_mul_i32 s33, s23, s3
	s_mul_hi_u32 s48, s22, s3
	s_add_i32 s49, s48, s33
	s_mul_i32 s48, s22, s3
	v_lshl_add_u64 v[0:1], s[48:49], 3, v[38:39]
	flat_load_dwordx2 v[0:1], v[0:1]
	s_waitcnt vmcnt(0) lgkmcnt(0)
	ds_write_b64 v37, v[0:1]
.LBB44_140:                             ;   in Loop: Header=BB44_138 Depth=1
	s_or_b64 exec, exec, s[46:47]
	v_lshl_add_u64 v[0:1], v[42:43], 0, s[8:9]
	s_waitcnt lgkmcnt(0)
	s_barrier
	flat_load_dwordx2 v[50:51], v[42:43]
	flat_load_dwordx2 v[48:49], v[0:1]
	v_lshl_add_u64 v[0:1], v[42:43], 0, s[12:13]
	flat_load_dwordx2 v[46:47], v[0:1]
	v_lshl_add_u64 v[0:1], v[42:43], 0, s[14:15]
	flat_load_dwordx2 v[44:45], v[0:1]
	ds_read_b64 v[8:9], v79
	ds_read_b128 v[4:7], v78
	ds_read_b128 v[0:3], v78 offset:16
	v_lshl_add_u64 v[10:11], v[42:43], 0, s[24:25]
	v_lshl_add_u64 v[70:71], v[42:43], 0, s[40:41]
	s_waitcnt vmcnt(0) lgkmcnt(0)
	v_mul_f32_e32 v12, v51, v9
	v_mul_f32_e32 v13, v51, v8
	;; [unrolled: 1-line block ×8, first 2 shown]
	v_fmac_f32_e32 v12, v50, v8
	v_fma_f32 v13, v50, v9, -v13
	v_fmac_f32_e32 v14, v48, v8
	v_fma_f32 v15, v48, v9, -v15
	;; [unrolled: 2-line block ×4, first 2 shown]
	v_lshl_add_u64 v[8:9], v[42:43], 0, s[44:45]
	ds_write2_b64 v80, v[12:13], v[14:15] offset1:67
	ds_write2_b64 v80, v[16:17], v[18:19] offset0:134 offset1:201
	s_waitcnt lgkmcnt(0)
	s_barrier
	ds_read2_b64 v[24:27], v81 offset1:1
	ds_read2_b64 v[28:31], v81 offset0:2 offset1:3
	s_waitcnt lgkmcnt(0)
	s_barrier
	flat_load_dwordx2 v[54:55], v[10:11]
	flat_load_dwordx2 v[52:53], v[8:9]
	v_lshl_add_u64 v[8:9], v[42:43], 0, s[16:17]
	flat_load_dwordx2 v[56:57], v[8:9]
	v_lshl_add_u64 v[8:9], v[42:43], 0, s[20:21]
	flat_load_dwordx2 v[58:59], v[8:9]
	ds_read_b64 v[16:17], v79
	v_lshl_add_u64 v[18:19], v[42:43], 0, s[26:27]
	ds_read_b128 v[12:15], v78 offset:128
	ds_read_b128 v[8:11], v78 offset:144
	v_pk_add_f32 v[24:25], v[24:25], 0 op_sel_hi:[1,0]
	s_waitcnt vmcnt(0) lgkmcnt(0)
	v_mul_f32_e32 v20, v55, v17
	v_mul_f32_e32 v21, v55, v16
	;; [unrolled: 1-line block ×8, first 2 shown]
	v_fma_f32 v21, v54, v17, -v21
	v_fmac_f32_e32 v20, v54, v16
	v_fmac_f32_e32 v22, v52, v16
	v_fma_f32 v23, v52, v17, -v23
	v_fmac_f32_e32 v60, v56, v16
	v_fma_f32 v61, v56, v17, -v40
	;; [unrolled: 2-line block ×3, first 2 shown]
	v_lshl_add_u64 v[16:17], v[42:43], 0, s[42:43]
	ds_write2_b64 v80, v[20:21], v[22:23] offset1:67
	ds_write2_b64 v80, v[60:61], v[62:63] offset0:134 offset1:201
	s_waitcnt lgkmcnt(0)
	s_barrier
	ds_read2_b64 v[86:89], v81 offset1:1
	ds_read2_b64 v[90:93], v81 offset0:2 offset1:3
	s_waitcnt lgkmcnt(0)
	s_barrier
	flat_load_dwordx2 v[66:67], v[18:19]
	flat_load_dwordx2 v[64:65], v[16:17]
	v_lshl_add_u64 v[16:17], v[42:43], 0, s[28:29]
	flat_load_dwordx2 v[62:63], v[16:17]
	v_lshl_add_u64 v[16:17], v[42:43], 0, s[30:31]
	flat_load_dwordx2 v[60:61], v[16:17]
	ds_read_b64 v[68:69], v79
	ds_read_b128 v[16:19], v78 offset:256
	ds_read_b128 v[20:23], v78 offset:272
	v_pk_add_f32 v[24:25], v[24:25], v[26:27]
	s_waitcnt vmcnt(0) lgkmcnt(0)
	v_mul_f32_e32 v72, v67, v69
	v_mul_f32_e32 v40, v67, v68
	;; [unrolled: 1-line block ×8, first 2 shown]
	v_fma_f32 v73, v66, v69, -v40
	v_fma_f32 v75, v64, v69, -v75
	;; [unrolled: 1-line block ×4, first 2 shown]
	v_fmac_f32_e32 v72, v66, v68
	v_fmac_f32_e32 v74, v64, v68
	;; [unrolled: 1-line block ×4, first 2 shown]
	v_lshl_add_u64 v[68:69], v[42:43], 0, s[38:39]
	ds_write2_b64 v80, v[72:73], v[74:75] offset1:67
	ds_write2_b64 v80, v[94:95], v[96:97] offset0:134 offset1:201
	s_waitcnt lgkmcnt(0)
	s_barrier
	ds_read2_b64 v[94:97], v81 offset1:1
	ds_read2_b64 v[98:101], v81 offset0:2 offset1:3
	s_waitcnt lgkmcnt(0)
	s_barrier
	flat_load_dwordx2 v[74:75], v[70:71]
	flat_load_dwordx2 v[72:73], v[68:69]
	v_lshl_add_u64 v[68:69], v[42:43], 0, s[34:35]
	flat_load_dwordx2 v[70:71], v[68:69]
	v_lshl_add_u64 v[68:69], v[42:43], 0, s[36:37]
	flat_load_dwordx2 v[68:69], v[68:69]
	v_pk_add_f32 v[24:25], v[24:25], v[28:29]
	s_nop 0
	v_pk_add_f32 v[102:103], v[24:25], v[30:31]
	v_pk_add_f32 v[24:25], v[86:87], 0 op_sel_hi:[1,0]
	s_nop 0
	v_pk_add_f32 v[24:25], v[24:25], v[88:89]
	v_pk_add_f32 v[88:89], v[94:95], 0 op_sel_hi:[1,0]
	v_pk_add_f32 v[24:25], v[24:25], v[90:91]
	v_pk_add_f32 v[88:89], v[88:89], v[96:97]
	;; [unrolled: 1-line block ×3, first 2 shown]
	ds_read_b64 v[86:87], v79
	ds_read_b128 v[24:27], v78 offset:384
	ds_read_b128 v[28:31], v78 offset:400
	v_pk_add_f32 v[88:89], v[88:89], v[98:99]
	s_waitcnt vmcnt(0) lgkmcnt(0)
	v_mul_f32_e32 v40, v75, v86
	v_pk_add_f32 v[94:95], v[88:89], v[100:101]
	v_mul_f32_e32 v88, v75, v87
	v_mul_f32_e32 v85, v73, v86
	;; [unrolled: 1-line block ×7, first 2 shown]
	v_fma_f32 v89, v74, v87, -v40
	v_fma_f32 v91, v72, v87, -v85
	v_fmac_f32_e32 v88, v74, v86
	v_fmac_f32_e32 v90, v72, v86
	v_fma_f32 v93, v70, v87, -v93
	v_fmac_f32_e32 v92, v70, v86
	v_fma_f32 v97, v68, v87, -v97
	v_fmac_f32_e32 v96, v68, v86
	ds_write2_b64 v80, v[88:89], v[90:91] offset1:67
	ds_write2_b64 v80, v[92:93], v[96:97] offset0:134 offset1:201
	s_waitcnt lgkmcnt(0)
	s_barrier
	ds_read2_b64 v[86:89], v81 offset1:1
	ds_read2_b64 v[90:93], v81 offset0:2 offset1:3
	s_waitcnt lgkmcnt(0)
	s_barrier
	v_pk_add_f32 v[86:87], v[86:87], 0 op_sel_hi:[1,0]
	ds_write2_b64 v84, v[102:103], v[104:105] offset1:16
	v_pk_add_f32 v[86:87], v[86:87], v[88:89]
	s_nop 0
	v_pk_add_f32 v[86:87], v[86:87], v[90:91]
	s_nop 0
	v_pk_add_f32 v[86:87], v[86:87], v[92:93]
	ds_write2_b64 v84, v[94:95], v[86:87] offset0:32 offset1:48
	s_waitcnt lgkmcnt(0)
	s_barrier
	s_and_saveexec_b64 s[46:47], s[0:1]
	s_cbranch_execz .LBB44_137
; %bb.141:                              ;   in Loop: Header=BB44_138 Depth=1
	ds_read_b64 v[94:95], v82
	ds_read2_b64 v[86:89], v82 offset0:1 offset1:2
	ds_read2_b64 v[90:93], v82 offset0:3 offset1:4
	s_waitcnt lgkmcnt(1)
	v_add_f32_e32 v40, v86, v94
	v_add_f32_e32 v85, v87, v95
	;; [unrolled: 1-line block ×4, first 2 shown]
	ds_read2_b64 v[86:89], v82 offset0:5 offset1:6
	s_waitcnt lgkmcnt(1)
	v_add_f32_e32 v40, v40, v90
	v_add_f32_e32 v85, v85, v91
	;; [unrolled: 1-line block ×4, first 2 shown]
	ds_read2_b64 v[90:93], v82 offset0:7 offset1:8
	s_waitcnt lgkmcnt(1)
	v_pk_add_f32 v[86:87], v[94:95], v[86:87]
	ds_read2_b64 v[94:97], v82 offset0:9 offset1:10
	v_pk_add_f32 v[86:87], v[86:87], v[88:89]
	v_add_u32_e32 v40, s3, v77
	s_waitcnt lgkmcnt(1)
	v_pk_add_f32 v[86:87], v[86:87], v[90:91]
	v_lshl_add_u64 v[98:99], v[40:41], 3, s[6:7]
	v_pk_add_f32 v[90:91], v[86:87], v[92:93]
	ds_read2_b64 v[86:89], v82 offset0:11 offset1:12
	s_waitcnt lgkmcnt(1)
	v_pk_add_f32 v[94:95], v[90:91], v[94:95]
	ds_read2_b64 v[90:93], v82 offset0:13 offset1:14
	v_pk_add_f32 v[94:95], v[94:95], v[96:97]
	ds_read_b64 v[96:97], v83
	s_waitcnt lgkmcnt(2)
	v_pk_add_f32 v[86:87], v[94:95], v[86:87]
	s_nop 0
	v_pk_add_f32 v[86:87], v[86:87], v[88:89]
	s_waitcnt lgkmcnt(1)
	v_pk_add_f32 v[86:87], v[86:87], v[90:91]
	s_nop 0
	v_pk_add_f32 v[86:87], v[86:87], v[92:93]
	s_waitcnt lgkmcnt(0)
	v_pk_add_f32 v[86:87], v[86:87], v[96:97]
	global_store_dwordx2 v[98:99], v[86:87], off
	s_branch .LBB44_137
.LBB44_142:
	s_movk_i32 s0, 0x218
	v_mad_u32_u24 v0, v76, s0, v36
	s_nor_b64 s[0:1], s[4:5], vcc
	ds_write_b64 v0, v[34:35]
	s_waitcnt lgkmcnt(0)
	s_barrier
	s_and_saveexec_b64 s[2:3], s[0:1]
	s_cbranch_execz .LBB44_144
; %bb.143:
	ds_read2_b64 v[0:3], v36 offset1:67
	ds_read2_b64 v[4:7], v36 offset0:134 offset1:201
	v_lshl_add_u64 v[8:9], v[32:33], 3, s[6:7]
	s_waitcnt lgkmcnt(1)
	v_pk_add_f32 v[0:1], v[2:3], v[0:1]
	s_waitcnt lgkmcnt(0)
	v_pk_add_f32 v[0:1], v[4:5], v[0:1]
	s_nop 0
	v_pk_add_f32 v[0:1], v[0:1], v[6:7]
	global_store_dwordx2 v[8:9], v[0:1], off
.LBB44_144:
	s_endpgm
	.section	.rodata,"a",@progbits
	.p2align	6, 0x0
	.amdhsa_kernel _ZL26rocblas_hemvn_kernel_lowerILb1ELi64ELi4ELi33ELi32ELi16El19rocblas_complex_numIfEPKPKS1_PS1_EviT6_lT7_lT5_lS8_lS9_lS7_lT8_i
		.amdhsa_group_segment_fixed_size 9600
		.amdhsa_private_segment_fixed_size 0
		.amdhsa_kernarg_size 376
		.amdhsa_user_sgpr_count 2
		.amdhsa_user_sgpr_dispatch_ptr 0
		.amdhsa_user_sgpr_queue_ptr 0
		.amdhsa_user_sgpr_kernarg_segment_ptr 1
		.amdhsa_user_sgpr_dispatch_id 0
		.amdhsa_user_sgpr_kernarg_preload_length 0
		.amdhsa_user_sgpr_kernarg_preload_offset 0
		.amdhsa_user_sgpr_private_segment_size 0
		.amdhsa_uses_dynamic_stack 0
		.amdhsa_enable_private_segment 0
		.amdhsa_system_sgpr_workgroup_id_x 1
		.amdhsa_system_sgpr_workgroup_id_y 0
		.amdhsa_system_sgpr_workgroup_id_z 1
		.amdhsa_system_sgpr_workgroup_info 0
		.amdhsa_system_vgpr_workitem_id 1
		.amdhsa_next_free_vgpr 106
		.amdhsa_next_free_sgpr 50
		.amdhsa_accum_offset 108
		.amdhsa_reserve_vcc 1
		.amdhsa_float_round_mode_32 0
		.amdhsa_float_round_mode_16_64 0
		.amdhsa_float_denorm_mode_32 3
		.amdhsa_float_denorm_mode_16_64 3
		.amdhsa_dx10_clamp 1
		.amdhsa_ieee_mode 1
		.amdhsa_fp16_overflow 0
		.amdhsa_tg_split 0
		.amdhsa_exception_fp_ieee_invalid_op 0
		.amdhsa_exception_fp_denorm_src 0
		.amdhsa_exception_fp_ieee_div_zero 0
		.amdhsa_exception_fp_ieee_overflow 0
		.amdhsa_exception_fp_ieee_underflow 0
		.amdhsa_exception_fp_ieee_inexact 0
		.amdhsa_exception_int_div_zero 0
	.end_amdhsa_kernel
	.section	.text._ZL26rocblas_hemvn_kernel_lowerILb1ELi64ELi4ELi33ELi32ELi16El19rocblas_complex_numIfEPKPKS1_PS1_EviT6_lT7_lT5_lS8_lS9_lS7_lT8_i,"axG",@progbits,_ZL26rocblas_hemvn_kernel_lowerILb1ELi64ELi4ELi33ELi32ELi16El19rocblas_complex_numIfEPKPKS1_PS1_EviT6_lT7_lT5_lS8_lS9_lS7_lT8_i,comdat
.Lfunc_end44:
	.size	_ZL26rocblas_hemvn_kernel_lowerILb1ELi64ELi4ELi33ELi32ELi16El19rocblas_complex_numIfEPKPKS1_PS1_EviT6_lT7_lT5_lS8_lS9_lS7_lT8_i, .Lfunc_end44-_ZL26rocblas_hemvn_kernel_lowerILb1ELi64ELi4ELi33ELi32ELi16El19rocblas_complex_numIfEPKPKS1_PS1_EviT6_lT7_lT5_lS8_lS9_lS7_lT8_i
                                        ; -- End function
	.set _ZL26rocblas_hemvn_kernel_lowerILb1ELi64ELi4ELi33ELi32ELi16El19rocblas_complex_numIfEPKPKS1_PS1_EviT6_lT7_lT5_lS8_lS9_lS7_lT8_i.num_vgpr, 106
	.set _ZL26rocblas_hemvn_kernel_lowerILb1ELi64ELi4ELi33ELi32ELi16El19rocblas_complex_numIfEPKPKS1_PS1_EviT6_lT7_lT5_lS8_lS9_lS7_lT8_i.num_agpr, 0
	.set _ZL26rocblas_hemvn_kernel_lowerILb1ELi64ELi4ELi33ELi32ELi16El19rocblas_complex_numIfEPKPKS1_PS1_EviT6_lT7_lT5_lS8_lS9_lS7_lT8_i.numbered_sgpr, 50
	.set _ZL26rocblas_hemvn_kernel_lowerILb1ELi64ELi4ELi33ELi32ELi16El19rocblas_complex_numIfEPKPKS1_PS1_EviT6_lT7_lT5_lS8_lS9_lS7_lT8_i.num_named_barrier, 0
	.set _ZL26rocblas_hemvn_kernel_lowerILb1ELi64ELi4ELi33ELi32ELi16El19rocblas_complex_numIfEPKPKS1_PS1_EviT6_lT7_lT5_lS8_lS9_lS7_lT8_i.private_seg_size, 0
	.set _ZL26rocblas_hemvn_kernel_lowerILb1ELi64ELi4ELi33ELi32ELi16El19rocblas_complex_numIfEPKPKS1_PS1_EviT6_lT7_lT5_lS8_lS9_lS7_lT8_i.uses_vcc, 1
	.set _ZL26rocblas_hemvn_kernel_lowerILb1ELi64ELi4ELi33ELi32ELi16El19rocblas_complex_numIfEPKPKS1_PS1_EviT6_lT7_lT5_lS8_lS9_lS7_lT8_i.uses_flat_scratch, 0
	.set _ZL26rocblas_hemvn_kernel_lowerILb1ELi64ELi4ELi33ELi32ELi16El19rocblas_complex_numIfEPKPKS1_PS1_EviT6_lT7_lT5_lS8_lS9_lS7_lT8_i.has_dyn_sized_stack, 0
	.set _ZL26rocblas_hemvn_kernel_lowerILb1ELi64ELi4ELi33ELi32ELi16El19rocblas_complex_numIfEPKPKS1_PS1_EviT6_lT7_lT5_lS8_lS9_lS7_lT8_i.has_recursion, 0
	.set _ZL26rocblas_hemvn_kernel_lowerILb1ELi64ELi4ELi33ELi32ELi16El19rocblas_complex_numIfEPKPKS1_PS1_EviT6_lT7_lT5_lS8_lS9_lS7_lT8_i.has_indirect_call, 0
	.section	.AMDGPU.csdata,"",@progbits
; Kernel info:
; codeLenInByte = 8264
; TotalNumSgprs: 56
; NumVgprs: 106
; NumAgprs: 0
; TotalNumVgprs: 106
; ScratchSize: 0
; MemoryBound: 1
; FloatMode: 240
; IeeeMode: 1
; LDSByteSize: 9600 bytes/workgroup (compile time only)
; SGPRBlocks: 6
; VGPRBlocks: 13
; NumSGPRsForWavesPerEU: 56
; NumVGPRsForWavesPerEU: 106
; AccumOffset: 108
; Occupancy: 4
; WaveLimiterHint : 1
; COMPUTE_PGM_RSRC2:SCRATCH_EN: 0
; COMPUTE_PGM_RSRC2:USER_SGPR: 2
; COMPUTE_PGM_RSRC2:TRAP_HANDLER: 0
; COMPUTE_PGM_RSRC2:TGID_X_EN: 1
; COMPUTE_PGM_RSRC2:TGID_Y_EN: 0
; COMPUTE_PGM_RSRC2:TGID_Z_EN: 1
; COMPUTE_PGM_RSRC2:TIDIG_COMP_CNT: 1
; COMPUTE_PGM_RSRC3_GFX90A:ACCUM_OFFSET: 26
; COMPUTE_PGM_RSRC3_GFX90A:TG_SPLIT: 0
	.section	.text._ZL36rocblas_hemvn_kernel_lower_block_sumILi64El19rocblas_complex_numIfEPKPS1_S1_EviT1_lS5_lT2_lT0_lPT3_i,"axG",@progbits,_ZL36rocblas_hemvn_kernel_lower_block_sumILi64El19rocblas_complex_numIfEPKPS1_S1_EviT1_lS5_lT2_lT0_lPT3_i,comdat
	.globl	_ZL36rocblas_hemvn_kernel_lower_block_sumILi64El19rocblas_complex_numIfEPKPS1_S1_EviT1_lS5_lT2_lT0_lPT3_i ; -- Begin function _ZL36rocblas_hemvn_kernel_lower_block_sumILi64El19rocblas_complex_numIfEPKPS1_S1_EviT1_lS5_lT2_lT0_lPT3_i
	.p2align	8
	.type	_ZL36rocblas_hemvn_kernel_lower_block_sumILi64El19rocblas_complex_numIfEPKPS1_S1_EviT1_lS5_lT2_lT0_lPT3_i,@function
_ZL36rocblas_hemvn_kernel_lower_block_sumILi64El19rocblas_complex_numIfEPKPS1_S1_EviT1_lS5_lT2_lT0_lPT3_i: ; @_ZL36rocblas_hemvn_kernel_lower_block_sumILi64El19rocblas_complex_numIfEPKPS1_S1_EviT1_lS5_lT2_lT0_lPT3_i
; %bb.0:
	s_load_dwordx4 s[8:11], s[0:1], 0x0
	s_load_dwordx2 s[12:13], s[0:1], 0x18
	s_mov_b32 s16, s3
	s_mov_b32 s17, 0
	s_waitcnt lgkmcnt(0)
	s_or_b32 s3, s9, s10
	s_bitset0_b32 s3, 31
	s_cmp_eq_u32 s3, 0
	v_cmp_eq_f32_e64 s[4:5], s12, 1.0
	v_cmp_eq_f32_e64 s[6:7], s13, 0
	s_cselect_b64 s[18:19], -1, 0
	s_and_b64 s[4:5], s[4:5], s[6:7]
	s_and_b64 s[4:5], s[18:19], s[4:5]
	s_and_b64 vcc, exec, s[4:5]
	s_cbranch_vccnz .LBB45_17
; %bb.1:
	s_mov_b32 s15, s10
	s_load_dwordx2 s[10:11], s[0:1], 0x28
	s_load_dwordx4 s[4:7], s[0:1], 0x30
	s_lshl_b64 s[20:21], s[16:17], 3
	v_lshl_or_b32 v8, s2, 6, v0
	s_mov_b32 s14, s9
	s_waitcnt lgkmcnt(0)
	s_add_u32 s10, s10, s20
	s_addc_u32 s11, s11, s21
	s_load_dwordx2 s[10:11], s[10:11], 0x0
	s_lshl_b64 s[4:5], s[4:5], 3
	s_mov_b64 s[20:21], -1
	s_waitcnt lgkmcnt(0)
	s_add_u32 s10, s10, s4
	s_addc_u32 s11, s11, s5
	s_andn2_b64 vcc, exec, s[18:19]
	v_cmp_gt_i32_e64 s[4:5], s8, v8
	s_cbranch_vccnz .LBB45_7
; %bb.2:
	s_and_saveexec_b64 s[18:19], s[4:5]
	s_cbranch_execz .LBB45_6
; %bb.3:
	v_ashrrev_i32_e32 v0, 31, v8
	v_cmp_neq_f32_e64 s[4:5], s12, 0
	v_cmp_neq_f32_e64 s[20:21], s13, 0
	v_mul_lo_u32 v1, s7, v8
	v_mul_lo_u32 v0, s6, v0
	v_mad_u64_u32 v[2:3], s[22:23], s6, v8, 0
	v_add3_u32 v3, v3, v0, v1
	s_or_b64 s[4:5], s[4:5], s[20:21]
	v_mov_b32_e32 v0, 0
	s_andn2_b64 vcc, exec, s[4:5]
	v_lshl_add_u64 v[2:3], v[2:3], 3, s[10:11]
	v_mov_b32_e32 v1, 0
	s_cbranch_vccnz .LBB45_5
; %bb.4:
	flat_load_dwordx2 v[4:5], v[2:3]
	s_waitcnt vmcnt(0) lgkmcnt(0)
	v_pk_mul_f32 v[6:7], v[4:5], s[12:13] op_sel:[1,1] op_sel_hi:[1,0]
	s_nop 0
	v_pk_fma_f32 v[0:1], v[4:5], s[12:13], v[6:7] neg_lo:[0,0,1] neg_hi:[0,0,1]
	v_pk_fma_f32 v[4:5], v[4:5], s[12:13], v[6:7] op_sel_hi:[0,1,1]
	v_mov_b32_e32 v1, v5
.LBB45_5:
	flat_store_dwordx2 v[2:3], v[0:1]
.LBB45_6:
	s_or_b64 exec, exec, s[18:19]
	s_mov_b64 s[20:21], 0
.LBB45_7:
	s_andn2_b64 vcc, exec, s[20:21]
	s_cbranch_vccnz .LBB45_17
; %bb.8:
	v_cmp_gt_i32_e32 vcc, s8, v8
	s_and_saveexec_b64 s[4:5], vcc
	s_cbranch_execz .LBB45_17
; %bb.9:
	s_load_dword s3, s[0:1], 0x58
	v_mov_b32_e32 v1, 0
	v_mov_b32_e32 v0, v1
	s_waitcnt lgkmcnt(0)
	s_cmp_ge_i32 s2, s3
	s_cbranch_scc1 .LBB45_12
; %bb.10:
	s_ashr_i32 s9, s8, 31
	s_mul_i32 s4, s8, s2
	s_load_dwordx2 s[0:1], s[0:1], 0x48
	v_add_u32_e32 v0, s4, v8
	s_mul_hi_u32 s4, s8, s16
	s_mul_i32 s5, s9, s16
	s_add_i32 s4, s4, s5
	s_mul_i32 s16, s8, s16
	s_mul_i32 s4, s4, s3
	s_mul_hi_u32 s5, s16, s3
	s_add_i32 s5, s5, s4
	s_mul_i32 s4, s16, s3
	s_lshl_b64 s[4:5], s[4:5], 3
	s_waitcnt lgkmcnt(0)
	s_add_u32 s0, s0, s4
	v_ashrrev_i32_e32 v1, 31, v0
	s_addc_u32 s1, s1, s5
	v_lshl_add_u64 v[2:3], v[0:1], 3, s[0:1]
	v_mov_b32_e32 v0, 0
	s_lshl_b64 s[0:1], s[8:9], 3
	v_mov_b32_e32 v1, v0
.LBB45_11:                              ; =>This Inner Loop Header: Depth=1
	global_load_dwordx2 v[4:5], v[2:3], off
	s_add_i32 s2, s2, 1
	v_lshl_add_u64 v[2:3], v[2:3], 0, s[0:1]
	s_cmp_ge_i32 s2, s3
	s_waitcnt vmcnt(0)
	v_pk_add_f32 v[0:1], v[0:1], v[4:5]
	s_cbranch_scc0 .LBB45_11
.LBB45_12:
	v_cmp_neq_f32_e64 s[0:1], s12, 0
	v_cmp_neq_f32_e64 s[2:3], s13, 0
	s_or_b64 s[0:1], s[0:1], s[2:3]
	v_pk_mul_f32 v[6:7], v[0:1], s[14:15] op_sel:[1,1] op_sel_hi:[1,0]
	v_ashrrev_i32_e32 v4, 31, v8
	s_andn2_b64 vcc, exec, s[0:1]
	v_pk_fma_f32 v[2:3], v[0:1], s[14:15], v[6:7] op_sel_hi:[0,1,1]
	v_mul_lo_u32 v9, s7, v8
	v_mul_lo_u32 v10, s6, v4
	s_cbranch_vccz .LBB45_14
; %bb.13:
	v_pk_mul_f32 v[12:13], v[0:1], s[14:15]
	v_mad_u64_u32 v[4:5], s[0:1], s6, v8, 0
	v_add3_u32 v5, v5, v10, v9
	v_sub_f32_e32 v2, v12, v6
	s_cbranch_execz .LBB45_15
	s_branch .LBB45_16
.LBB45_14:
                                        ; implicit-def: $vgpr4_vgpr5
.LBB45_15:
	v_mad_u64_u32 v[4:5], s[0:1], s6, v8, 0
	v_add3_u32 v5, v5, v10, v9
	v_lshl_add_u64 v[8:9], v[4:5], 3, s[10:11]
	flat_load_dwordx2 v[8:9], v[8:9]
	v_pk_fma_f32 v[0:1], v[0:1], s[14:15], v[6:7] neg_lo:[0,0,1] neg_hi:[0,0,1]
	s_waitcnt vmcnt(0) lgkmcnt(0)
	v_pk_mul_f32 v[6:7], v[8:9], s[12:13] op_sel:[1,1] op_sel_hi:[1,0]
	s_nop 0
	v_pk_fma_f32 v[10:11], v[8:9], s[12:13], v[6:7] neg_lo:[0,0,1] neg_hi:[0,0,1]
	v_pk_fma_f32 v[6:7], v[8:9], s[12:13], v[6:7] op_sel_hi:[0,1,1]
	v_mov_b32_e32 v11, v7
	v_mov_b32_e32 v1, v3
	v_pk_add_f32 v[2:3], v[0:1], v[10:11]
.LBB45_16:
	v_lshl_add_u64 v[0:1], v[4:5], 3, s[10:11]
	flat_store_dwordx2 v[0:1], v[2:3]
.LBB45_17:
	s_endpgm
	.section	.rodata,"a",@progbits
	.p2align	6, 0x0
	.amdhsa_kernel _ZL36rocblas_hemvn_kernel_lower_block_sumILi64El19rocblas_complex_numIfEPKPS1_S1_EviT1_lS5_lT2_lT0_lPT3_i
		.amdhsa_group_segment_fixed_size 0
		.amdhsa_private_segment_fixed_size 0
		.amdhsa_kernarg_size 344
		.amdhsa_user_sgpr_count 2
		.amdhsa_user_sgpr_dispatch_ptr 0
		.amdhsa_user_sgpr_queue_ptr 0
		.amdhsa_user_sgpr_kernarg_segment_ptr 1
		.amdhsa_user_sgpr_dispatch_id 0
		.amdhsa_user_sgpr_kernarg_preload_length 0
		.amdhsa_user_sgpr_kernarg_preload_offset 0
		.amdhsa_user_sgpr_private_segment_size 0
		.amdhsa_uses_dynamic_stack 0
		.amdhsa_enable_private_segment 0
		.amdhsa_system_sgpr_workgroup_id_x 1
		.amdhsa_system_sgpr_workgroup_id_y 0
		.amdhsa_system_sgpr_workgroup_id_z 1
		.amdhsa_system_sgpr_workgroup_info 0
		.amdhsa_system_vgpr_workitem_id 0
		.amdhsa_next_free_vgpr 14
		.amdhsa_next_free_sgpr 24
		.amdhsa_accum_offset 16
		.amdhsa_reserve_vcc 1
		.amdhsa_float_round_mode_32 0
		.amdhsa_float_round_mode_16_64 0
		.amdhsa_float_denorm_mode_32 3
		.amdhsa_float_denorm_mode_16_64 3
		.amdhsa_dx10_clamp 1
		.amdhsa_ieee_mode 1
		.amdhsa_fp16_overflow 0
		.amdhsa_tg_split 0
		.amdhsa_exception_fp_ieee_invalid_op 0
		.amdhsa_exception_fp_denorm_src 0
		.amdhsa_exception_fp_ieee_div_zero 0
		.amdhsa_exception_fp_ieee_overflow 0
		.amdhsa_exception_fp_ieee_underflow 0
		.amdhsa_exception_fp_ieee_inexact 0
		.amdhsa_exception_int_div_zero 0
	.end_amdhsa_kernel
	.section	.text._ZL36rocblas_hemvn_kernel_lower_block_sumILi64El19rocblas_complex_numIfEPKPS1_S1_EviT1_lS5_lT2_lT0_lPT3_i,"axG",@progbits,_ZL36rocblas_hemvn_kernel_lower_block_sumILi64El19rocblas_complex_numIfEPKPS1_S1_EviT1_lS5_lT2_lT0_lPT3_i,comdat
.Lfunc_end45:
	.size	_ZL36rocblas_hemvn_kernel_lower_block_sumILi64El19rocblas_complex_numIfEPKPS1_S1_EviT1_lS5_lT2_lT0_lPT3_i, .Lfunc_end45-_ZL36rocblas_hemvn_kernel_lower_block_sumILi64El19rocblas_complex_numIfEPKPS1_S1_EviT1_lS5_lT2_lT0_lPT3_i
                                        ; -- End function
	.set _ZL36rocblas_hemvn_kernel_lower_block_sumILi64El19rocblas_complex_numIfEPKPS1_S1_EviT1_lS5_lT2_lT0_lPT3_i.num_vgpr, 14
	.set _ZL36rocblas_hemvn_kernel_lower_block_sumILi64El19rocblas_complex_numIfEPKPS1_S1_EviT1_lS5_lT2_lT0_lPT3_i.num_agpr, 0
	.set _ZL36rocblas_hemvn_kernel_lower_block_sumILi64El19rocblas_complex_numIfEPKPS1_S1_EviT1_lS5_lT2_lT0_lPT3_i.numbered_sgpr, 24
	.set _ZL36rocblas_hemvn_kernel_lower_block_sumILi64El19rocblas_complex_numIfEPKPS1_S1_EviT1_lS5_lT2_lT0_lPT3_i.num_named_barrier, 0
	.set _ZL36rocblas_hemvn_kernel_lower_block_sumILi64El19rocblas_complex_numIfEPKPS1_S1_EviT1_lS5_lT2_lT0_lPT3_i.private_seg_size, 0
	.set _ZL36rocblas_hemvn_kernel_lower_block_sumILi64El19rocblas_complex_numIfEPKPS1_S1_EviT1_lS5_lT2_lT0_lPT3_i.uses_vcc, 1
	.set _ZL36rocblas_hemvn_kernel_lower_block_sumILi64El19rocblas_complex_numIfEPKPS1_S1_EviT1_lS5_lT2_lT0_lPT3_i.uses_flat_scratch, 0
	.set _ZL36rocblas_hemvn_kernel_lower_block_sumILi64El19rocblas_complex_numIfEPKPS1_S1_EviT1_lS5_lT2_lT0_lPT3_i.has_dyn_sized_stack, 0
	.set _ZL36rocblas_hemvn_kernel_lower_block_sumILi64El19rocblas_complex_numIfEPKPS1_S1_EviT1_lS5_lT2_lT0_lPT3_i.has_recursion, 0
	.set _ZL36rocblas_hemvn_kernel_lower_block_sumILi64El19rocblas_complex_numIfEPKPS1_S1_EviT1_lS5_lT2_lT0_lPT3_i.has_indirect_call, 0
	.section	.AMDGPU.csdata,"",@progbits
; Kernel info:
; codeLenInByte = 704
; TotalNumSgprs: 30
; NumVgprs: 14
; NumAgprs: 0
; TotalNumVgprs: 14
; ScratchSize: 0
; MemoryBound: 0
; FloatMode: 240
; IeeeMode: 1
; LDSByteSize: 0 bytes/workgroup (compile time only)
; SGPRBlocks: 3
; VGPRBlocks: 1
; NumSGPRsForWavesPerEU: 30
; NumVGPRsForWavesPerEU: 14
; AccumOffset: 16
; Occupancy: 8
; WaveLimiterHint : 1
; COMPUTE_PGM_RSRC2:SCRATCH_EN: 0
; COMPUTE_PGM_RSRC2:USER_SGPR: 2
; COMPUTE_PGM_RSRC2:TRAP_HANDLER: 0
; COMPUTE_PGM_RSRC2:TGID_X_EN: 1
; COMPUTE_PGM_RSRC2:TGID_Y_EN: 0
; COMPUTE_PGM_RSRC2:TGID_Z_EN: 1
; COMPUTE_PGM_RSRC2:TIDIG_COMP_CNT: 0
; COMPUTE_PGM_RSRC3_GFX90A:ACCUM_OFFSET: 3
; COMPUTE_PGM_RSRC3_GFX90A:TG_SPLIT: 0
	.section	.text._ZL26rocblas_hemvn_kernel_lowerILb1ELi64ELi4ELi33ELi32ELi16Ei19rocblas_complex_numIfEPKPKS1_PS1_EviT6_lT7_lT5_lS8_lS9_lS7_lT8_i,"axG",@progbits,_ZL26rocblas_hemvn_kernel_lowerILb1ELi64ELi4ELi33ELi32ELi16Ei19rocblas_complex_numIfEPKPKS1_PS1_EviT6_lT7_lT5_lS8_lS9_lS7_lT8_i,comdat
	.globl	_ZL26rocblas_hemvn_kernel_lowerILb1ELi64ELi4ELi33ELi32ELi16Ei19rocblas_complex_numIfEPKPKS1_PS1_EviT6_lT7_lT5_lS8_lS9_lS7_lT8_i ; -- Begin function _ZL26rocblas_hemvn_kernel_lowerILb1ELi64ELi4ELi33ELi32ELi16Ei19rocblas_complex_numIfEPKPKS1_PS1_EviT6_lT7_lT5_lS8_lS9_lS7_lT8_i
	.p2align	8
	.type	_ZL26rocblas_hemvn_kernel_lowerILb1ELi64ELi4ELi33ELi32ELi16Ei19rocblas_complex_numIfEPKPKS1_PS1_EviT6_lT7_lT5_lS8_lS9_lS7_lT8_i,@function
_ZL26rocblas_hemvn_kernel_lowerILb1ELi64ELi4ELi33ELi32ELi16Ei19rocblas_complex_numIfEPKPKS1_PS1_EviT6_lT7_lT5_lS8_lS9_lS7_lT8_i: ; @_ZL26rocblas_hemvn_kernel_lowerILb1ELi64ELi4ELi33ELi32ELi16Ei19rocblas_complex_numIfEPKPKS1_PS1_EviT6_lT7_lT5_lS8_lS9_lS7_lT8_i
; %bb.0:
	s_load_dwordx2 s[4:5], s[0:1], 0x84
	s_add_u32 s10, s0, 0x78
	s_mov_b32 s22, s3
	s_addc_u32 s11, s1, 0
	s_waitcnt lgkmcnt(0)
	s_and_b32 s3, s5, 0xffff
	s_lshr_b32 s5, s4, 16
	s_and_b32 s4, s4, 0xffff
	s_mul_i32 s4, s5, s4
	s_mul_i32 s4, s4, s3
	s_cmpk_lg_i32 s4, 0x100
	s_cbranch_scc1 .LBB46_144
; %bb.1:
	s_load_dwordx2 s[4:5], s[0:1], 0x4
	s_waitcnt lgkmcnt(0)
	s_or_b32 s3, s4, s5
	s_bitset0_b32 s3, 31
	s_cmp_lg_u32 s3, 0
	s_mov_b64 s[4:5], -1
	s_cbranch_scc1 .LBB46_3
; %bb.2:
	s_load_dwordx2 s[4:5], s[0:1], 0x58
	s_waitcnt lgkmcnt(0)
	v_cmp_eq_f32_e64 s[6:7], s4, 1.0
	v_cmp_eq_f32_e64 s[4:5], s5, 0
	s_and_b64 s[4:5], s[6:7], s[4:5]
	s_andn2_b64 vcc, exec, s[4:5]
	s_mov_b64 s[4:5], 0
.LBB46_3:
	s_andn2_b64 vcc, exec, s[4:5]
	s_cbranch_vccnz .LBB46_144
; %bb.4:
	s_load_dwordx4 s[4:7], s[0:1], 0x18
	s_load_dwordx4 s[12:15], s[0:1], 0x38
	s_load_dword s3, s[0:1], 0x48
	s_mov_b32 s23, 0
	s_lshl_b64 s[8:9], s[22:23], 3
	s_waitcnt lgkmcnt(0)
	s_add_u32 s4, s4, s8
	s_addc_u32 s5, s5, s9
	s_add_u32 s12, s12, s8
	s_addc_u32 s13, s13, s9
	s_load_dwordx2 s[16:17], s[12:13], 0x0
	s_load_dword s23, s[0:1], 0x0
	s_load_dword s33, s[10:11], 0x0
	s_load_dwordx2 s[8:9], s[4:5], 0x0
	s_lshl_b64 s[4:5], s[14:15], 3
	s_waitcnt lgkmcnt(0)
	s_add_u32 s4, s16, s4
	s_addc_u32 s5, s17, s5
	s_ashr_i32 s40, s23, 31
	s_lshr_b32 s11, s40, 26
	v_and_b32_e32 v34, 0x3ff, v0
	s_lshl_b32 s28, s2, 6
	s_add_i32 s11, s23, s11
	s_andn2_b32 s11, s11, 63
	v_add_u32_e32 v32, s28, v34
	v_bfe_u32 v33, v0, 10, 10
	s_add_i32 s10, s33, -1
	s_sub_i32 s11, s23, s11
	v_mul_lo_u32 v0, s3, v32
	s_cmp_eq_u32 s2, s10
	v_ashrrev_i32_e32 v1, 31, v0
	s_cselect_b32 s26, s11, 0
	v_lshl_add_u64 v[16:17], v[0:1], 3, s[4:5]
	v_cmp_ne_u32_e64 s[4:5], 0, v33
	v_cmp_eq_u32_e64 s[18:19], 0, v33
	s_and_saveexec_b64 s[10:11], s[18:19]
	s_cbranch_execz .LBB46_9
; %bb.5:
	s_cmp_lg_u32 s26, 0
	s_cselect_b64 s[12:13], -1, 0
	v_cmp_le_i32_e32 vcc, s26, v34
	v_mov_b32_e32 v0, 0x2380
	s_and_b64 s[12:13], s[12:13], vcc
	v_lshl_add_u32 v0, v34, 3, v0
	s_and_saveexec_b64 s[14:15], s[12:13]
	s_xor_b64 s[12:13], exec, s[14:15]
; %bb.6:
	v_mov_b32_e32 v2, 0
	v_mov_b32_e32 v3, v2
	ds_write_b64 v0, v[2:3]
                                        ; implicit-def: $vgpr0
; %bb.7:
	s_andn2_saveexec_b64 s[12:13], s[12:13]
	s_cbranch_execz .LBB46_9
; %bb.8:
	flat_load_dwordx2 v[2:3], v[16:17]
	s_waitcnt vmcnt(0) lgkmcnt(0)
	ds_write_b64 v0, v[2:3]
.LBB46_9:
	s_or_b64 exec, exec, s[10:11]
	s_load_dword s24, s[0:1], 0x28
	s_lshl_b64 s[6:7], s[6:7], 3
	s_add_u32 s8, s8, s6
	s_addc_u32 s9, s9, s7
	s_ashr_i32 s29, s28, 31
	v_lshl_add_u32 v22, v33, 6, v34
	s_lshl_b64 s[6:7], s[28:29], 3
	v_and_b32_e32 v2, 31, v34
	v_lshrrev_b32_e32 v8, 5, v22
	s_add_u32 s6, s8, s6
	s_waitcnt lgkmcnt(0)
	s_mul_i32 s30, s24, s28
	s_addc_u32 s7, s9, s7
	v_mad_u64_u32 v[18:19], s[8:9], s24, v8, v[2:3]
	s_ashr_i32 s31, s30, 31
	v_ashrrev_i32_e32 v19, 31, v18
	s_cmp_lg_u32 s26, 0
	v_lshl_add_u64 v[0:1], v[18:19], 3, s[6:7]
	s_cselect_b64 s[34:35], -1, 0
	s_cmp_eq_u32 s26, 0
	v_lshl_add_u64 v[4:5], s[30:31], 3, v[0:1]
	s_cselect_b64 s[20:21], -1, 0
	s_mov_b64 s[6:7], -1
	s_and_b64 vcc, exec, s[34:35]
	s_cbranch_vccnz .LBB46_11
; %bb.10:
	s_lshl_b32 s6, s24, 3
	s_ashr_i32 s7, s6, 31
	s_ashr_i32 s25, s24, 31
	v_lshl_add_u64 v[0:1], s[6:7], 3, v[4:5]
	s_lshl_b64 s[6:7], s[24:25], 6
	v_lshl_add_u64 v[6:7], v[0:1], 0, s[6:7]
	v_lshl_add_u64 v[10:11], v[6:7], 0, s[6:7]
	flat_load_dwordx2 v[12:13], v[4:5]
	flat_load_dwordx2 v[14:15], v[0:1]
	;; [unrolled: 1-line block ×4, first 2 shown]
	v_mul_u32_u24_e32 v0, 0x108, v8
	v_lshl_add_u32 v0, v2, 3, v0
	s_mov_b64 s[6:7], 0
	s_waitcnt vmcnt(0) lgkmcnt(0)
	ds_write_b64 v0, v[12:13]
	ds_write_b64 v0, v[14:15] offset:2112
	ds_write_b64 v0, v[20:21] offset:4224
	;; [unrolled: 1-line block ×3, first 2 shown]
.LBB46_11:
	s_andn2_b64 vcc, exec, s[6:7]
	v_lshlrev_b32_e32 v0, 3, v2
	s_cbranch_vccnz .LBB46_27
; %bb.12:
	v_sub_co_u32_e32 v6, vcc, v4, v0
	s_ashr_i32 s27, s26, 31
	s_nop 0
	v_subbrev_co_u32_e32 v7, vcc, 0, v5, vcc
	v_lshl_add_u64 v[6:7], s[26:27], 3, v[6:7]
	v_mov_b32_e32 v10, 0
	v_lshl_add_u64 v[6:7], v[6:7], 0, -8
	v_cmp_gt_i32_e32 vcc, s26, v2
	v_cmp_gt_i32_e64 s[6:7], s26, v8
	v_mov_b32_e32 v11, v10
	v_cndmask_b32_e32 v7, v7, v5, vcc
	v_cndmask_b32_e32 v6, v6, v4, vcc
	s_and_saveexec_b64 s[8:9], s[6:7]
	s_cbranch_execz .LBB46_14
; %bb.13:
	flat_load_dwordx2 v[10:11], v[6:7]
.LBB46_14:
	s_or_b64 exec, exec, s[8:9]
	s_movk_i32 s6, 0x108
	v_mad_u32_u24 v3, v8, s6, v0
	s_waitcnt vmcnt(0) lgkmcnt(0)
	ds_write_b64 v3, v[10:11]
	v_add_u32_e32 v3, 8, v8
	v_mul_u32_u24_e32 v1, 0x108, v8
	v_cmp_le_i32_e64 s[6:7], s26, v3
	s_and_saveexec_b64 s[8:9], s[6:7]
	s_xor_b64 s[6:7], exec, s[8:9]
; %bb.15:
	v_mov_b32_e32 v10, 0
	v_add_u32_e32 v3, v1, v0
	v_mov_b32_e32 v11, v10
	ds_write_b64 v3, v[10:11] offset:2112
; %bb.16:
	s_andn2_saveexec_b64 s[6:7], s[6:7]
	s_cbranch_execz .LBB46_18
; %bb.17:
	s_lshl_b32 s8, s24, 3
	s_ashr_i32 s9, s8, 31
	v_lshl_add_u64 v[10:11], s[8:9], 3, v[6:7]
	flat_load_dwordx2 v[10:11], v[10:11]
	v_add_u32_e32 v3, v1, v0
	s_waitcnt vmcnt(0) lgkmcnt(0)
	ds_write_b64 v3, v[10:11] offset:2112
.LBB46_18:
	s_or_b64 exec, exec, s[6:7]
	v_add_u32_e32 v3, 16, v8
	v_cmp_le_i32_e64 s[6:7], s26, v3
	s_and_saveexec_b64 s[8:9], s[6:7]
	s_xor_b64 s[6:7], exec, s[8:9]
; %bb.19:
	v_mov_b32_e32 v10, 0
	v_add_u32_e32 v3, v1, v0
	v_mov_b32_e32 v11, v10
	ds_write_b64 v3, v[10:11] offset:4224
; %bb.20:
	s_andn2_saveexec_b64 s[6:7], s[6:7]
	s_cbranch_execz .LBB46_22
; %bb.21:
	s_lshl_b32 s8, s24, 4
	s_ashr_i32 s9, s8, 31
	v_lshl_add_u64 v[10:11], s[8:9], 3, v[6:7]
	flat_load_dwordx2 v[10:11], v[10:11]
	v_add_u32_e32 v3, v1, v0
	s_waitcnt vmcnt(0) lgkmcnt(0)
	ds_write_b64 v3, v[10:11] offset:4224
.LBB46_22:
	s_or_b64 exec, exec, s[6:7]
	v_add_u32_e32 v3, 24, v8
	v_cmp_le_i32_e64 s[6:7], s26, v3
	s_and_saveexec_b64 s[8:9], s[6:7]
	s_xor_b64 s[6:7], exec, s[8:9]
; %bb.23:
	v_mov_b32_e32 v10, 0
	v_add_u32_e32 v1, v1, v0
	v_mov_b32_e32 v11, v10
	ds_write_b64 v1, v[10:11] offset:6336
                                        ; implicit-def: $vgpr1
; %bb.24:
	s_andn2_saveexec_b64 s[6:7], s[6:7]
	s_cbranch_execz .LBB46_26
; %bb.25:
	s_mul_i32 s8, s24, 24
	s_ashr_i32 s9, s8, 31
	v_lshl_add_u64 v[10:11], s[8:9], 3, v[6:7]
	flat_load_dwordx2 v[10:11], v[10:11]
	v_add_u32_e32 v1, v1, v0
	s_waitcnt vmcnt(0) lgkmcnt(0)
	ds_write_b64 v1, v[10:11] offset:6336
.LBB46_26:
	s_or_b64 exec, exec, s[6:7]
	v_mov_b32_e32 v1, 0
	v_lshl_add_u64 v[6:7], v[6:7], 0, v[0:1]
	s_lshl_b64 s[6:7], s[26:27], 3
	v_mov_b32_e32 v1, s7
	v_subrev_co_u32_e64 v6, s[6:7], s6, v6
	s_nop 1
	v_subb_co_u32_e64 v7, s[6:7], v7, v1, s[6:7]
	v_lshl_add_u64 v[6:7], v[6:7], 0, 8
	v_cndmask_b32_e32 v5, v7, v5, vcc
	v_cndmask_b32_e32 v4, v6, v4, vcc
.LBB46_27:
	v_lshlrev_b32_e32 v9, 2, v8
	v_mul_u32_u24_e32 v3, 0x108, v2
	v_cmp_ge_u32_e64 s[8:9], v9, v2
	s_mov_b64 s[6:7], 0
	s_waitcnt lgkmcnt(0)
	s_barrier
                                        ; implicit-def: $vgpr6
	s_and_saveexec_b64 s[10:11], s[8:9]
	s_xor_b64 s[10:11], exec, s[10:11]
	s_cbranch_execz .LBB46_31
; %bb.28:
	v_cmp_eq_u32_e32 vcc, v9, v2
                                        ; implicit-def: $vgpr6
	s_and_saveexec_b64 s[12:13], vcc
	s_xor_b64 s[12:13], exec, s[12:13]
; %bb.29:
	s_mov_b64 s[6:7], exec
	v_add_u32_e32 v6, v0, v3
; %bb.30:
	s_or_b64 exec, exec, s[12:13]
	s_and_b64 s[6:7], s[6:7], exec
.LBB46_31:
	s_or_saveexec_b64 s[10:11], s[10:11]
	v_lshl_or_b32 v1, v2, 8, v0
	v_mov_b32_e32 v7, 0
	s_xor_b64 exec, exec, s[10:11]
	s_cbranch_execz .LBB46_33
; %bb.32:
	s_movk_i32 s12, 0x420
	v_mad_u32_u24 v6, v8, s12, v0
	ds_read_b64 v[10:11], v6
	v_lshl_add_u32 v6, v9, 3, v1
	s_or_b64 s[6:7], s[6:7], exec
	s_waitcnt lgkmcnt(0)
	v_xor_b32_e32 v7, 0x80000000, v11
	ds_write_b32 v6, v10
.LBB46_33:
	s_or_b64 exec, exec, s[10:11]
	s_and_saveexec_b64 s[10:11], s[6:7]
; %bb.34:
	ds_write_b32 v6, v7 offset:4
; %bb.35:
	s_or_b64 exec, exec, s[10:11]
	v_or_b32_e32 v10, 1, v9
	v_cmp_ge_u32_e64 s[10:11], v10, v2
	s_mov_b64 s[6:7], 0
                                        ; implicit-def: $vgpr6
	s_and_saveexec_b64 s[12:13], s[10:11]
	s_xor_b64 s[12:13], exec, s[12:13]
	s_cbranch_execz .LBB46_105
; %bb.36:
	v_cmp_eq_u32_e32 vcc, v10, v2
                                        ; implicit-def: $vgpr6
	s_and_saveexec_b64 s[14:15], vcc
; %bb.37:
	s_mov_b64 s[6:7], exec
	v_add_u32_e32 v6, v0, v3
; %bb.38:
	s_or_b64 exec, exec, s[14:15]
	s_and_b64 s[6:7], s[6:7], exec
	s_or_saveexec_b64 s[12:13], s[12:13]
	v_mov_b32_e32 v7, 0
	s_xor_b64 exec, exec, s[12:13]
	s_cbranch_execnz .LBB46_106
.LBB46_39:
	s_or_b64 exec, exec, s[12:13]
	s_and_saveexec_b64 s[12:13], s[6:7]
.LBB46_40:
	ds_write_b32 v6, v7 offset:4
.LBB46_41:
	s_or_b64 exec, exec, s[12:13]
	v_or_b32_e32 v11, 2, v9
	v_cmp_ge_u32_e64 s[12:13], v11, v2
	s_mov_b64 s[6:7], 0
                                        ; implicit-def: $vgpr6
	s_and_saveexec_b64 s[14:15], s[12:13]
	s_xor_b64 s[14:15], exec, s[14:15]
	s_cbranch_execz .LBB46_107
; %bb.42:
	v_cmp_eq_u32_e32 vcc, v11, v2
                                        ; implicit-def: $vgpr6
	s_and_saveexec_b64 s[16:17], vcc
; %bb.43:
	s_mov_b64 s[6:7], exec
	v_add_u32_e32 v6, v0, v3
; %bb.44:
	s_or_b64 exec, exec, s[16:17]
	s_and_b64 s[6:7], s[6:7], exec
	s_or_saveexec_b64 s[14:15], s[14:15]
	v_mov_b32_e32 v7, 0
	s_xor_b64 exec, exec, s[14:15]
	s_cbranch_execnz .LBB46_108
.LBB46_45:
	s_or_b64 exec, exec, s[14:15]
	s_and_saveexec_b64 s[14:15], s[6:7]
.LBB46_46:
	ds_write_b32 v6, v7 offset:4
.LBB46_47:
	s_or_b64 exec, exec, s[14:15]
	v_or_b32_e32 v12, 3, v9
	v_cmp_ge_u32_e64 s[14:15], v12, v2
	s_mov_b64 s[6:7], 0
                                        ; implicit-def: $vgpr6
	s_and_saveexec_b64 s[16:17], s[14:15]
	s_xor_b64 s[16:17], exec, s[16:17]
	s_cbranch_execz .LBB46_109
; %bb.48:
	v_cmp_eq_u32_e32 vcc, v12, v2
                                        ; implicit-def: $vgpr6
	s_and_saveexec_b64 s[36:37], vcc
; %bb.49:
	s_mov_b64 s[6:7], exec
	v_add_u32_e32 v6, v0, v3
; %bb.50:
	s_or_b64 exec, exec, s[36:37]
	s_and_b64 s[6:7], s[6:7], exec
                                        ; implicit-def: $vgpr1
	s_or_saveexec_b64 s[16:17], s[16:17]
	v_mov_b32_e32 v7, 0
	s_xor_b64 exec, exec, s[16:17]
	s_cbranch_execnz .LBB46_110
.LBB46_51:
	s_or_b64 exec, exec, s[16:17]
	s_and_saveexec_b64 s[16:17], s[6:7]
.LBB46_52:
	ds_write_b32 v6, v7 offset:4
.LBB46_53:
	s_or_b64 exec, exec, s[16:17]
	s_movk_i32 s6, 0x420
	v_mad_u32_u24 v1, v8, s6, v0
	s_movk_i32 s6, 0x108
	v_mad_u32_u24 v14, v10, s6, v0
	s_waitcnt lgkmcnt(0)
	s_barrier
	v_lshlrev_b32_e32 v13, 3, v9
	ds_read2_b64 v[26:29], v14 offset1:33
	ds_read_b64 v[6:7], v1
	ds_read_b128 v[36:39], v13 offset:9088
	v_mul_u32_u24_e32 v15, 33, v2
	v_lshlrev_b32_e32 v23, 3, v15
	ds_read_b64 v[14:15], v14 offset:528
	ds_read_b128 v[40:43], v13 offset:9104
	v_lshl_add_u32 v24, v8, 3, v23
	s_waitcnt lgkmcnt(2)
	v_pk_mul_f32 v[20:21], v[36:37], v[6:7] op_sel:[1,1] op_sel_hi:[0,1]
	v_pk_fma_f32 v[30:31], v[36:37], v[6:7], v[20:21] neg_lo:[0,0,1] neg_hi:[0,0,1]
	v_pk_fma_f32 v[6:7], v[36:37], v[6:7], v[20:21] op_sel_hi:[1,0,1]
	v_pk_mul_f32 v[20:21], v[38:39], v[26:27] op_sel:[1,1] op_sel_hi:[0,1]
	v_mov_b32_e32 v31, v7
	v_pk_add_f32 v[6:7], v[30:31], 0 op_sel_hi:[1,0]
	v_pk_fma_f32 v[30:31], v[38:39], v[26:27], v[20:21] neg_lo:[0,0,1] neg_hi:[0,0,1]
	v_pk_fma_f32 v[20:21], v[38:39], v[26:27], v[20:21] op_sel_hi:[1,0,1]
	v_mov_b32_e32 v36, 0
	v_mov_b32_e32 v31, v21
	s_waitcnt lgkmcnt(0)
	v_pk_mul_f32 v[20:21], v[40:41], v[28:29] op_sel:[1,1] op_sel_hi:[0,1]
	v_pk_fma_f32 v[26:27], v[40:41], v[28:29], v[20:21] neg_lo:[0,0,1] neg_hi:[0,0,1]
	v_pk_fma_f32 v[20:21], v[40:41], v[28:29], v[20:21] op_sel_hi:[1,0,1]
	v_pk_add_f32 v[6:7], v[6:7], v[30:31]
	v_mov_b32_e32 v27, v21
	v_pk_mul_f32 v[20:21], v[42:43], v[14:15] op_sel:[1,1] op_sel_hi:[0,1]
	v_pk_add_f32 v[6:7], v[6:7], v[26:27]
	v_pk_fma_f32 v[26:27], v[42:43], v[14:15], v[20:21] neg_lo:[0,0,1] neg_hi:[0,0,1]
	v_pk_fma_f32 v[14:15], v[42:43], v[14:15], v[20:21] op_sel_hi:[1,0,1]
	v_mov_b32_e32 v37, v36
	v_mov_b32_e32 v27, v15
	v_pk_add_f32 v[6:7], v[6:7], v[26:27]
	v_cmp_gt_u32_e64 s[6:7], 32, v22
	s_barrier
	ds_write_b64 v24, v[6:7]
	s_waitcnt lgkmcnt(0)
	s_barrier
	s_and_saveexec_b64 s[16:17], s[6:7]
	s_cbranch_execz .LBB46_55
; %bb.54:
	ds_read2_b64 v[26:29], v23 offset1:7
	ds_read2_b64 v[36:39], v23 offset0:1 offset1:2
	ds_read2_b64 v[40:43], v23 offset0:3 offset1:4
	s_waitcnt lgkmcnt(1)
	v_add_f32_e32 v1, v36, v26
	v_add_f32_e32 v6, v37, v27
	;; [unrolled: 1-line block ×4, first 2 shown]
	ds_read2_b64 v[36:39], v23 offset0:5 offset1:6
	s_waitcnt lgkmcnt(1)
	v_add_f32_e32 v1, v1, v40
	v_add_f32_e32 v6, v6, v41
	;; [unrolled: 1-line block ×4, first 2 shown]
	s_waitcnt lgkmcnt(0)
	v_add_f32_e32 v1, v1, v36
	v_add_f32_e32 v7, v6, v37
	;; [unrolled: 1-line block ×4, first 2 shown]
	v_pk_add_f32 v[36:37], v[6:7], v[28:29]
.LBB46_55:
	s_or_b64 exec, exec, s[16:17]
	s_lshl_b32 s36, s24, 5
	s_ashr_i32 s37, s36, 31
	v_cndmask_b32_e64 v1, 0, 1, s[20:21]
	v_lshl_add_u64 v[6:7], s[36:37], 3, v[4:5]
	s_mov_b64 s[38:39], 0x100
	v_cmp_ne_u32_e64 s[16:17], 1, v1
	s_andn2_b64 vcc, exec, s[20:21]
	s_mov_b64 s[20:21], -1
	s_barrier
	s_cbranch_vccnz .LBB46_57
; %bb.56:
	s_lshl_b32 s20, s24, 3
	s_ashr_i32 s21, s20, 31
	s_ashr_i32 s25, s24, 31
	v_lshl_add_u64 v[4:5], s[20:21], 3, v[6:7]
	s_lshl_b64 s[20:21], s[24:25], 6
	v_lshl_add_u64 v[14:15], v[4:5], 0, s[20:21]
	v_lshl_add_u64 v[20:21], v[14:15], 0, s[20:21]
	flat_load_dwordx2 v[26:27], v[6:7] offset:256
	flat_load_dwordx2 v[28:29], v[4:5] offset:256
	;; [unrolled: 1-line block ×4, first 2 shown]
	s_movk_i32 s20, 0x108
	v_mad_u32_u24 v1, v8, s20, v0
	s_mov_b64 s[20:21], 0
	s_waitcnt vmcnt(0) lgkmcnt(0)
	ds_write_b64 v1, v[26:27]
	ds_write_b64 v1, v[28:29] offset:2112
	ds_write_b64 v1, v[30:31] offset:4224
	;; [unrolled: 1-line block ×3, first 2 shown]
.LBB46_57:
	s_andn2_b64 vcc, exec, s[20:21]
	v_lshl_add_u64 v[4:5], v[6:7], 0, s[38:39]
	s_cbranch_vccnz .LBB46_73
; %bb.58:
	v_sub_co_u32_e32 v6, vcc, v6, v0
	s_ashr_i32 s27, s26, 31
	s_nop 0
	v_subbrev_co_u32_e32 v7, vcc, 0, v7, vcc
	v_or_b32_e32 v1, 32, v2
	v_lshl_add_u64 v[6:7], s[26:27], 3, v[6:7]
	v_mov_b32_e32 v14, 0
	v_lshl_add_u64 v[6:7], v[6:7], 0, -8
	v_cmp_gt_i32_e32 vcc, s26, v1
	s_sub_i32 s25, s26, 32
	v_cmp_gt_i32_e64 s[20:21], s25, v8
	v_cndmask_b32_e32 v7, v7, v5, vcc
	v_cndmask_b32_e32 v6, v6, v4, vcc
	v_mov_b32_e32 v15, v14
	s_and_saveexec_b64 s[38:39], s[20:21]
	s_cbranch_execz .LBB46_60
; %bb.59:
	flat_load_dwordx2 v[14:15], v[6:7]
.LBB46_60:
	s_or_b64 exec, exec, s[38:39]
	s_movk_i32 s20, 0x108
	v_mad_u32_u24 v20, v8, s20, v0
	s_waitcnt vmcnt(0) lgkmcnt(0)
	ds_write_b64 v20, v[14:15]
	v_add_u32_e32 v14, 8, v8
	v_mul_u32_u24_e32 v1, 0x108, v8
	v_cmp_le_i32_e64 s[20:21], s25, v14
	s_and_saveexec_b64 s[38:39], s[20:21]
	s_xor_b64 s[20:21], exec, s[38:39]
; %bb.61:
	v_mov_b32_e32 v20, 0
	v_add_u32_e32 v14, v1, v0
	v_mov_b32_e32 v21, v20
	ds_write_b64 v14, v[20:21] offset:2112
; %bb.62:
	s_andn2_saveexec_b64 s[20:21], s[20:21]
	s_cbranch_execz .LBB46_64
; %bb.63:
	s_lshl_b32 s38, s24, 3
	s_ashr_i32 s39, s38, 31
	v_lshl_add_u64 v[14:15], s[38:39], 3, v[6:7]
	flat_load_dwordx2 v[14:15], v[14:15]
	v_add_u32_e32 v20, v1, v0
	s_waitcnt vmcnt(0) lgkmcnt(0)
	ds_write_b64 v20, v[14:15] offset:2112
.LBB46_64:
	s_or_b64 exec, exec, s[20:21]
	v_add_u32_e32 v14, 16, v8
	v_cmp_le_i32_e64 s[20:21], s25, v14
	s_and_saveexec_b64 s[38:39], s[20:21]
	s_xor_b64 s[20:21], exec, s[38:39]
; %bb.65:
	v_mov_b32_e32 v20, 0
	v_add_u32_e32 v14, v1, v0
	v_mov_b32_e32 v21, v20
	ds_write_b64 v14, v[20:21] offset:4224
; %bb.66:
	s_andn2_saveexec_b64 s[20:21], s[20:21]
	s_cbranch_execz .LBB46_68
; %bb.67:
	s_lshl_b32 s38, s24, 4
	s_ashr_i32 s39, s38, 31
	v_lshl_add_u64 v[14:15], s[38:39], 3, v[6:7]
	flat_load_dwordx2 v[14:15], v[14:15]
	v_add_u32_e32 v20, v1, v0
	s_waitcnt vmcnt(0) lgkmcnt(0)
	ds_write_b64 v20, v[14:15] offset:4224
.LBB46_68:
	s_or_b64 exec, exec, s[20:21]
	v_add_u32_e32 v14, 24, v8
	v_cmp_le_i32_e64 s[20:21], s25, v14
	s_and_saveexec_b64 s[38:39], s[20:21]
	s_xor_b64 s[20:21], exec, s[38:39]
; %bb.69:
	v_mov_b32_e32 v14, 0
	v_add_u32_e32 v1, v1, v0
	v_mov_b32_e32 v15, v14
	ds_write_b64 v1, v[14:15] offset:6336
                                        ; implicit-def: $vgpr1
; %bb.70:
	s_andn2_saveexec_b64 s[20:21], s[20:21]
	s_cbranch_execz .LBB46_72
; %bb.71:
	s_mul_i32 s38, s24, 24
	s_ashr_i32 s39, s38, 31
	v_lshl_add_u64 v[14:15], s[38:39], 3, v[6:7]
	flat_load_dwordx2 v[14:15], v[14:15]
	v_add_u32_e32 v1, v1, v0
	s_waitcnt vmcnt(0) lgkmcnt(0)
	ds_write_b64 v1, v[14:15] offset:6336
.LBB46_72:
	s_or_b64 exec, exec, s[20:21]
	v_mov_b32_e32 v1, 0
	v_lshl_add_u64 v[6:7], v[6:7], 0, v[0:1]
	s_lshl_b64 s[20:21], s[26:27], 3
	v_mov_b32_e32 v1, s21
	v_subrev_co_u32_e64 v6, s[20:21], s20, v6
	s_nop 1
	v_subb_co_u32_e64 v7, s[20:21], v7, v1, s[20:21]
	s_mov_b64 s[20:21], 0x108
	s_nop 0
	v_lshl_add_u64 v[6:7], v[6:7], 0, s[20:21]
	v_cndmask_b32_e32 v5, v7, v5, vcc
	v_cndmask_b32_e32 v4, v6, v4, vcc
.LBB46_73:
	v_mul_u32_u24_e32 v1, 0x420, v8
	v_add_u32_e32 v6, 0x2380, v13
	v_mul_u32_u24_e32 v7, 0x108, v10
	s_mov_b64 s[20:21], 0
	s_waitcnt lgkmcnt(0)
	s_barrier
                                        ; implicit-def: $vgpr13
	s_and_saveexec_b64 s[38:39], s[8:9]
	s_xor_b64 s[8:9], exec, s[38:39]
	s_cbranch_execz .LBB46_77
; %bb.74:
	v_cmp_eq_u32_e32 vcc, v9, v2
                                        ; implicit-def: $vgpr13
	s_and_saveexec_b64 s[38:39], vcc
	s_xor_b64 s[38:39], exec, s[38:39]
; %bb.75:
	s_mov_b64 s[20:21], exec
	v_add_u32_e32 v13, v0, v3
; %bb.76:
	s_or_b64 exec, exec, s[38:39]
	s_and_b64 s[20:21], s[20:21], exec
.LBB46_77:
	s_or_saveexec_b64 s[8:9], s[8:9]
	v_mov_b32_e32 v14, 0
	v_add_u32_e32 v1, v0, v1
	s_xor_b64 exec, exec, s[8:9]
	s_cbranch_execz .LBB46_79
; %bb.78:
	ds_read_b64 v[20:21], v1
	v_lshl_add_u32 v13, v9, 3, v23
	s_or_b64 s[20:21], s[20:21], exec
	s_waitcnt lgkmcnt(0)
	v_xor_b32_e32 v14, 0x80000000, v21
	ds_write_b32 v13, v20
.LBB46_79:
	s_or_b64 exec, exec, s[8:9]
	s_and_saveexec_b64 s[8:9], s[20:21]
; %bb.80:
	ds_write_b32 v13, v14 offset:4
; %bb.81:
	s_or_b64 exec, exec, s[8:9]
	s_mov_b64 s[8:9], 0
                                        ; implicit-def: $vgpr13
	s_and_saveexec_b64 s[20:21], s[10:11]
	s_xor_b64 s[10:11], exec, s[20:21]
	s_cbranch_execz .LBB46_85
; %bb.82:
	v_cmp_eq_u32_e32 vcc, v10, v2
                                        ; implicit-def: $vgpr13
	s_and_saveexec_b64 s[20:21], vcc
; %bb.83:
	s_mov_b64 s[8:9], exec
	v_add_u32_e32 v13, v0, v3
; %bb.84:
	s_or_b64 exec, exec, s[20:21]
	s_and_b64 s[8:9], s[8:9], exec
.LBB46_85:
	s_or_saveexec_b64 s[10:11], s[10:11]
	v_mov_b32_e32 v10, 0
	v_add_u32_e32 v7, v0, v7
	s_xor_b64 exec, exec, s[10:11]
	s_cbranch_execz .LBB46_87
; %bb.86:
	ds_read_b64 v[14:15], v7
	v_lshl_add_u32 v20, v9, 3, v23
	v_add_u32_e32 v13, 8, v20
	s_or_b64 s[8:9], s[8:9], exec
	s_waitcnt lgkmcnt(0)
	v_xor_b32_e32 v10, 0x80000000, v15
	ds_write_b32 v20, v14 offset:8
.LBB46_87:
	s_or_b64 exec, exec, s[10:11]
	s_and_saveexec_b64 s[10:11], s[8:9]
; %bb.88:
	ds_write_b32 v13, v10 offset:4
; %bb.89:
	s_or_b64 exec, exec, s[10:11]
	s_mov_b64 s[8:9], 0
                                        ; implicit-def: $vgpr10
	s_and_saveexec_b64 s[10:11], s[12:13]
	s_xor_b64 s[10:11], exec, s[10:11]
	s_cbranch_execz .LBB46_111
; %bb.90:
	v_cmp_eq_u32_e32 vcc, v11, v2
                                        ; implicit-def: $vgpr10
	s_and_saveexec_b64 s[12:13], vcc
; %bb.91:
	s_mov_b64 s[8:9], exec
	v_add_u32_e32 v10, v0, v3
; %bb.92:
	s_or_b64 exec, exec, s[12:13]
	s_and_b64 s[8:9], s[8:9], exec
	s_or_saveexec_b64 s[10:11], s[10:11]
	v_mov_b32_e32 v11, 0
	s_xor_b64 exec, exec, s[10:11]
	s_cbranch_execnz .LBB46_112
.LBB46_93:
	s_or_b64 exec, exec, s[10:11]
	s_and_saveexec_b64 s[10:11], s[8:9]
.LBB46_94:
	ds_write_b32 v10, v11 offset:4
.LBB46_95:
	s_or_b64 exec, exec, s[10:11]
	s_mov_b64 s[8:9], 0
                                        ; implicit-def: $vgpr10
	s_and_saveexec_b64 s[10:11], s[14:15]
	s_xor_b64 s[10:11], exec, s[10:11]
	s_cbranch_execz .LBB46_113
; %bb.96:
	v_cmp_eq_u32_e32 vcc, v12, v2
                                        ; implicit-def: $vgpr10
	s_and_saveexec_b64 s[12:13], vcc
; %bb.97:
	s_mov_b64 s[8:9], exec
	v_add_u32_e32 v10, v0, v3
; %bb.98:
	s_or_b64 exec, exec, s[12:13]
	s_and_b64 s[8:9], s[8:9], exec
	s_or_saveexec_b64 s[10:11], s[10:11]
	v_mov_b32_e32 v3, 0
	s_xor_b64 exec, exec, s[10:11]
	s_cbranch_execnz .LBB46_114
.LBB46_99:
	s_or_b64 exec, exec, s[10:11]
	s_and_saveexec_b64 s[10:11], s[8:9]
.LBB46_100:
	ds_write_b32 v10, v3 offset:4
.LBB46_101:
	s_or_b64 exec, exec, s[10:11]
	s_waitcnt lgkmcnt(0)
	s_barrier
	ds_read_b64 v[14:15], v1
	ds_read_b128 v[10:13], v6 offset:256
	ds_read2_b64 v[26:29], v7 offset1:33
	ds_read_b64 v[20:21], v7 offset:528
	ds_read_b128 v[38:41], v6 offset:272
	v_cmp_eq_u32_e64 s[8:9], 1, v8
	s_waitcnt lgkmcnt(3)
	v_pk_mul_f32 v[30:31], v[10:11], v[14:15] op_sel:[1,1] op_sel_hi:[0,1]
	v_pk_fma_f32 v[42:43], v[10:11], v[14:15], v[30:31] neg_lo:[0,0,1] neg_hi:[0,0,1]
	v_pk_fma_f32 v[10:11], v[10:11], v[14:15], v[30:31] op_sel_hi:[1,0,1]
	s_waitcnt lgkmcnt(2)
	v_pk_mul_f32 v[14:15], v[12:13], v[26:27] op_sel:[1,1] op_sel_hi:[0,1]
	v_pk_fma_f32 v[30:31], v[12:13], v[26:27], v[14:15] neg_lo:[0,0,1] neg_hi:[0,0,1]
	v_pk_fma_f32 v[12:13], v[12:13], v[26:27], v[14:15] op_sel_hi:[1,0,1]
	v_mov_b32_e32 v43, v11
	v_mov_b32_e32 v31, v13
	s_waitcnt lgkmcnt(0)
	v_pk_mul_f32 v[12:13], v[38:39], v[28:29] op_sel:[1,1] op_sel_hi:[0,1]
	v_pk_add_f32 v[10:11], v[42:43], 0 op_sel_hi:[1,0]
	v_pk_fma_f32 v[14:15], v[38:39], v[28:29], v[12:13] neg_lo:[0,0,1] neg_hi:[0,0,1]
	v_pk_fma_f32 v[12:13], v[38:39], v[28:29], v[12:13] op_sel_hi:[1,0,1]
	v_pk_add_f32 v[10:11], v[10:11], v[30:31]
	v_mov_b32_e32 v15, v13
	v_pk_mul_f32 v[12:13], v[40:41], v[20:21] op_sel:[1,1] op_sel_hi:[0,1]
	v_pk_add_f32 v[10:11], v[10:11], v[14:15]
	v_pk_fma_f32 v[14:15], v[40:41], v[20:21], v[12:13] neg_lo:[0,0,1] neg_hi:[0,0,1]
	v_pk_fma_f32 v[12:13], v[40:41], v[20:21], v[12:13] op_sel_hi:[1,0,1]
	s_nop 0
	v_mov_b32_e32 v15, v13
	v_pk_add_f32 v[10:11], v[10:11], v[14:15]
	s_barrier
	ds_write_b64 v24, v[10:11]
	s_waitcnt lgkmcnt(0)
	s_barrier
	s_and_saveexec_b64 s[10:11], s[8:9]
	s_cbranch_execz .LBB46_103
; %bb.102:
	ds_read2_b64 v[10:13], v23 offset1:7
	ds_read2_b64 v[26:29], v23 offset0:1 offset1:2
	ds_read2_b64 v[36:39], v23 offset0:3 offset1:4
	s_waitcnt lgkmcnt(1)
	v_add_f32_e32 v1, v26, v10
	v_add_f32_e32 v3, v27, v11
	;; [unrolled: 1-line block ×4, first 2 shown]
	ds_read2_b64 v[26:29], v23 offset0:5 offset1:6
	s_waitcnt lgkmcnt(1)
	v_add_f32_e32 v1, v1, v36
	v_add_f32_e32 v3, v3, v37
	;; [unrolled: 1-line block ×4, first 2 shown]
	s_waitcnt lgkmcnt(0)
	v_add_f32_e32 v10, v1, v26
	v_add_f32_e32 v11, v3, v27
	v_pk_add_f32 v[10:11], v[10:11], v[28:29]
	s_nop 0
	v_pk_add_f32 v[36:37], v[10:11], v[12:13]
.LBB46_103:
	s_or_b64 exec, exec, s[10:11]
	s_lshl_b64 s[10:11], s[36:37], 3
	v_mov_b32_e32 v1, s11
	v_subrev_co_u32_e64 v20, s[10:11], s10, v4
	s_and_b64 vcc, exec, s[16:17]
	s_nop 0
	v_subb_co_u32_e64 v21, s[10:11], v5, v1, s[10:11]
	s_barrier
	s_cbranch_vccnz .LBB46_115
; %bb.104:
	s_lshl_b32 s10, s24, 3
	s_ashr_i32 s11, s10, 31
	s_ashr_i32 s25, s24, 31
	v_lshl_add_u64 v[4:5], s[10:11], 3, v[20:21]
	s_lshl_b64 s[10:11], s[24:25], 6
	v_lshl_add_u64 v[10:11], v[4:5], 0, s[10:11]
	v_lshl_add_u64 v[12:13], v[10:11], 0, s[10:11]
	flat_load_dwordx2 v[14:15], v[20:21]
	flat_load_dwordx2 v[26:27], v[4:5]
	;; [unrolled: 1-line block ×4, first 2 shown]
	s_movk_i32 s10, 0x108
	v_mov_b32_e32 v1, 0x840
	v_mov_b32_e32 v3, 0x1080
	;; [unrolled: 1-line block ×3, first 2 shown]
	v_mul_u32_u24_e32 v4, 0x108, v8
	v_add_u32_e32 v5, 8, v8
	v_add_u32_e32 v7, 16, v8
	;; [unrolled: 1-line block ×3, first 2 shown]
	v_mad_u32_u24 v12, v8, s10, v0
	v_mad_u32_u24 v1, v8, s10, v1
	;; [unrolled: 1-line block ×4, first 2 shown]
	v_add_u32_e32 v13, v0, v1
	v_add_u32_e32 v25, v0, v3
	;; [unrolled: 1-line block ×3, first 2 shown]
	s_waitcnt vmcnt(0) lgkmcnt(0)
	ds_write_b64 v12, v[14:15]
	ds_write_b64 v13, v[26:27]
	;; [unrolled: 1-line block ×4, first 2 shown]
	s_cbranch_execz .LBB46_116
	s_branch .LBB46_131
.LBB46_105:
	s_or_saveexec_b64 s[12:13], s[12:13]
	v_mov_b32_e32 v7, 0
	s_xor_b64 exec, exec, s[12:13]
	s_cbranch_execz .LBB46_39
.LBB46_106:
	s_movk_i32 s14, 0x108
	v_mad_u32_u24 v6, v10, s14, v0
	ds_read_b64 v[12:13], v6
	v_lshl_add_u32 v11, v9, 3, v1
	v_add_u32_e32 v6, 8, v11
	s_or_b64 s[6:7], s[6:7], exec
	s_waitcnt lgkmcnt(0)
	v_xor_b32_e32 v7, 0x80000000, v13
	ds_write_b32 v11, v12 offset:8
	s_or_b64 exec, exec, s[12:13]
	s_and_saveexec_b64 s[12:13], s[6:7]
	s_cbranch_execnz .LBB46_40
	s_branch .LBB46_41
.LBB46_107:
	s_or_saveexec_b64 s[14:15], s[14:15]
	v_mov_b32_e32 v7, 0
	s_xor_b64 exec, exec, s[14:15]
	s_cbranch_execz .LBB46_45
.LBB46_108:
	s_movk_i32 s16, 0x108
	v_mad_u32_u24 v6, v11, s16, v0
	ds_read_b64 v[12:13], v6
	v_lshl_add_u32 v14, v9, 3, v1
	v_add_u32_e32 v6, 16, v14
	s_or_b64 s[6:7], s[6:7], exec
	s_waitcnt lgkmcnt(0)
	v_xor_b32_e32 v7, 0x80000000, v13
	ds_write_b32 v14, v12 offset:16
	s_or_b64 exec, exec, s[14:15]
	s_and_saveexec_b64 s[14:15], s[6:7]
	s_cbranch_execnz .LBB46_46
	s_branch .LBB46_47
.LBB46_109:
	s_or_saveexec_b64 s[16:17], s[16:17]
	v_mov_b32_e32 v7, 0
	s_xor_b64 exec, exec, s[16:17]
	s_cbranch_execz .LBB46_51
.LBB46_110:
	s_movk_i32 s25, 0x108
	v_mad_u32_u24 v6, v12, s25, v0
	ds_read_b64 v[14:15], v6
	v_lshl_add_u32 v1, v9, 3, v1
	v_add_u32_e32 v6, 24, v1
	s_or_b64 s[6:7], s[6:7], exec
	s_waitcnt lgkmcnt(0)
	v_xor_b32_e32 v7, 0x80000000, v15
	ds_write_b32 v1, v14 offset:24
	s_or_b64 exec, exec, s[16:17]
	s_and_saveexec_b64 s[16:17], s[6:7]
	s_cbranch_execnz .LBB46_52
	s_branch .LBB46_53
.LBB46_111:
	s_or_saveexec_b64 s[10:11], s[10:11]
	v_mov_b32_e32 v11, 0
	s_xor_b64 exec, exec, s[10:11]
	s_cbranch_execz .LBB46_93
.LBB46_112:
	ds_read_b64 v[14:15], v7 offset:264
	v_lshl_add_u32 v13, v9, 3, v23
	v_add_u32_e32 v10, 16, v13
	s_or_b64 s[8:9], s[8:9], exec
	s_waitcnt lgkmcnt(0)
	v_xor_b32_e32 v11, 0x80000000, v15
	ds_write_b32 v13, v14 offset:16
	s_or_b64 exec, exec, s[10:11]
	s_and_saveexec_b64 s[10:11], s[8:9]
	s_cbranch_execnz .LBB46_94
	s_branch .LBB46_95
.LBB46_113:
	s_or_saveexec_b64 s[10:11], s[10:11]
	v_mov_b32_e32 v3, 0
	s_xor_b64 exec, exec, s[10:11]
	s_cbranch_execz .LBB46_99
.LBB46_114:
	ds_read_b64 v[12:13], v7 offset:528
	v_lshl_add_u32 v11, v9, 3, v23
	v_add_u32_e32 v10, 24, v11
	s_or_b64 s[8:9], s[8:9], exec
	s_waitcnt lgkmcnt(0)
	v_xor_b32_e32 v3, 0x80000000, v13
	ds_write_b32 v11, v12 offset:24
	s_or_b64 exec, exec, s[10:11]
	s_and_saveexec_b64 s[10:11], s[8:9]
	s_cbranch_execnz .LBB46_100
	s_branch .LBB46_101
.LBB46_115:
                                        ; implicit-def: $vgpr4
                                        ; implicit-def: $vgpr5
                                        ; implicit-def: $vgpr1
                                        ; implicit-def: $vgpr7
                                        ; implicit-def: $vgpr3
                                        ; implicit-def: $vgpr10
                                        ; implicit-def: $vgpr11
.LBB46_116:
	v_or_b32_e32 v1, 32, v2
	v_lshlrev_b32_e32 v2, 3, v1
	v_sub_co_u32_e32 v2, vcc, v20, v2
	s_ashr_i32 s27, s26, 31
	s_nop 0
	v_subbrev_co_u32_e32 v3, vcc, 0, v21, vcc
	v_lshl_add_u64 v[2:3], s[26:27], 3, v[2:3]
	v_mov_b32_e32 v10, 0
	v_lshl_add_u64 v[2:3], v[2:3], 0, -8
	v_cmp_gt_i32_e32 vcc, s26, v1
	v_cmp_gt_i32_e64 s[10:11], s26, v8
	v_mov_b32_e32 v11, v10
	v_cndmask_b32_e32 v3, v3, v21, vcc
	v_cndmask_b32_e32 v2, v2, v20, vcc
	s_and_saveexec_b64 s[12:13], s[10:11]
	s_cbranch_execz .LBB46_118
; %bb.117:
	flat_load_dwordx2 v[10:11], v[2:3]
.LBB46_118:
	s_or_b64 exec, exec, s[12:13]
	s_movk_i32 s10, 0x108
	v_add_u32_e32 v5, 8, v8
	v_mul_u32_u24_e32 v4, 0x108, v8
	v_mad_u32_u24 v1, v8, s10, v0
	v_cmp_le_i32_e64 s[10:11], s26, v5
	s_waitcnt vmcnt(0) lgkmcnt(0)
	ds_write_b64 v1, v[10:11]
	s_and_saveexec_b64 s[12:13], s[10:11]
	s_xor_b64 s[10:11], exec, s[12:13]
; %bb.119:
	v_mov_b32_e32 v10, 0
	v_add_u32_e32 v1, v4, v0
	v_mov_b32_e32 v11, v10
	ds_write_b64 v1, v[10:11] offset:2112
; %bb.120:
	s_andn2_saveexec_b64 s[10:11], s[10:11]
	s_cbranch_execz .LBB46_122
; %bb.121:
	s_lshl_b32 s12, s24, 3
	s_ashr_i32 s13, s12, 31
	v_lshl_add_u64 v[10:11], s[12:13], 3, v[2:3]
	flat_load_dwordx2 v[10:11], v[10:11]
	v_add_u32_e32 v1, v4, v0
	s_waitcnt vmcnt(0) lgkmcnt(0)
	ds_write_b64 v1, v[10:11] offset:2112
.LBB46_122:
	s_or_b64 exec, exec, s[10:11]
	v_add_u32_e32 v7, 16, v8
	v_cmp_le_i32_e64 s[10:11], s26, v7
	s_and_saveexec_b64 s[12:13], s[10:11]
	s_xor_b64 s[10:11], exec, s[12:13]
; %bb.123:
	v_mov_b32_e32 v10, 0
	v_add_u32_e32 v1, v4, v0
	v_mov_b32_e32 v11, v10
	ds_write_b64 v1, v[10:11] offset:4224
; %bb.124:
	s_andn2_saveexec_b64 s[10:11], s[10:11]
	s_cbranch_execz .LBB46_126
; %bb.125:
	s_lshl_b32 s12, s24, 4
	s_ashr_i32 s13, s12, 31
	v_lshl_add_u64 v[10:11], s[12:13], 3, v[2:3]
	flat_load_dwordx2 v[10:11], v[10:11]
	v_add_u32_e32 v1, v4, v0
	s_waitcnt vmcnt(0) lgkmcnt(0)
	ds_write_b64 v1, v[10:11] offset:4224
.LBB46_126:
	s_or_b64 exec, exec, s[10:11]
	v_add_u32_e32 v10, 24, v8
	v_cmp_le_i32_e64 s[10:11], s26, v10
                                        ; implicit-def: $vgpr11
	s_and_saveexec_b64 s[12:13], s[10:11]
	s_xor_b64 s[10:11], exec, s[12:13]
; %bb.127:
	v_add_u32_e32 v11, 0x18c0, v4
	v_mov_b32_e32 v12, 0
	v_add_u32_e32 v1, v0, v11
	v_mov_b32_e32 v13, v12
	ds_write_b64 v1, v[12:13]
; %bb.128:
	s_andn2_saveexec_b64 s[10:11], s[10:11]
	s_cbranch_execz .LBB46_130
; %bb.129:
	s_mul_i32 s12, s24, 24
	s_ashr_i32 s13, s12, 31
	v_lshl_add_u64 v[12:13], s[12:13], 3, v[2:3]
	flat_load_dwordx2 v[12:13], v[12:13]
	v_add_u32_e32 v11, 0x18c0, v4
	v_add_u32_e32 v1, v0, v11
	s_waitcnt vmcnt(0) lgkmcnt(0)
	ds_write_b64 v1, v[12:13]
.LBB46_130:
	s_or_b64 exec, exec, s[10:11]
	v_mov_b32_e32 v1, 0
	v_lshl_add_u64 v[2:3], v[2:3], 0, v[0:1]
	s_lshl_b64 s[10:11], s[26:27], 3
	v_mov_b32_e32 v1, s11
	v_subrev_co_u32_e64 v2, s[10:11], s10, v2
	s_nop 1
	v_subb_co_u32_e64 v3, s[10:11], v3, v1, s[10:11]
	s_mov_b64 s[10:11], 0x108
	s_nop 0
	v_lshl_add_u64 v[2:3], v[2:3], 0, s[10:11]
	v_cndmask_b32_e32 v21, v3, v21, vcc
	v_cndmask_b32_e32 v20, v2, v20, vcc
	v_add_u32_e32 v1, 0x840, v4
	v_add_u32_e32 v3, 0x1080, v4
.LBB46_131:
	v_add_u32_e32 v25, v0, v4
	v_add_u32_e32 v28, v0, v1
	v_lshlrev_b32_e32 v30, 3, v5
	v_add_u32_e32 v40, v0, v3
	v_lshlrev_b32_e32 v46, 3, v7
	;; [unrolled: 2-line block ×3, first 2 shown]
	v_lshl_add_u32 v0, v9, 3, v23
	s_waitcnt lgkmcnt(0)
	s_barrier
	v_lshlrev_b32_e32 v35, 3, v8
	ds_read2_b64 v[8:11], v0 offset1:1
	ds_read2_b64 v[0:3], v0 offset0:2 offset1:3
	ds_read_b128 v[12:15], v6 offset:256
	ds_read_b128 v[4:7], v6 offset:272
	ds_read_b64 v[26:27], v25
	ds_read_b64 v[28:29], v28
	ds_read_b64 v[30:31], v30 offset:9088
	ds_read_b64 v[38:39], v35 offset:9088
	ds_read_b64 v[40:41], v40
	ds_read2_b32 v[42:43], v42 offset1:1
	ds_read_b64 v[44:45], v44 offset:9088
	ds_read_b64 v[46:47], v46 offset:9088
	s_waitcnt lgkmcnt(4)
	v_pk_mul_f32 v[48:49], v[38:39], v[26:27] op_sel:[1,1] op_sel_hi:[0,1]
	v_pk_fma_f32 v[50:51], v[38:39], v[26:27], v[48:49] neg_lo:[0,0,1] neg_hi:[0,0,1]
	v_pk_fma_f32 v[26:27], v[38:39], v[26:27], v[48:49] op_sel_hi:[1,0,1]
	v_pk_mul_f32 v[38:39], v[30:31], v[28:29] op_sel:[1,1] op_sel_hi:[0,1]
	v_pk_fma_f32 v[48:49], v[30:31], v[28:29], v[38:39] neg_lo:[0,0,1] neg_hi:[0,0,1]
	v_pk_fma_f32 v[28:29], v[30:31], v[28:29], v[38:39] op_sel_hi:[1,0,1]
	v_mov_b32_e32 v51, v27
	v_mov_b32_e32 v49, v29
	s_waitcnt lgkmcnt(0)
	v_pk_mul_f32 v[28:29], v[46:47], v[40:41] op_sel:[1,1] op_sel_hi:[0,1]
	v_pk_add_f32 v[26:27], v[50:51], 0 op_sel_hi:[1,0]
	v_pk_fma_f32 v[30:31], v[46:47], v[40:41], v[28:29] neg_lo:[0,0,1] neg_hi:[0,0,1]
	v_pk_fma_f32 v[28:29], v[46:47], v[40:41], v[28:29] op_sel_hi:[1,0,1]
	v_pk_add_f32 v[26:27], v[26:27], v[48:49]
	v_mov_b32_e32 v31, v29
	v_pk_mul_f32 v[28:29], v[44:45], v[42:43] op_sel:[1,1] op_sel_hi:[0,1]
	v_pk_add_f32 v[26:27], v[26:27], v[30:31]
	v_pk_fma_f32 v[30:31], v[44:45], v[42:43], v[28:29] neg_lo:[0,0,1] neg_hi:[0,0,1]
	v_pk_fma_f32 v[28:29], v[44:45], v[42:43], v[28:29] op_sel_hi:[1,0,1]
	s_nop 0
	v_mov_b32_e32 v31, v29
	v_pk_add_f32 v[26:27], v[26:27], v[30:31]
	s_barrier
	ds_write_b64 v24, v[26:27]
	s_waitcnt lgkmcnt(0)
	s_barrier
	s_and_saveexec_b64 s[10:11], s[8:9]
	s_cbranch_execz .LBB46_133
; %bb.132:
	ds_read2_b64 v[26:29], v23 offset1:1
	ds_read2_b64 v[38:41], v23 offset0:2 offset1:3
	ds_read2_b64 v[42:45], v23 offset0:4 offset1:5
	s_waitcnt lgkmcnt(2)
	v_pk_add_f32 v[26:27], v[36:37], v[26:27]
	s_nop 0
	v_pk_add_f32 v[30:31], v[26:27], v[28:29]
	ds_read2_b64 v[26:29], v23 offset0:6 offset1:7
	s_waitcnt lgkmcnt(2)
	v_pk_add_f32 v[30:31], v[30:31], v[38:39]
	s_nop 0
	v_pk_add_f32 v[30:31], v[30:31], v[40:41]
	s_waitcnt lgkmcnt(1)
	v_pk_add_f32 v[30:31], v[30:31], v[42:43]
	s_nop 0
	v_pk_add_f32 v[30:31], v[30:31], v[44:45]
	;; [unrolled: 4-line block ×3, first 2 shown]
.LBB46_133:
	s_or_b64 exec, exec, s[10:11]
	v_pk_mul_f32 v[26:27], v[8:9], v[12:13] op_sel:[1,1] op_sel_hi:[1,0]
	s_nop 0
	v_pk_fma_f32 v[28:29], v[8:9], v[12:13], v[26:27]
	v_pk_fma_f32 v[8:9], v[8:9], v[12:13], v[26:27] op_sel_hi:[0,1,1] neg_lo:[0,0,1] neg_hi:[0,0,1]
	v_mov_b32_e32 v12, v11
	v_pk_mul_f32 v[12:13], v[12:13], v[14:15] op_sel:[0,1] op_sel_hi:[0,0]
	v_pk_fma_f32 v[26:27], v[10:11], v[14:15], v[12:13]
	v_pk_fma_f32 v[10:11], v[10:11], v[14:15], v[12:13] op_sel_hi:[0,1,1] neg_lo:[0,0,1] neg_hi:[0,0,1]
	v_mov_b32_e32 v29, v9
	v_mov_b32_e32 v27, v11
	v_pk_mul_f32 v[10:11], v[0:1], v[4:5] op_sel:[1,1] op_sel_hi:[1,0]
	v_pk_add_f32 v[8:9], v[28:29], 0 op_sel_hi:[1,0]
	v_pk_fma_f32 v[12:13], v[0:1], v[4:5], v[10:11]
	v_pk_fma_f32 v[0:1], v[0:1], v[4:5], v[10:11] op_sel_hi:[0,1,1] neg_lo:[0,0,1] neg_hi:[0,0,1]
	v_mov_b32_e32 v4, v3
	v_pk_add_f32 v[8:9], v[8:9], v[26:27]
	v_mov_b32_e32 v13, v1
	v_pk_mul_f32 v[4:5], v[4:5], v[6:7] op_sel:[0,1] op_sel_hi:[0,0]
	v_pk_add_f32 v[0:1], v[8:9], v[12:13]
	v_pk_fma_f32 v[8:9], v[2:3], v[6:7], v[4:5]
	v_pk_fma_f32 v[2:3], v[2:3], v[6:7], v[4:5] op_sel_hi:[0,1,1] neg_lo:[0,0,1] neg_hi:[0,0,1]
	v_mov_b32_e32 v9, v3
	v_pk_add_f32 v[0:1], v[0:1], v[8:9]
	s_barrier
	ds_write_b64 v24, v[0:1]
	s_waitcnt lgkmcnt(0)
	s_barrier
	s_and_saveexec_b64 s[8:9], s[6:7]
	s_cbranch_execz .LBB46_135
; %bb.134:
	ds_read2_b64 v[0:3], v23 offset1:1
	ds_read2_b64 v[4:7], v23 offset0:2 offset1:3
	ds_read2_b64 v[8:11], v23 offset0:4 offset1:5
	s_waitcnt lgkmcnt(2)
	v_pk_add_f32 v[0:1], v[36:37], v[0:1]
	s_nop 0
	v_pk_add_f32 v[12:13], v[0:1], v[2:3]
	ds_read2_b64 v[0:3], v23 offset0:6 offset1:7
	s_waitcnt lgkmcnt(2)
	v_pk_add_f32 v[4:5], v[12:13], v[4:5]
	s_nop 0
	v_pk_add_f32 v[4:5], v[4:5], v[6:7]
	s_waitcnt lgkmcnt(1)
	v_pk_add_f32 v[4:5], v[4:5], v[8:9]
	s_nop 0
	v_pk_add_f32 v[4:5], v[4:5], v[10:11]
	;; [unrolled: 4-line block ×3, first 2 shown]
.LBB46_135:
	s_or_b64 exec, exec, s[8:9]
	s_load_dwordx2 s[0:1], s[0:1], 0x68
	s_mul_hi_u32 s6, s23, s22
	s_mul_i32 s40, s40, s22
	s_add_i32 s6, s6, s40
	s_mul_i32 s8, s23, s22
	s_mul_i32 s6, s6, s33
	s_mul_hi_u32 s7, s8, s33
	s_add_i32 s7, s7, s6
	s_mul_i32 s6, s8, s33
	s_lshl_b64 s[6:7], s[6:7], 3
	s_waitcnt lgkmcnt(0)
	s_add_u32 s6, s0, s6
	s_mul_i32 s0, s23, s2
	s_addc_u32 s7, s1, s7
	s_ashr_i32 s1, s0, 31
	s_lshl_b64 s[0:1], s[0:1], 3
	s_add_u32 s6, s6, s0
	v_cmp_le_i32_e32 vcc, s26, v34
	s_addc_u32 s7, s7, s1
	s_and_b64 vcc, s[34:35], vcc
	s_cmp_lt_i32 s2, 1
	v_lshlrev_b32_e32 v74, 3, v34
	s_barrier
	s_cbranch_scc1 .LBB46_142
; %bb.136:
	s_mul_i32 s0, s3, s28
	s_ashr_i32 s1, s0, 31
	s_lshl_b64 s[0:1], s[0:1], 3
	v_mov_b32_e32 v0, s1
	v_subrev_co_u32_e64 v38, s[0:1], s0, v16
	v_lshlrev_b64 v[2:3], 3, v[18:19]
	s_nop 0
	v_subb_co_u32_e64 v39, s[0:1], v17, v0, s[0:1]
	s_lshl_b64 s[0:1], s[30:31], 3
	s_nop 0
	v_mov_b32_e32 v1, s1
	v_subrev_co_u32_e64 v0, s[0:1], s0, v20
	s_ashr_i32 s27, s26, 31
	s_nop 0
	v_subb_co_u32_e64 v1, s[0:1], v21, v1, s[0:1]
	s_movk_i32 s0, 0xff00
	s_mov_b32 s1, -1
	v_lshl_add_u64 v[0:1], v[0:1], 0, s[0:1]
	v_sub_co_u32_e64 v0, s[0:1], v0, v2
	v_mul_lo_u32 v2, v33, s24
	v_lshl_add_u32 v2, v2, 2, v34
	v_subb_co_u32_e64 v1, s[0:1], v1, v3, s[0:1]
	v_ashrrev_i32_e32 v3, 31, v2
	v_lshl_add_u64 v[0:1], v[2:3], 3, v[0:1]
	v_sub_co_u32_e64 v2, s[0:1], v0, v74
	v_lshrrev_b32_e32 v4, 4, v22
	s_nop 0
	v_subbrev_co_u32_e64 v3, s[0:1], 0, v1, s[0:1]
	v_lshl_add_u64 v[2:3], s[26:27], 3, v[2:3]
	v_lshl_add_u64 v[2:3], v[2:3], 0, -8
	v_cndmask_b32_e32 v41, v1, v3, vcc
	v_cndmask_b32_e32 v40, v0, v2, vcc
	v_mov_b32_e32 v0, 0x2180
	v_and_b32_e32 v1, 48, v34
	v_and_b32_e32 v5, 15, v34
	v_lshl_add_u32 v76, v33, 5, v0
	v_lshlrev_b32_e32 v0, 5, v4
	s_movk_i32 s8, 0x218
	v_lshlrev_b32_e32 v1, 3, v1
	s_movk_i32 s0, 0x860
	v_mad_u32_u24 v79, v5, s8, v0
	v_mul_i32_i24_e32 v0, 0xffffffe8, v4
	v_mad_u32_u24 v80, v5, s8, v1
	v_or_b32_e32 v1, 0x78, v74
	s_ashr_i32 s25, s24, 31
	v_mov_b32_e32 v35, 0
	s_lshl_b32 s3, s3, 6
	v_add_u32_e32 v75, 0x2180, v74
	v_add_u32_e32 v77, 0x2380, v74
	v_mad_u32_u24 v78, v33, s0, v74
	v_cmp_gt_u32_e64 s[0:1], 64, v22
	v_mad_u32_u24 v81, v5, s8, v1
	s_lshl_b64 s[8:9], s[24:25], 3
	s_lshl_b64 s[10:11], s[24:25], 9
	;; [unrolled: 1-line block ×3, first 2 shown]
	s_mul_hi_i32 s15, s24, 24
	s_mul_i32 s14, s24, 24
	s_mul_hi_i32 s17, s24, 0x90
	s_mul_i32 s16, s24, 0x90
	s_mul_hi_i32 s21, s24, 0x98
	s_mul_i32 s20, s24, 0x98
	s_mul_hi_i32 s23, s24, 0x110
	s_mul_i32 s22, s24, 0x110
	s_mul_hi_i32 s27, s24, 0x118
	s_mul_i32 s26, s24, 0x118
	s_mul_hi_i32 s29, s24, 0x190
	s_mul_i32 s28, s24, 0x190
	s_mul_hi_i32 s31, s24, 0x198
	s_mul_i32 s30, s24, 0x198
	s_mul_hi_i32 s35, s24, 0x188
	s_mul_i32 s34, s24, 0x188
	s_mul_hi_i32 s37, s24, 0x180
	s_mul_i32 s36, s24, 0x180
	s_mul_hi_i32 s39, s24, 0x108
	s_mul_i32 s38, s24, 0x108
	s_lshl_b64 s[40:41], s[24:25], 8
	s_mul_hi_i32 s43, s24, 0x88
	s_mul_i32 s42, s24, 0x88
	s_lshl_b64 s[24:25], s[24:25], 7
	s_mov_b32 s44, 0
	v_add_u32_e32 v82, v79, v0
	s_branch .LBB46_138
.LBB46_137:                             ;   in Loop: Header=BB46_138 Depth=1
	s_or_b64 exec, exec, s[46:47]
	v_pk_mul_f32 v[84:85], v[48:49], v[4:5] op_sel:[1,1] op_sel_hi:[0,1]
	v_mov_b32_e32 v86, v7
	v_pk_fma_f32 v[92:93], v[48:49], v[4:5], v[84:85] neg_lo:[0,0,1] neg_hi:[0,0,1]
	v_pk_fma_f32 v[4:5], v[48:49], v[4:5], v[84:85] op_sel_hi:[1,0,1]
	v_pk_mul_f32 v[86:87], v[46:47], v[86:87] op_sel:[1,0] op_sel_hi:[0,0]
	v_mov_b32_e32 v93, v5
	v_pk_mul_f32 v[88:89], v[44:45], v[0:1] op_sel:[1,1] op_sel_hi:[0,1]
	v_pk_add_f32 v[4:5], v[36:37], v[92:93]
	v_pk_fma_f32 v[36:37], v[46:47], v[6:7], v[86:87] neg_lo:[0,0,1] neg_hi:[0,0,1]
	v_pk_fma_f32 v[6:7], v[46:47], v[6:7], v[86:87] op_sel_hi:[1,0,1]
	v_mov_b32_e32 v90, v3
	v_mov_b32_e32 v37, v7
	v_pk_fma_f32 v[6:7], v[44:45], v[0:1], v[88:89] neg_lo:[0,0,1] neg_hi:[0,0,1]
	v_pk_fma_f32 v[0:1], v[44:45], v[0:1], v[88:89] op_sel_hi:[1,0,1]
	v_pk_mul_f32 v[90:91], v[42:43], v[90:91] op_sel:[1,0] op_sel_hi:[0,0]
	v_pk_add_f32 v[4:5], v[4:5], v[36:37]
	v_mov_b32_e32 v7, v1
	v_pk_add_f32 v[0:1], v[4:5], v[6:7]
	v_pk_fma_f32 v[4:5], v[42:43], v[2:3], v[90:91] neg_lo:[0,0,1] neg_hi:[0,0,1]
	v_pk_fma_f32 v[2:3], v[42:43], v[2:3], v[90:91] op_sel_hi:[1,0,1]
	s_add_i32 s2, s2, -1
	v_mov_b32_e32 v5, v3
	v_pk_add_f32 v[0:1], v[0:1], v[4:5]
	v_pk_mul_f32 v[2:3], v[52:53], v[12:13] op_sel:[1,1] op_sel_hi:[0,1]
	v_mov_b32_e32 v4, v15
	v_pk_mul_f32 v[4:5], v[50:51], v[4:5] op_sel:[1,0] op_sel_hi:[0,0]
	v_pk_fma_f32 v[6:7], v[52:53], v[12:13], v[2:3] neg_lo:[0,0,1] neg_hi:[0,0,1]
	v_pk_fma_f32 v[2:3], v[52:53], v[12:13], v[2:3] op_sel_hi:[1,0,1]
	s_add_i32 s44, s44, s3
	v_mov_b32_e32 v7, v3
	v_pk_fma_f32 v[2:3], v[50:51], v[14:15], v[4:5] neg_lo:[0,0,1] neg_hi:[0,0,1]
	v_pk_fma_f32 v[4:5], v[50:51], v[14:15], v[4:5] op_sel_hi:[1,0,1]
	v_pk_add_f32 v[0:1], v[0:1], v[6:7]
	v_mov_b32_e32 v3, v5
	v_pk_add_f32 v[0:1], v[0:1], v[2:3]
	v_pk_mul_f32 v[2:3], v[54:55], v[8:9] op_sel:[1,1] op_sel_hi:[0,1]
	v_pk_fma_f32 v[4:5], v[54:55], v[8:9], v[2:3] neg_lo:[0,0,1] neg_hi:[0,0,1]
	v_pk_fma_f32 v[2:3], v[54:55], v[8:9], v[2:3] op_sel_hi:[1,0,1]
	v_mov_b32_e32 v8, v23
	v_mov_b32_e32 v2, v11
	;; [unrolled: 1-line block ×3, first 2 shown]
	v_pk_mul_f32 v[2:3], v[56:57], v[2:3] op_sel:[1,0] op_sel_hi:[0,0]
	v_pk_fma_f32 v[6:7], v[56:57], v[10:11], v[2:3] neg_lo:[0,0,1] neg_hi:[0,0,1]
	v_pk_fma_f32 v[2:3], v[56:57], v[10:11], v[2:3] op_sel_hi:[1,0,1]
	v_pk_add_f32 v[0:1], v[0:1], v[4:5]
	v_mov_b32_e32 v7, v3
	v_pk_mul_f32 v[2:3], v[64:65], v[16:17] op_sel:[1,1] op_sel_hi:[0,1]
	v_mov_b32_e32 v4, v19
	v_pk_mul_f32 v[4:5], v[62:63], v[4:5] op_sel:[1,0] op_sel_hi:[0,0]
	v_pk_fma_f32 v[10:11], v[64:65], v[16:17], v[2:3] neg_lo:[0,0,1] neg_hi:[0,0,1]
	v_pk_fma_f32 v[2:3], v[64:65], v[16:17], v[2:3] op_sel_hi:[1,0,1]
	v_pk_add_f32 v[0:1], v[0:1], v[6:7]
	v_mov_b32_e32 v11, v3
	v_pk_fma_f32 v[2:3], v[62:63], v[18:19], v[4:5] neg_lo:[0,0,1] neg_hi:[0,0,1]
	v_pk_fma_f32 v[4:5], v[62:63], v[18:19], v[4:5] op_sel_hi:[1,0,1]
	v_pk_mul_f32 v[6:7], v[60:61], v[20:21] op_sel:[1,1] op_sel_hi:[0,1]
	v_pk_add_f32 v[0:1], v[0:1], v[10:11]
	v_mov_b32_e32 v3, v5
	v_pk_add_f32 v[0:1], v[0:1], v[2:3]
	v_pk_fma_f32 v[2:3], v[60:61], v[20:21], v[6:7] neg_lo:[0,0,1] neg_hi:[0,0,1]
	v_pk_fma_f32 v[4:5], v[60:61], v[20:21], v[6:7] op_sel_hi:[1,0,1]
	v_pk_mul_f32 v[8:9], v[58:59], v[8:9] op_sel:[1,0] op_sel_hi:[0,0]
	v_mov_b32_e32 v3, v5
	v_pk_add_f32 v[0:1], v[0:1], v[2:3]
	v_pk_fma_f32 v[2:3], v[58:59], v[22:23], v[8:9] neg_lo:[0,0,1] neg_hi:[0,0,1]
	v_pk_fma_f32 v[4:5], v[58:59], v[22:23], v[8:9] op_sel_hi:[1,0,1]
	v_pk_mul_f32 v[6:7], v[68:69], v[28:29] op_sel:[1,1] op_sel_hi:[0,1]
	v_mov_b32_e32 v3, v5
	v_pk_add_f32 v[0:1], v[0:1], v[2:3]
	v_pk_mul_f32 v[2:3], v[72:73], v[24:25] op_sel:[1,1] op_sel_hi:[0,1]
	v_mov_b32_e32 v4, v27
	v_pk_mul_f32 v[4:5], v[70:71], v[4:5] op_sel:[1,0] op_sel_hi:[0,0]
	v_pk_fma_f32 v[10:11], v[72:73], v[24:25], v[2:3] neg_lo:[0,0,1] neg_hi:[0,0,1]
	v_pk_fma_f32 v[2:3], v[72:73], v[24:25], v[2:3] op_sel_hi:[1,0,1]
	v_mov_b32_e32 v8, v31
	v_mov_b32_e32 v11, v3
	v_pk_fma_f32 v[2:3], v[70:71], v[26:27], v[4:5] neg_lo:[0,0,1] neg_hi:[0,0,1]
	v_pk_fma_f32 v[4:5], v[70:71], v[26:27], v[4:5] op_sel_hi:[1,0,1]
	v_pk_mul_f32 v[8:9], v[66:67], v[8:9] op_sel:[1,0] op_sel_hi:[0,0]
	v_mov_b32_e32 v3, v5
	v_pk_fma_f32 v[4:5], v[68:69], v[28:29], v[6:7] neg_lo:[0,0,1] neg_hi:[0,0,1]
	v_pk_fma_f32 v[6:7], v[68:69], v[28:29], v[6:7] op_sel_hi:[1,0,1]
	v_pk_add_f32 v[0:1], v[0:1], v[10:11]
	v_mov_b32_e32 v5, v7
	v_pk_fma_f32 v[6:7], v[66:67], v[30:31], v[8:9] neg_lo:[0,0,1] neg_hi:[0,0,1]
	v_pk_fma_f32 v[8:9], v[66:67], v[30:31], v[8:9] op_sel_hi:[1,0,1]
	v_pk_add_f32 v[0:1], v[0:1], v[2:3]
	v_mov_b32_e32 v7, v9
	v_pk_add_f32 v[0:1], v[0:1], v[4:5]
	v_lshl_add_u64 v[40:41], v[40:41], 0, s[10:11]
	v_pk_add_f32 v[36:37], v[0:1], v[6:7]
	s_cmp_eq_u32 s2, 0
	v_add_u32_e32 v34, 64, v34
	s_barrier
	s_cbranch_scc1 .LBB46_142
.LBB46_138:                             ; =>This Inner Loop Header: Depth=1
	s_and_saveexec_b64 s[46:47], s[18:19]
	s_cbranch_execz .LBB46_140
; %bb.139:                              ;   in Loop: Header=BB46_138 Depth=1
	s_ashr_i32 s45, s44, 31
	v_lshl_add_u64 v[0:1], s[44:45], 3, v[38:39]
	flat_load_dwordx2 v[0:1], v[0:1]
	s_waitcnt vmcnt(0) lgkmcnt(0)
	ds_write_b64 v75, v[0:1]
.LBB46_140:                             ;   in Loop: Header=BB46_138 Depth=1
	s_or_b64 exec, exec, s[46:47]
	v_lshl_add_u64 v[0:1], v[40:41], 0, s[8:9]
	s_waitcnt lgkmcnt(0)
	s_barrier
	flat_load_dwordx2 v[48:49], v[40:41]
	flat_load_dwordx2 v[46:47], v[0:1]
	v_lshl_add_u64 v[0:1], v[40:41], 0, s[12:13]
	flat_load_dwordx2 v[44:45], v[0:1]
	v_lshl_add_u64 v[0:1], v[40:41], 0, s[14:15]
	flat_load_dwordx2 v[42:43], v[0:1]
	ds_read_b64 v[8:9], v77
	ds_read_b128 v[4:7], v76
	ds_read_b128 v[0:3], v76 offset:16
	v_lshl_add_u64 v[10:11], v[40:41], 0, s[24:25]
	v_lshl_add_u64 v[68:69], v[40:41], 0, s[36:37]
	s_waitcnt vmcnt(0) lgkmcnt(0)
	v_mul_f32_e32 v12, v49, v9
	v_mul_f32_e32 v13, v49, v8
	;; [unrolled: 1-line block ×8, first 2 shown]
	v_fmac_f32_e32 v12, v48, v8
	v_fma_f32 v13, v48, v9, -v13
	v_fmac_f32_e32 v14, v46, v8
	v_fma_f32 v15, v46, v9, -v15
	;; [unrolled: 2-line block ×4, first 2 shown]
	v_lshl_add_u64 v[8:9], v[40:41], 0, s[42:43]
	ds_write2_b64 v78, v[12:13], v[14:15] offset1:67
	ds_write2_b64 v78, v[16:17], v[18:19] offset0:134 offset1:201
	s_waitcnt lgkmcnt(0)
	s_barrier
	ds_read2_b64 v[24:27], v79 offset1:1
	ds_read2_b64 v[28:31], v79 offset0:2 offset1:3
	s_waitcnt lgkmcnt(0)
	s_barrier
	flat_load_dwordx2 v[52:53], v[10:11]
	flat_load_dwordx2 v[50:51], v[8:9]
	v_lshl_add_u64 v[8:9], v[40:41], 0, s[16:17]
	flat_load_dwordx2 v[54:55], v[8:9]
	v_lshl_add_u64 v[8:9], v[40:41], 0, s[20:21]
	flat_load_dwordx2 v[56:57], v[8:9]
	ds_read_b64 v[16:17], v77
	v_lshl_add_u64 v[18:19], v[40:41], 0, s[40:41]
	ds_read_b128 v[12:15], v76 offset:128
	ds_read_b128 v[8:11], v76 offset:144
	v_pk_add_f32 v[24:25], v[24:25], 0 op_sel_hi:[1,0]
	s_waitcnt vmcnt(0) lgkmcnt(0)
	v_mul_f32_e32 v20, v53, v17
	v_mul_f32_e32 v21, v53, v16
	;; [unrolled: 1-line block ×8, first 2 shown]
	v_fma_f32 v21, v52, v17, -v21
	v_fmac_f32_e32 v20, v52, v16
	v_fmac_f32_e32 v22, v50, v16
	v_fma_f32 v23, v50, v17, -v23
	v_fmac_f32_e32 v58, v54, v16
	v_fma_f32 v59, v54, v17, -v59
	;; [unrolled: 2-line block ×3, first 2 shown]
	v_lshl_add_u64 v[16:17], v[40:41], 0, s[38:39]
	ds_write2_b64 v78, v[20:21], v[22:23] offset1:67
	ds_write2_b64 v78, v[58:59], v[60:61] offset0:134 offset1:201
	s_waitcnt lgkmcnt(0)
	s_barrier
	ds_read2_b64 v[84:87], v79 offset1:1
	ds_read2_b64 v[88:91], v79 offset0:2 offset1:3
	s_waitcnt lgkmcnt(0)
	s_barrier
	flat_load_dwordx2 v[64:65], v[18:19]
	flat_load_dwordx2 v[62:63], v[16:17]
	v_lshl_add_u64 v[16:17], v[40:41], 0, s[22:23]
	flat_load_dwordx2 v[60:61], v[16:17]
	v_lshl_add_u64 v[16:17], v[40:41], 0, s[26:27]
	flat_load_dwordx2 v[58:59], v[16:17]
	ds_read_b64 v[66:67], v77
	ds_read_b128 v[16:19], v76 offset:256
	ds_read_b128 v[20:23], v76 offset:272
	v_pk_add_f32 v[24:25], v[24:25], v[26:27]
	s_waitcnt vmcnt(0) lgkmcnt(0)
	v_mul_f32_e32 v70, v65, v67
	v_mul_f32_e32 v71, v65, v66
	;; [unrolled: 1-line block ×8, first 2 shown]
	v_fma_f32 v71, v64, v67, -v71
	v_fma_f32 v73, v62, v67, -v73
	;; [unrolled: 1-line block ×4, first 2 shown]
	v_fmac_f32_e32 v70, v64, v66
	v_fmac_f32_e32 v72, v62, v66
	;; [unrolled: 1-line block ×4, first 2 shown]
	v_lshl_add_u64 v[66:67], v[40:41], 0, s[34:35]
	ds_write2_b64 v78, v[70:71], v[72:73] offset1:67
	ds_write2_b64 v78, v[92:93], v[94:95] offset0:134 offset1:201
	s_waitcnt lgkmcnt(0)
	s_barrier
	ds_read2_b64 v[92:95], v79 offset1:1
	ds_read2_b64 v[96:99], v79 offset0:2 offset1:3
	s_waitcnt lgkmcnt(0)
	s_barrier
	flat_load_dwordx2 v[72:73], v[68:69]
	flat_load_dwordx2 v[70:71], v[66:67]
	v_lshl_add_u64 v[66:67], v[40:41], 0, s[28:29]
	flat_load_dwordx2 v[68:69], v[66:67]
	v_lshl_add_u64 v[66:67], v[40:41], 0, s[30:31]
	flat_load_dwordx2 v[66:67], v[66:67]
	v_pk_add_f32 v[24:25], v[24:25], v[28:29]
	s_nop 0
	v_pk_add_f32 v[100:101], v[24:25], v[30:31]
	v_pk_add_f32 v[24:25], v[84:85], 0 op_sel_hi:[1,0]
	s_nop 0
	v_pk_add_f32 v[24:25], v[24:25], v[86:87]
	v_pk_add_f32 v[86:87], v[92:93], 0 op_sel_hi:[1,0]
	v_pk_add_f32 v[24:25], v[24:25], v[88:89]
	v_pk_add_f32 v[86:87], v[86:87], v[94:95]
	v_pk_add_f32 v[102:103], v[24:25], v[90:91]
	ds_read_b64 v[84:85], v77
	ds_read_b128 v[24:27], v76 offset:384
	ds_read_b128 v[28:31], v76 offset:400
	v_pk_add_f32 v[86:87], v[86:87], v[96:97]
	s_waitcnt vmcnt(0) lgkmcnt(0)
	v_mul_f32_e32 v83, v73, v84
	v_pk_add_f32 v[92:93], v[86:87], v[98:99]
	v_mul_f32_e32 v86, v73, v85
	v_mul_f32_e32 v89, v71, v84
	;; [unrolled: 1-line block ×7, first 2 shown]
	v_fma_f32 v87, v72, v85, -v83
	v_fma_f32 v89, v70, v85, -v89
	v_fmac_f32_e32 v86, v72, v84
	v_fmac_f32_e32 v88, v70, v84
	v_fma_f32 v91, v68, v85, -v91
	v_fmac_f32_e32 v90, v68, v84
	v_fma_f32 v95, v66, v85, -v95
	v_fmac_f32_e32 v94, v66, v84
	ds_write2_b64 v78, v[86:87], v[88:89] offset1:67
	ds_write2_b64 v78, v[90:91], v[94:95] offset0:134 offset1:201
	s_waitcnt lgkmcnt(0)
	s_barrier
	ds_read2_b64 v[84:87], v79 offset1:1
	ds_read2_b64 v[88:91], v79 offset0:2 offset1:3
	s_waitcnt lgkmcnt(0)
	s_barrier
	v_pk_add_f32 v[84:85], v[84:85], 0 op_sel_hi:[1,0]
	ds_write2_b64 v82, v[100:101], v[102:103] offset1:16
	v_pk_add_f32 v[84:85], v[84:85], v[86:87]
	s_nop 0
	v_pk_add_f32 v[84:85], v[84:85], v[88:89]
	s_nop 0
	v_pk_add_f32 v[84:85], v[84:85], v[90:91]
	ds_write2_b64 v82, v[92:93], v[84:85] offset0:32 offset1:48
	s_waitcnt lgkmcnt(0)
	s_barrier
	s_and_saveexec_b64 s[46:47], s[0:1]
	s_cbranch_execz .LBB46_137
; %bb.141:                              ;   in Loop: Header=BB46_138 Depth=1
	ds_read_b64 v[92:93], v80
	ds_read2_b64 v[84:87], v80 offset0:1 offset1:2
	ds_read2_b64 v[88:91], v80 offset0:3 offset1:4
	v_lshl_add_u64 v[96:97], v[34:35], 3, s[6:7]
	s_waitcnt lgkmcnt(1)
	v_add_f32_e32 v83, v84, v92
	v_add_f32_e32 v84, v85, v93
	v_add_f32_e32 v83, v86, v83
	v_add_f32_e32 v92, v87, v84
	ds_read2_b64 v[84:87], v80 offset0:5 offset1:6
	s_waitcnt lgkmcnt(1)
	v_add_f32_e32 v83, v83, v88
	v_add_f32_e32 v88, v92, v89
	;; [unrolled: 1-line block ×4, first 2 shown]
	ds_read2_b64 v[88:91], v80 offset0:7 offset1:8
	s_waitcnt lgkmcnt(1)
	v_pk_add_f32 v[84:85], v[92:93], v[84:85]
	ds_read2_b64 v[92:95], v80 offset0:9 offset1:10
	v_pk_add_f32 v[84:85], v[84:85], v[86:87]
	s_waitcnt lgkmcnt(1)
	v_pk_add_f32 v[84:85], v[84:85], v[88:89]
	s_nop 0
	v_pk_add_f32 v[88:89], v[84:85], v[90:91]
	ds_read2_b64 v[84:87], v80 offset0:11 offset1:12
	s_waitcnt lgkmcnt(1)
	v_pk_add_f32 v[92:93], v[88:89], v[92:93]
	ds_read2_b64 v[88:91], v80 offset0:13 offset1:14
	v_pk_add_f32 v[92:93], v[92:93], v[94:95]
	ds_read_b64 v[94:95], v81
	s_waitcnt lgkmcnt(2)
	v_pk_add_f32 v[84:85], v[92:93], v[84:85]
	s_nop 0
	v_pk_add_f32 v[84:85], v[84:85], v[86:87]
	s_waitcnt lgkmcnt(1)
	v_pk_add_f32 v[84:85], v[84:85], v[88:89]
	s_nop 0
	v_pk_add_f32 v[84:85], v[84:85], v[90:91]
	s_waitcnt lgkmcnt(0)
	v_pk_add_f32 v[84:85], v[84:85], v[94:95]
	global_store_dwordx2 v[96:97], v[84:85], off
	s_branch .LBB46_137
.LBB46_142:
	s_movk_i32 s0, 0x218
	v_mad_u32_u24 v0, v33, s0, v74
	s_nor_b64 s[0:1], s[4:5], vcc
	ds_write_b64 v0, v[36:37]
	s_waitcnt lgkmcnt(0)
	s_barrier
	s_and_saveexec_b64 s[2:3], s[0:1]
	s_cbranch_execz .LBB46_144
; %bb.143:
	ds_read2_b64 v[0:3], v74 offset1:67
	ds_read2_b64 v[4:7], v74 offset0:134 offset1:201
	v_ashrrev_i32_e32 v33, 31, v32
	v_lshl_add_u64 v[8:9], v[32:33], 3, s[6:7]
	s_waitcnt lgkmcnt(1)
	v_pk_add_f32 v[0:1], v[2:3], v[0:1]
	s_waitcnt lgkmcnt(0)
	v_pk_add_f32 v[0:1], v[4:5], v[0:1]
	s_nop 0
	v_pk_add_f32 v[0:1], v[0:1], v[6:7]
	global_store_dwordx2 v[8:9], v[0:1], off
.LBB46_144:
	s_endpgm
	.section	.rodata,"a",@progbits
	.p2align	6, 0x0
	.amdhsa_kernel _ZL26rocblas_hemvn_kernel_lowerILb1ELi64ELi4ELi33ELi32ELi16Ei19rocblas_complex_numIfEPKPKS1_PS1_EviT6_lT7_lT5_lS8_lS9_lS7_lT8_i
		.amdhsa_group_segment_fixed_size 9600
		.amdhsa_private_segment_fixed_size 0
		.amdhsa_kernarg_size 376
		.amdhsa_user_sgpr_count 2
		.amdhsa_user_sgpr_dispatch_ptr 0
		.amdhsa_user_sgpr_queue_ptr 0
		.amdhsa_user_sgpr_kernarg_segment_ptr 1
		.amdhsa_user_sgpr_dispatch_id 0
		.amdhsa_user_sgpr_kernarg_preload_length 0
		.amdhsa_user_sgpr_kernarg_preload_offset 0
		.amdhsa_user_sgpr_private_segment_size 0
		.amdhsa_uses_dynamic_stack 0
		.amdhsa_enable_private_segment 0
		.amdhsa_system_sgpr_workgroup_id_x 1
		.amdhsa_system_sgpr_workgroup_id_y 0
		.amdhsa_system_sgpr_workgroup_id_z 1
		.amdhsa_system_sgpr_workgroup_info 0
		.amdhsa_system_vgpr_workitem_id 1
		.amdhsa_next_free_vgpr 104
		.amdhsa_next_free_sgpr 48
		.amdhsa_accum_offset 104
		.amdhsa_reserve_vcc 1
		.amdhsa_float_round_mode_32 0
		.amdhsa_float_round_mode_16_64 0
		.amdhsa_float_denorm_mode_32 3
		.amdhsa_float_denorm_mode_16_64 3
		.amdhsa_dx10_clamp 1
		.amdhsa_ieee_mode 1
		.amdhsa_fp16_overflow 0
		.amdhsa_tg_split 0
		.amdhsa_exception_fp_ieee_invalid_op 0
		.amdhsa_exception_fp_denorm_src 0
		.amdhsa_exception_fp_ieee_div_zero 0
		.amdhsa_exception_fp_ieee_overflow 0
		.amdhsa_exception_fp_ieee_underflow 0
		.amdhsa_exception_fp_ieee_inexact 0
		.amdhsa_exception_int_div_zero 0
	.end_amdhsa_kernel
	.section	.text._ZL26rocblas_hemvn_kernel_lowerILb1ELi64ELi4ELi33ELi32ELi16Ei19rocblas_complex_numIfEPKPKS1_PS1_EviT6_lT7_lT5_lS8_lS9_lS7_lT8_i,"axG",@progbits,_ZL26rocblas_hemvn_kernel_lowerILb1ELi64ELi4ELi33ELi32ELi16Ei19rocblas_complex_numIfEPKPKS1_PS1_EviT6_lT7_lT5_lS8_lS9_lS7_lT8_i,comdat
.Lfunc_end46:
	.size	_ZL26rocblas_hemvn_kernel_lowerILb1ELi64ELi4ELi33ELi32ELi16Ei19rocblas_complex_numIfEPKPKS1_PS1_EviT6_lT7_lT5_lS8_lS9_lS7_lT8_i, .Lfunc_end46-_ZL26rocblas_hemvn_kernel_lowerILb1ELi64ELi4ELi33ELi32ELi16Ei19rocblas_complex_numIfEPKPKS1_PS1_EviT6_lT7_lT5_lS8_lS9_lS7_lT8_i
                                        ; -- End function
	.set _ZL26rocblas_hemvn_kernel_lowerILb1ELi64ELi4ELi33ELi32ELi16Ei19rocblas_complex_numIfEPKPKS1_PS1_EviT6_lT7_lT5_lS8_lS9_lS7_lT8_i.num_vgpr, 104
	.set _ZL26rocblas_hemvn_kernel_lowerILb1ELi64ELi4ELi33ELi32ELi16Ei19rocblas_complex_numIfEPKPKS1_PS1_EviT6_lT7_lT5_lS8_lS9_lS7_lT8_i.num_agpr, 0
	.set _ZL26rocblas_hemvn_kernel_lowerILb1ELi64ELi4ELi33ELi32ELi16Ei19rocblas_complex_numIfEPKPKS1_PS1_EviT6_lT7_lT5_lS8_lS9_lS7_lT8_i.numbered_sgpr, 48
	.set _ZL26rocblas_hemvn_kernel_lowerILb1ELi64ELi4ELi33ELi32ELi16Ei19rocblas_complex_numIfEPKPKS1_PS1_EviT6_lT7_lT5_lS8_lS9_lS7_lT8_i.num_named_barrier, 0
	.set _ZL26rocblas_hemvn_kernel_lowerILb1ELi64ELi4ELi33ELi32ELi16Ei19rocblas_complex_numIfEPKPKS1_PS1_EviT6_lT7_lT5_lS8_lS9_lS7_lT8_i.private_seg_size, 0
	.set _ZL26rocblas_hemvn_kernel_lowerILb1ELi64ELi4ELi33ELi32ELi16Ei19rocblas_complex_numIfEPKPKS1_PS1_EviT6_lT7_lT5_lS8_lS9_lS7_lT8_i.uses_vcc, 1
	.set _ZL26rocblas_hemvn_kernel_lowerILb1ELi64ELi4ELi33ELi32ELi16Ei19rocblas_complex_numIfEPKPKS1_PS1_EviT6_lT7_lT5_lS8_lS9_lS7_lT8_i.uses_flat_scratch, 0
	.set _ZL26rocblas_hemvn_kernel_lowerILb1ELi64ELi4ELi33ELi32ELi16Ei19rocblas_complex_numIfEPKPKS1_PS1_EviT6_lT7_lT5_lS8_lS9_lS7_lT8_i.has_dyn_sized_stack, 0
	.set _ZL26rocblas_hemvn_kernel_lowerILb1ELi64ELi4ELi33ELi32ELi16Ei19rocblas_complex_numIfEPKPKS1_PS1_EviT6_lT7_lT5_lS8_lS9_lS7_lT8_i.has_recursion, 0
	.set _ZL26rocblas_hemvn_kernel_lowerILb1ELi64ELi4ELi33ELi32ELi16Ei19rocblas_complex_numIfEPKPKS1_PS1_EviT6_lT7_lT5_lS8_lS9_lS7_lT8_i.has_indirect_call, 0
	.section	.AMDGPU.csdata,"",@progbits
; Kernel info:
; codeLenInByte = 8068
; TotalNumSgprs: 54
; NumVgprs: 104
; NumAgprs: 0
; TotalNumVgprs: 104
; ScratchSize: 0
; MemoryBound: 1
; FloatMode: 240
; IeeeMode: 1
; LDSByteSize: 9600 bytes/workgroup (compile time only)
; SGPRBlocks: 6
; VGPRBlocks: 12
; NumSGPRsForWavesPerEU: 54
; NumVGPRsForWavesPerEU: 104
; AccumOffset: 104
; Occupancy: 4
; WaveLimiterHint : 1
; COMPUTE_PGM_RSRC2:SCRATCH_EN: 0
; COMPUTE_PGM_RSRC2:USER_SGPR: 2
; COMPUTE_PGM_RSRC2:TRAP_HANDLER: 0
; COMPUTE_PGM_RSRC2:TGID_X_EN: 1
; COMPUTE_PGM_RSRC2:TGID_Y_EN: 0
; COMPUTE_PGM_RSRC2:TGID_Z_EN: 1
; COMPUTE_PGM_RSRC2:TIDIG_COMP_CNT: 1
; COMPUTE_PGM_RSRC3_GFX90A:ACCUM_OFFSET: 25
; COMPUTE_PGM_RSRC3_GFX90A:TG_SPLIT: 0
	.section	.text._ZL36rocblas_hemvn_kernel_lower_block_sumILi64Ei19rocblas_complex_numIfEPKPS1_S1_EviT1_lS5_lT2_lT0_lPT3_i,"axG",@progbits,_ZL36rocblas_hemvn_kernel_lower_block_sumILi64Ei19rocblas_complex_numIfEPKPS1_S1_EviT1_lS5_lT2_lT0_lPT3_i,comdat
	.globl	_ZL36rocblas_hemvn_kernel_lower_block_sumILi64Ei19rocblas_complex_numIfEPKPS1_S1_EviT1_lS5_lT2_lT0_lPT3_i ; -- Begin function _ZL36rocblas_hemvn_kernel_lower_block_sumILi64Ei19rocblas_complex_numIfEPKPS1_S1_EviT1_lS5_lT2_lT0_lPT3_i
	.p2align	8
	.type	_ZL36rocblas_hemvn_kernel_lower_block_sumILi64Ei19rocblas_complex_numIfEPKPS1_S1_EviT1_lS5_lT2_lT0_lPT3_i,@function
_ZL36rocblas_hemvn_kernel_lower_block_sumILi64Ei19rocblas_complex_numIfEPKPS1_S1_EviT1_lS5_lT2_lT0_lPT3_i: ; @_ZL36rocblas_hemvn_kernel_lower_block_sumILi64Ei19rocblas_complex_numIfEPKPS1_S1_EviT1_lS5_lT2_lT0_lPT3_i
; %bb.0:
	s_load_dwordx4 s[8:11], s[0:1], 0x0
	s_load_dwordx2 s[6:7], s[0:1], 0x18
	s_mov_b32 s14, s3
	s_mov_b32 s15, 0
	s_waitcnt lgkmcnt(0)
	s_or_b32 s3, s9, s10
	s_bitset0_b32 s3, 31
	s_mov_b32 s13, s10
	s_cmp_eq_u32 s3, 0
	v_cmp_eq_f32_e64 s[10:11], s6, 1.0
	v_cmp_eq_f32_e64 s[16:17], s7, 0
	s_cselect_b64 s[4:5], -1, 0
	s_and_b64 s[10:11], s[10:11], s[16:17]
	s_and_b64 s[10:11], s[4:5], s[10:11]
	s_and_b64 vcc, exec, s[10:11]
	s_cbranch_vccnz .LBB47_17
; %bb.1:
	s_load_dwordx4 s[16:19], s[0:1], 0x28
	s_load_dword s3, s[0:1], 0x38
	s_lshl_b64 s[10:11], s[14:15], 3
	v_lshl_or_b32 v4, s2, 6, v0
	s_mov_b32 s12, s9
	s_waitcnt lgkmcnt(0)
	s_add_u32 s10, s16, s10
	s_addc_u32 s11, s17, s11
	s_load_dwordx2 s[10:11], s[10:11], 0x0
	s_lshl_b64 s[18:19], s[18:19], 3
	s_mov_b64 s[16:17], -1
	s_waitcnt lgkmcnt(0)
	s_add_u32 s10, s10, s18
	s_addc_u32 s11, s11, s19
	s_andn2_b64 vcc, exec, s[4:5]
	v_cmp_gt_i32_e64 s[4:5], s8, v4
	s_cbranch_vccnz .LBB47_7
; %bb.2:
	s_and_saveexec_b64 s[16:17], s[4:5]
	s_cbranch_execz .LBB47_6
; %bb.3:
	v_cmp_neq_f32_e64 s[4:5], s6, 0
	v_cmp_neq_f32_e64 s[18:19], s7, 0
	v_mul_lo_u32 v2, s3, v4
	v_ashrrev_i32_e32 v3, 31, v2
	s_or_b64 s[4:5], s[4:5], s[18:19]
	v_mov_b32_e32 v0, 0
	s_andn2_b64 vcc, exec, s[4:5]
	v_lshl_add_u64 v[2:3], v[2:3], 3, s[10:11]
	v_mov_b32_e32 v1, 0
	s_cbranch_vccnz .LBB47_5
; %bb.4:
	flat_load_dwordx2 v[6:7], v[2:3]
	s_waitcnt vmcnt(0) lgkmcnt(0)
	v_pk_mul_f32 v[8:9], v[6:7], s[6:7] op_sel:[1,1] op_sel_hi:[1,0]
	s_nop 0
	v_pk_fma_f32 v[0:1], v[6:7], s[6:7], v[8:9] neg_lo:[0,0,1] neg_hi:[0,0,1]
	v_pk_fma_f32 v[6:7], v[6:7], s[6:7], v[8:9] op_sel_hi:[0,1,1]
	v_mov_b32_e32 v1, v7
.LBB47_5:
	flat_store_dwordx2 v[2:3], v[0:1]
.LBB47_6:
	s_or_b64 exec, exec, s[16:17]
	s_mov_b64 s[16:17], 0
.LBB47_7:
	s_andn2_b64 vcc, exec, s[16:17]
	s_cbranch_vccnz .LBB47_17
; %bb.8:
	v_cmp_gt_i32_e32 vcc, s8, v4
	s_and_saveexec_b64 s[4:5], vcc
	s_cbranch_execz .LBB47_17
; %bb.9:
	s_load_dword s4, s[0:1], 0x58
	v_mov_b32_e32 v1, 0
	v_mov_b32_e32 v0, v1
	s_waitcnt lgkmcnt(0)
	s_cmp_ge_i32 s2, s4
	s_cbranch_scc1 .LBB47_12
; %bb.10:
	s_ashr_i32 s9, s8, 31
	s_mul_i32 s5, s8, s2
	s_load_dwordx2 s[0:1], s[0:1], 0x48
	v_add_u32_e32 v0, s5, v4
	s_mul_hi_u32 s5, s8, s14
	s_mul_i32 s15, s9, s14
	s_add_i32 s5, s5, s15
	s_mul_i32 s14, s8, s14
	s_mul_i32 s5, s5, s4
	s_mul_hi_u32 s15, s14, s4
	s_add_i32 s15, s15, s5
	s_mul_i32 s14, s14, s4
	s_lshl_b64 s[14:15], s[14:15], 3
	s_waitcnt lgkmcnt(0)
	s_add_u32 s0, s0, s14
	v_ashrrev_i32_e32 v1, 31, v0
	s_addc_u32 s1, s1, s15
	v_lshl_add_u64 v[2:3], v[0:1], 3, s[0:1]
	v_mov_b32_e32 v0, 0
	s_lshl_b64 s[0:1], s[8:9], 3
	v_mov_b32_e32 v1, v0
.LBB47_11:                              ; =>This Inner Loop Header: Depth=1
	global_load_dwordx2 v[6:7], v[2:3], off
	s_add_i32 s2, s2, 1
	v_lshl_add_u64 v[2:3], v[2:3], 0, s[0:1]
	s_cmp_ge_i32 s2, s4
	s_waitcnt vmcnt(0)
	v_pk_add_f32 v[0:1], v[0:1], v[6:7]
	s_cbranch_scc0 .LBB47_11
.LBB47_12:
	v_cmp_neq_f32_e64 s[0:1], s6, 0
	v_cmp_neq_f32_e64 s[4:5], s7, 0
	s_or_b64 s[0:1], s[0:1], s[4:5]
	v_pk_mul_f32 v[6:7], v[0:1], s[12:13] op_sel:[1,1] op_sel_hi:[1,0]
	v_mul_lo_u32 v4, s3, v4
	s_andn2_b64 vcc, exec, s[0:1]
	v_pk_fma_f32 v[2:3], v[0:1], s[12:13], v[6:7] op_sel_hi:[0,1,1]
	v_ashrrev_i32_e32 v5, 31, v4
	s_cbranch_vccz .LBB47_14
; %bb.13:
	v_pk_mul_f32 v[8:9], v[0:1], s[12:13]
	s_nop 0
	v_sub_f32_e32 v2, v8, v6
	s_cbranch_execz .LBB47_15
	s_branch .LBB47_16
.LBB47_14:
.LBB47_15:
	v_lshl_add_u64 v[8:9], v[4:5], 3, s[10:11]
	flat_load_dwordx2 v[8:9], v[8:9]
	v_pk_fma_f32 v[0:1], v[0:1], s[12:13], v[6:7] neg_lo:[0,0,1] neg_hi:[0,0,1]
	s_waitcnt vmcnt(0) lgkmcnt(0)
	v_pk_mul_f32 v[6:7], v[8:9], s[6:7] op_sel:[1,1] op_sel_hi:[1,0]
	s_nop 0
	v_pk_fma_f32 v[10:11], v[8:9], s[6:7], v[6:7] neg_lo:[0,0,1] neg_hi:[0,0,1]
	v_pk_fma_f32 v[6:7], v[8:9], s[6:7], v[6:7] op_sel_hi:[0,1,1]
	v_mov_b32_e32 v11, v7
	v_mov_b32_e32 v1, v3
	v_pk_add_f32 v[2:3], v[0:1], v[10:11]
.LBB47_16:
	v_lshl_add_u64 v[0:1], v[4:5], 3, s[10:11]
	flat_store_dwordx2 v[0:1], v[2:3]
.LBB47_17:
	s_endpgm
	.section	.rodata,"a",@progbits
	.p2align	6, 0x0
	.amdhsa_kernel _ZL36rocblas_hemvn_kernel_lower_block_sumILi64Ei19rocblas_complex_numIfEPKPS1_S1_EviT1_lS5_lT2_lT0_lPT3_i
		.amdhsa_group_segment_fixed_size 0
		.amdhsa_private_segment_fixed_size 0
		.amdhsa_kernarg_size 344
		.amdhsa_user_sgpr_count 2
		.amdhsa_user_sgpr_dispatch_ptr 0
		.amdhsa_user_sgpr_queue_ptr 0
		.amdhsa_user_sgpr_kernarg_segment_ptr 1
		.amdhsa_user_sgpr_dispatch_id 0
		.amdhsa_user_sgpr_kernarg_preload_length 0
		.amdhsa_user_sgpr_kernarg_preload_offset 0
		.amdhsa_user_sgpr_private_segment_size 0
		.amdhsa_uses_dynamic_stack 0
		.amdhsa_enable_private_segment 0
		.amdhsa_system_sgpr_workgroup_id_x 1
		.amdhsa_system_sgpr_workgroup_id_y 0
		.amdhsa_system_sgpr_workgroup_id_z 1
		.amdhsa_system_sgpr_workgroup_info 0
		.amdhsa_system_vgpr_workitem_id 0
		.amdhsa_next_free_vgpr 12
		.amdhsa_next_free_sgpr 20
		.amdhsa_accum_offset 12
		.amdhsa_reserve_vcc 1
		.amdhsa_float_round_mode_32 0
		.amdhsa_float_round_mode_16_64 0
		.amdhsa_float_denorm_mode_32 3
		.amdhsa_float_denorm_mode_16_64 3
		.amdhsa_dx10_clamp 1
		.amdhsa_ieee_mode 1
		.amdhsa_fp16_overflow 0
		.amdhsa_tg_split 0
		.amdhsa_exception_fp_ieee_invalid_op 0
		.amdhsa_exception_fp_denorm_src 0
		.amdhsa_exception_fp_ieee_div_zero 0
		.amdhsa_exception_fp_ieee_overflow 0
		.amdhsa_exception_fp_ieee_underflow 0
		.amdhsa_exception_fp_ieee_inexact 0
		.amdhsa_exception_int_div_zero 0
	.end_amdhsa_kernel
	.section	.text._ZL36rocblas_hemvn_kernel_lower_block_sumILi64Ei19rocblas_complex_numIfEPKPS1_S1_EviT1_lS5_lT2_lT0_lPT3_i,"axG",@progbits,_ZL36rocblas_hemvn_kernel_lower_block_sumILi64Ei19rocblas_complex_numIfEPKPS1_S1_EviT1_lS5_lT2_lT0_lPT3_i,comdat
.Lfunc_end47:
	.size	_ZL36rocblas_hemvn_kernel_lower_block_sumILi64Ei19rocblas_complex_numIfEPKPS1_S1_EviT1_lS5_lT2_lT0_lPT3_i, .Lfunc_end47-_ZL36rocblas_hemvn_kernel_lower_block_sumILi64Ei19rocblas_complex_numIfEPKPS1_S1_EviT1_lS5_lT2_lT0_lPT3_i
                                        ; -- End function
	.set _ZL36rocblas_hemvn_kernel_lower_block_sumILi64Ei19rocblas_complex_numIfEPKPS1_S1_EviT1_lS5_lT2_lT0_lPT3_i.num_vgpr, 12
	.set _ZL36rocblas_hemvn_kernel_lower_block_sumILi64Ei19rocblas_complex_numIfEPKPS1_S1_EviT1_lS5_lT2_lT0_lPT3_i.num_agpr, 0
	.set _ZL36rocblas_hemvn_kernel_lower_block_sumILi64Ei19rocblas_complex_numIfEPKPS1_S1_EviT1_lS5_lT2_lT0_lPT3_i.numbered_sgpr, 20
	.set _ZL36rocblas_hemvn_kernel_lower_block_sumILi64Ei19rocblas_complex_numIfEPKPS1_S1_EviT1_lS5_lT2_lT0_lPT3_i.num_named_barrier, 0
	.set _ZL36rocblas_hemvn_kernel_lower_block_sumILi64Ei19rocblas_complex_numIfEPKPS1_S1_EviT1_lS5_lT2_lT0_lPT3_i.private_seg_size, 0
	.set _ZL36rocblas_hemvn_kernel_lower_block_sumILi64Ei19rocblas_complex_numIfEPKPS1_S1_EviT1_lS5_lT2_lT0_lPT3_i.uses_vcc, 1
	.set _ZL36rocblas_hemvn_kernel_lower_block_sumILi64Ei19rocblas_complex_numIfEPKPS1_S1_EviT1_lS5_lT2_lT0_lPT3_i.uses_flat_scratch, 0
	.set _ZL36rocblas_hemvn_kernel_lower_block_sumILi64Ei19rocblas_complex_numIfEPKPS1_S1_EviT1_lS5_lT2_lT0_lPT3_i.has_dyn_sized_stack, 0
	.set _ZL36rocblas_hemvn_kernel_lower_block_sumILi64Ei19rocblas_complex_numIfEPKPS1_S1_EviT1_lS5_lT2_lT0_lPT3_i.has_recursion, 0
	.set _ZL36rocblas_hemvn_kernel_lower_block_sumILi64Ei19rocblas_complex_numIfEPKPS1_S1_EviT1_lS5_lT2_lT0_lPT3_i.has_indirect_call, 0
	.section	.AMDGPU.csdata,"",@progbits
; Kernel info:
; codeLenInByte = 644
; TotalNumSgprs: 26
; NumVgprs: 12
; NumAgprs: 0
; TotalNumVgprs: 12
; ScratchSize: 0
; MemoryBound: 0
; FloatMode: 240
; IeeeMode: 1
; LDSByteSize: 0 bytes/workgroup (compile time only)
; SGPRBlocks: 3
; VGPRBlocks: 1
; NumSGPRsForWavesPerEU: 26
; NumVGPRsForWavesPerEU: 12
; AccumOffset: 12
; Occupancy: 8
; WaveLimiterHint : 1
; COMPUTE_PGM_RSRC2:SCRATCH_EN: 0
; COMPUTE_PGM_RSRC2:USER_SGPR: 2
; COMPUTE_PGM_RSRC2:TRAP_HANDLER: 0
; COMPUTE_PGM_RSRC2:TGID_X_EN: 1
; COMPUTE_PGM_RSRC2:TGID_Y_EN: 0
; COMPUTE_PGM_RSRC2:TGID_Z_EN: 1
; COMPUTE_PGM_RSRC2:TIDIG_COMP_CNT: 0
; COMPUTE_PGM_RSRC3_GFX90A:ACCUM_OFFSET: 2
; COMPUTE_PGM_RSRC3_GFX90A:TG_SPLIT: 0
	.section	.text._ZL26rocblas_hemvn_kernel_upperILb1ELi64ELi4ELi33ELi32ELi16ElPK19rocblas_complex_numIdEPKS3_PS1_EviT6_lT7_lT5_lS8_lS9_lS7_lT8_i,"axG",@progbits,_ZL26rocblas_hemvn_kernel_upperILb1ELi64ELi4ELi33ELi32ELi16ElPK19rocblas_complex_numIdEPKS3_PS1_EviT6_lT7_lT5_lS8_lS9_lS7_lT8_i,comdat
	.globl	_ZL26rocblas_hemvn_kernel_upperILb1ELi64ELi4ELi33ELi32ELi16ElPK19rocblas_complex_numIdEPKS3_PS1_EviT6_lT7_lT5_lS8_lS9_lS7_lT8_i ; -- Begin function _ZL26rocblas_hemvn_kernel_upperILb1ELi64ELi4ELi33ELi32ELi16ElPK19rocblas_complex_numIdEPKS3_PS1_EviT6_lT7_lT5_lS8_lS9_lS7_lT8_i
	.p2align	8
	.type	_ZL26rocblas_hemvn_kernel_upperILb1ELi64ELi4ELi33ELi32ELi16ElPK19rocblas_complex_numIdEPKS3_PS1_EviT6_lT7_lT5_lS8_lS9_lS7_lT8_i,@function
_ZL26rocblas_hemvn_kernel_upperILb1ELi64ELi4ELi33ELi32ELi16ElPK19rocblas_complex_numIdEPKS3_PS1_EviT6_lT7_lT5_lS8_lS9_lS7_lT8_i: ; @_ZL26rocblas_hemvn_kernel_upperILb1ELi64ELi4ELi33ELi32ELi16ElPK19rocblas_complex_numIdEPKS3_PS1_EviT6_lT7_lT5_lS8_lS9_lS7_lT8_i
; %bb.0:
	s_load_dwordx2 s[4:5], s[0:1], 0x84
	s_add_u32 s12, s0, 0x78
	s_mov_b32 s26, s3
	s_addc_u32 s13, s1, 0
	s_waitcnt lgkmcnt(0)
	s_and_b32 s3, s5, 0xffff
	s_lshr_b32 s5, s4, 16
	s_and_b32 s4, s4, 0xffff
	s_mul_i32 s4, s5, s4
	s_mul_i32 s4, s4, s3
	s_cmpk_lg_i32 s4, 0x100
	s_cbranch_scc1 .LBB48_201
; %bb.1:
	s_load_dwordx8 s[4:11], s[0:1], 0x8
	s_mov_b32 s27, 0
	s_waitcnt lgkmcnt(0)
	s_mul_i32 s3, s7, s26
	s_mul_hi_u32 s7, s6, s26
	s_mul_i32 s6, s6, s26
	s_add_i32 s7, s7, s3
	s_lshl_b64 s[6:7], s[6:7], 4
	s_add_u32 s14, s4, s6
	s_addc_u32 s15, s5, s7
	s_load_dwordx4 s[16:19], s[14:15], 0x0
	s_load_dwordx2 s[28:29], s[0:1], 0x68
	s_load_dwordx4 s[4:7], s[0:1], 0x58
	s_waitcnt lgkmcnt(0)
	v_cmp_neq_f64_e64 s[14:15], s[16:17], 0
	v_cmp_neq_f64_e64 s[16:17], s[18:19], 0
	s_or_b64 s[16:17], s[14:15], s[16:17]
	s_mov_b64 s[14:15], -1
	s_and_b64 vcc, exec, s[16:17]
	s_cbranch_vccnz .LBB48_3
; %bb.2:
	s_mul_i32 s3, s7, s26
	s_mul_hi_u32 s7, s6, s26
	s_add_i32 s7, s7, s3
	s_mul_i32 s6, s6, s26
	s_lshl_b64 s[6:7], s[6:7], 4
	s_add_u32 s14, s4, s6
	s_addc_u32 s15, s5, s7
	s_load_dwordx4 s[4:7], s[14:15], 0x0
	s_mov_b64 s[14:15], 0
	s_waitcnt lgkmcnt(0)
	v_cmp_eq_f64_e64 s[4:5], s[4:5], 1.0
	v_cmp_eq_f64_e64 s[6:7], s[6:7], 0
	s_and_b64 s[4:5], s[4:5], s[6:7]
	s_andn2_b64 vcc, exec, s[4:5]
.LBB48_3:
	s_andn2_b64 vcc, exec, s[14:15]
	s_cbranch_vccnz .LBB48_201
; %bb.4:
	s_load_dword s3, s[12:13], 0x0
	s_load_dwordx4 s[4:7], s[0:1], 0x38
	s_load_dwordx2 s[16:17], s[0:1], 0x48
	s_lshl_b64 s[12:13], s[26:27], 3
	s_add_u32 s8, s8, s12
	s_addc_u32 s9, s9, s13
	s_waitcnt lgkmcnt(0)
	s_add_u32 s12, s4, s12
	s_addc_u32 s13, s5, s13
	s_load_dwordx2 s[14:15], s[12:13], 0x0
	s_load_dwordx2 s[22:23], s[0:1], 0x28
	s_load_dword s33, s[0:1], 0x0
	s_load_dwordx2 s[4:5], s[8:9], 0x0
	s_lshl_b64 s[0:1], s[6:7], 4
	s_waitcnt lgkmcnt(0)
	s_add_u32 s0, s14, s0
	s_addc_u32 s1, s15, s1
	s_ashr_i32 s36, s33, 31
	s_lshr_b32 s7, s36, 26
	v_and_b32_e32 v202, 0x3ff, v0
	s_lshl_b32 s24, s2, 6
	s_add_i32 s7, s33, s7
	s_andn2_b32 s7, s7, 63
	v_add_u32_e32 v164, s24, v202
	s_add_i32 s6, s3, -1
	s_sub_i32 s27, s33, s7
	v_ashrrev_i32_e32 v165, 31, v164
	v_bfe_u32 v203, v0, 10, 10
	s_cmp_eq_u32 s2, s6
	v_mul_lo_u32 v2, s16, v165
	v_mul_lo_u32 v3, s17, v164
	v_mad_u64_u32 v[0:1], s[6:7], s16, v164, 0
	v_add3_u32 v1, v1, v2, v3
	s_cselect_b32 s18, s27, 0
	v_lshl_add_u64 v[36:37], v[0:1], 4, s[0:1]
	v_cmp_eq_u32_e64 s[0:1], 0, v203
	s_and_saveexec_b64 s[6:7], s[0:1]
	s_cbranch_execz .LBB48_9
; %bb.5:
	s_cmp_lg_u32 s18, 0
	s_cselect_b64 s[8:9], -1, 0
	v_cmp_le_i32_e32 vcc, s18, v202
	v_mov_b32_e32 v0, 0x4700
	s_and_b64 s[8:9], s[8:9], vcc
	v_lshl_add_u32 v0, v202, 4, v0
	s_and_saveexec_b64 s[12:13], s[8:9]
	s_xor_b64 s[8:9], exec, s[12:13]
; %bb.6:
	v_mov_b32_e32 v2, 0
	v_mov_b32_e32 v3, v2
	;; [unrolled: 1-line block ×4, first 2 shown]
	ds_write_b128 v0, v[2:5]
                                        ; implicit-def: $vgpr0
; %bb.7:
	s_andn2_saveexec_b64 s[8:9], s[8:9]
	s_cbranch_execz .LBB48_9
; %bb.8:
	flat_load_dwordx4 v[2:5], v[36:37]
	s_waitcnt vmcnt(0) lgkmcnt(0)
	ds_write2_b64 v0, v[2:3], v[4:5] offset1:1
.LBB48_9:
	s_or_b64 exec, exec, s[6:7]
	s_lshl_b64 s[6:7], s[10:11], 4
	s_add_u32 s6, s4, s6
	s_addc_u32 s7, s5, s7
	s_ashr_i32 s25, s24, 31
	v_lshl_add_u32 v42, v203, 6, v202
	s_lshl_b64 s[4:5], s[24:25], 4
	v_and_b32_e32 v10, 31, v202
	v_lshrrev_b32_e32 v14, 5, v42
	s_add_u32 s4, s6, s4
	v_mov_b32_e32 v11, 0
	s_addc_u32 s5, s7, s5
	v_mad_u64_u32 v[38:39], s[6:7], s22, v14, v[10:11]
	v_mov_b32_e32 v0, v39
	v_mad_u64_u32 v[0:1], s[6:7], s23, v14, v[0:1]
	v_mov_b32_e32 v39, v0
	v_lshl_add_u64 v[0:1], v[38:39], 4, s[4:5]
	s_mul_hi_u32 s4, s22, s24
	s_mul_i32 s5, s22, s25
	s_add_i32 s4, s4, s5
	s_mul_i32 s5, s23, s24
	s_add_i32 s5, s4, s5
	s_cmp_eq_u32 s18, 0
	s_cselect_b64 s[20:21], -1, 0
	s_cmp_lg_u32 s18, 0
	s_mul_i32 s4, s22, s24
	s_cselect_b64 s[30:31], -1, 0
	v_lshl_add_u64 v[0:1], s[4:5], 4, v[0:1]
	s_and_b64 vcc, exec, s[30:31]
	v_cmp_gt_i32_e64 s[4:5], s18, v10
	v_lshlrev_b32_e32 v8, 4, v10
	v_lshlrev_b32_e32 v11, 4, v10
	s_cbranch_vccz .LBB48_27
; %bb.10:
	v_sub_co_u32_e32 v2, vcc, v0, v8
	s_ashr_i32 s19, s18, 31
	s_nop 0
	v_subbrev_co_u32_e32 v3, vcc, 0, v1, vcc
	v_lshl_add_u64 v[2:3], s[18:19], 4, v[2:3]
	v_lshl_add_u64 v[2:3], v[2:3], 0, -16
	s_movk_i32 s6, 0x210
	v_cndmask_b32_e64 v3, v3, v1, s[4:5]
	v_cndmask_b32_e64 v2, v2, v0, s[4:5]
	v_cmp_le_i32_e32 vcc, s18, v14
	v_mad_u32_u24 v5, v14, s6, v11
	s_and_saveexec_b64 s[6:7], vcc
	s_xor_b64 s[6:7], exec, s[6:7]
; %bb.11:
	v_mov_b32_e32 v16, 0
	v_mov_b32_e32 v17, v16
	;; [unrolled: 1-line block ×4, first 2 shown]
	ds_write_b128 v5, v[16:19]
                                        ; implicit-def: $vgpr5
; %bb.12:
	s_or_saveexec_b64 s[6:7], s[6:7]
	v_mul_u32_u24_e32 v4, 0x210, v14
	s_xor_b64 exec, exec, s[6:7]
	s_cbranch_execz .LBB48_14
; %bb.13:
	flat_load_dwordx4 v[16:19], v[2:3]
	s_waitcnt vmcnt(0) lgkmcnt(0)
	ds_write2_b64 v5, v[16:17], v[18:19] offset1:1
.LBB48_14:
	s_or_b64 exec, exec, s[6:7]
	v_add_u32_e32 v5, 8, v14
	v_cmp_le_i32_e32 vcc, s18, v5
	v_add_u32_e32 v5, v4, v11
	s_and_saveexec_b64 s[6:7], vcc
	s_xor_b64 s[6:7], exec, s[6:7]
; %bb.15:
	v_mov_b32_e32 v16, 0
	v_mov_b32_e32 v17, v16
	;; [unrolled: 1-line block ×4, first 2 shown]
	ds_write_b128 v5, v[16:19] offset:4224
; %bb.16:
	s_andn2_saveexec_b64 s[6:7], s[6:7]
	s_cbranch_execz .LBB48_18
; %bb.17:
	s_lshl_b64 s[8:9], s[22:23], 7
	v_lshl_add_u64 v[6:7], v[2:3], 0, s[8:9]
	flat_load_dwordx4 v[16:19], v[6:7]
	s_movk_i32 s8, 0x1080
	v_add3_u32 v6, v4, v11, s8
	s_waitcnt vmcnt(0) lgkmcnt(0)
	ds_write2_b64 v6, v[16:17], v[18:19] offset1:1
.LBB48_18:
	s_or_b64 exec, exec, s[6:7]
	v_add_u32_e32 v6, 16, v14
	v_cmp_le_i32_e32 vcc, s18, v6
	s_and_saveexec_b64 s[6:7], vcc
	s_xor_b64 s[6:7], exec, s[6:7]
; %bb.19:
	v_mov_b32_e32 v16, 0
	v_mov_b32_e32 v17, v16
	;; [unrolled: 1-line block ×4, first 2 shown]
	ds_write_b128 v5, v[16:19] offset:8448
; %bb.20:
	s_andn2_saveexec_b64 s[6:7], s[6:7]
	s_cbranch_execz .LBB48_22
; %bb.21:
	s_lshl_b64 s[8:9], s[22:23], 8
	v_lshl_add_u64 v[6:7], v[2:3], 0, s[8:9]
	flat_load_dwordx4 v[16:19], v[6:7]
	s_movk_i32 s8, 0x2100
	v_add3_u32 v6, v4, v11, s8
	s_waitcnt vmcnt(0) lgkmcnt(0)
	ds_write2_b64 v6, v[16:17], v[18:19] offset1:1
.LBB48_22:
	s_or_b64 exec, exec, s[6:7]
	v_add_u32_e32 v6, 24, v14
	v_cmp_le_i32_e32 vcc, s18, v6
	s_and_saveexec_b64 s[6:7], vcc
	s_xor_b64 s[6:7], exec, s[6:7]
; %bb.23:
	v_mov_b32_e32 v16, 0
	v_mov_b32_e32 v17, v16
	;; [unrolled: 1-line block ×4, first 2 shown]
	ds_write_b128 v5, v[16:19] offset:12672
                                        ; implicit-def: $vgpr4
; %bb.24:
	s_andn2_saveexec_b64 s[6:7], s[6:7]
	s_cbranch_execz .LBB48_26
; %bb.25:
	v_mov_b32_e32 v5, 0x180
	v_mad_u64_u32 v[6:7], s[8:9], s22, v5, v[2:3]
	s_mul_i32 s8, s23, 0x180
	s_nop 0
	v_add_u32_e32 v7, s8, v7
	flat_load_dwordx4 v[16:19], v[6:7]
	s_movk_i32 s8, 0x3180
	v_add3_u32 v4, v4, v11, s8
	s_waitcnt vmcnt(0) lgkmcnt(0)
	ds_write2_b64 v4, v[16:17], v[18:19] offset1:1
.LBB48_26:
	s_or_b64 exec, exec, s[6:7]
	v_mov_b32_e32 v9, 0
	v_lshl_add_u64 v[2:3], v[2:3], 0, v[8:9]
	s_lshl_b64 s[6:7], s[18:19], 4
	v_mov_b32_e32 v4, s7
	v_subrev_co_u32_e32 v2, vcc, s6, v2
	s_nop 1
	v_subb_co_u32_e32 v3, vcc, v3, v4, vcc
	v_lshl_add_u64 v[2:3], v[2:3], 0, 16
	v_cndmask_b32_e64 v5, v3, v1, s[4:5]
	v_cndmask_b32_e64 v4, v2, v0, s[4:5]
	s_branch .LBB48_29
.LBB48_27:
                                        ; implicit-def: $vgpr4_vgpr5
	s_cbranch_execz .LBB48_29
; %bb.28:
	flat_load_dwordx4 v[2:5], v[0:1]
	v_mul_u32_u24_e32 v6, 0x210, v14
	s_lshl_b64 s[4:5], s[22:23], 7
	v_lshl_add_u32 v9, v10, 4, v6
	v_lshl_add_u64 v[6:7], v[0:1], 0, s[4:5]
	v_add_u32_e32 v12, 0x1080, v9
	s_waitcnt vmcnt(0) lgkmcnt(0)
	ds_write2_b64 v9, v[2:3], v[4:5] offset1:1
	flat_load_dwordx4 v[2:5], v[6:7]
	v_lshl_add_u64 v[6:7], v[6:7], 0, s[4:5]
	s_waitcnt vmcnt(0) lgkmcnt(0)
	ds_write2_b64 v12, v[2:3], v[4:5] offset1:1
	flat_load_dwordx4 v[2:5], v[6:7]
	v_add_u32_e32 v12, 0x2100, v9
	v_lshl_add_u64 v[6:7], v[6:7], 0, s[4:5]
	s_waitcnt vmcnt(0) lgkmcnt(0)
	ds_write2_b64 v12, v[2:3], v[4:5] offset1:1
	flat_load_dwordx4 v[2:5], v[6:7]
	v_add_u32_e32 v6, 0x3180, v9
	s_waitcnt vmcnt(0) lgkmcnt(0)
	ds_write2_b64 v6, v[2:3], v[4:5] offset1:1
	v_mov_b64_e32 v[4:5], v[0:1]
.LBB48_29:
	v_lshlrev_b32_e32 v17, 2, v14
	v_mul_u32_u24_e32 v15, 0x210, v10
	v_cmp_le_u32_e64 s[4:5], v17, v10
	s_mov_b64 s[6:7], 0
	s_waitcnt lgkmcnt(0)
	s_barrier
                                        ; implicit-def: $vgpr0
	s_and_saveexec_b64 s[8:9], s[4:5]
	s_xor_b64 s[8:9], exec, s[8:9]
	s_cbranch_execz .LBB48_33
; %bb.30:
	v_cmp_eq_u32_e32 vcc, v17, v10
                                        ; implicit-def: $vgpr0
	s_and_saveexec_b64 s[10:11], vcc
	s_xor_b64 s[10:11], exec, s[10:11]
; %bb.31:
	s_mov_b64 s[6:7], exec
	v_add_u32_e32 v0, v11, v15
; %bb.32:
	s_or_b64 exec, exec, s[10:11]
	s_and_b64 s[6:7], s[6:7], exec
.LBB48_33:
	s_or_saveexec_b64 s[8:9], s[8:9]
	v_lshl_or_b32 v1, v10, 9, v11
	v_mov_b64_e32 v[2:3], 0
	v_lshl_add_u32 v6, v17, 4, v1
	s_xor_b64 exec, exec, s[8:9]
	s_cbranch_execz .LBB48_35
; %bb.34:
	s_movk_i32 s10, 0x840
	v_mad_u32_u24 v0, v14, s10, v11
	ds_read_b128 v[0:3], v0
	s_or_b64 s[6:7], s[6:7], exec
	s_waitcnt lgkmcnt(0)
	v_xor_b32_e32 v3, 0x80000000, v3
	ds_write_b64 v6, v[0:1]
	v_mov_b32_e32 v0, v6
.LBB48_35:
	s_or_b64 exec, exec, s[8:9]
	s_and_saveexec_b64 s[8:9], s[6:7]
; %bb.36:
	ds_write_b64 v0, v[2:3] offset:8
; %bb.37:
	s_or_b64 exec, exec, s[8:9]
	v_or_b32_e32 v18, 1, v17
	v_cmp_ge_u32_e64 s[6:7], v17, v10
	s_mov_b64 s[8:9], 0
                                        ; implicit-def: $vgpr2_vgpr3
                                        ; implicit-def: $vgpr7
	s_and_saveexec_b64 s[10:11], s[6:7]
	s_xor_b64 s[10:11], exec, s[10:11]
	s_cbranch_execz .LBB48_73
; %bb.38:
	s_movk_i32 s12, 0x210
	v_mad_u32_u24 v0, v18, s12, v11
	ds_read_b128 v[0:3], v0
	s_mov_b64 s[8:9], exec
	v_add_u32_e32 v7, 16, v6
	s_waitcnt lgkmcnt(0)
	v_xor_b32_e32 v3, 0x80000000, v3
	ds_write_b64 v6, v[0:1] offset:16
	s_andn2_saveexec_b64 s[10:11], s[10:11]
	s_cbranch_execnz .LBB48_74
.LBB48_39:
	s_or_b64 exec, exec, s[10:11]
	s_and_saveexec_b64 s[10:11], s[8:9]
.LBB48_40:
	ds_write_b64 v7, v[2:3] offset:8
.LBB48_41:
	s_or_b64 exec, exec, s[10:11]
	v_or_b32_e32 v19, 2, v17
	v_cmp_le_u32_e64 s[8:9], v19, v10
	s_mov_b64 s[10:11], 0
                                        ; implicit-def: $vgpr7
	s_and_saveexec_b64 s[12:13], s[8:9]
	s_xor_b64 s[12:13], exec, s[12:13]
	s_cbranch_execz .LBB48_77
; %bb.42:
	v_cmp_eq_u32_e32 vcc, v19, v10
                                        ; implicit-def: $vgpr7
	s_and_saveexec_b64 s[14:15], vcc
; %bb.43:
	s_mov_b64 s[10:11], exec
	v_add_u32_e32 v7, v11, v15
; %bb.44:
	s_or_b64 exec, exec, s[14:15]
	s_and_b64 s[10:11], s[10:11], exec
	s_or_saveexec_b64 s[12:13], s[12:13]
	v_mov_b64_e32 v[2:3], 0
	s_xor_b64 exec, exec, s[12:13]
	s_cbranch_execnz .LBB48_78
.LBB48_45:
	s_or_b64 exec, exec, s[12:13]
	s_and_saveexec_b64 s[12:13], s[10:11]
.LBB48_46:
	ds_write_b64 v7, v[2:3] offset:8
.LBB48_47:
	s_or_b64 exec, exec, s[12:13]
	v_or_b32_e32 v20, 3, v17
	v_cmp_le_u32_e64 s[10:11], v20, v10
	s_mov_b64 s[12:13], 0
                                        ; implicit-def: $vgpr7
	s_and_saveexec_b64 s[14:15], s[10:11]
	s_xor_b64 s[14:15], exec, s[14:15]
	s_cbranch_execz .LBB48_79
; %bb.48:
	v_cmp_eq_u32_e32 vcc, v20, v10
                                        ; implicit-def: $vgpr7
	s_and_saveexec_b64 s[34:35], vcc
; %bb.49:
	s_mov_b64 s[12:13], exec
	v_add_u32_e32 v7, v11, v15
; %bb.50:
	s_or_b64 exec, exec, s[34:35]
	s_and_b64 s[12:13], s[12:13], exec
                                        ; implicit-def: $vgpr6
	s_or_saveexec_b64 s[14:15], s[14:15]
	v_mov_b64_e32 v[2:3], 0
	s_xor_b64 exec, exec, s[14:15]
	s_cbranch_execnz .LBB48_80
.LBB48_51:
	s_or_b64 exec, exec, s[14:15]
	s_and_saveexec_b64 s[14:15], s[12:13]
.LBB48_52:
	ds_write_b64 v7, v[2:3] offset:8
.LBB48_53:
	s_or_b64 exec, exec, s[14:15]
	s_movk_i32 s12, 0x840
	v_lshlrev_b32_e32 v21, 4, v17
	s_waitcnt lgkmcnt(0)
	s_barrier
	v_mad_u32_u24 v6, v14, s12, v11
	ds_read_b128 v[0:3], v21 offset:18176
	ds_read_b128 v[22:25], v6
	ds_read_b128 v[26:29], v21 offset:18192
	ds_read_b128 v[30:33], v21 offset:18208
	s_movk_i32 s19, 0x210
	v_mad_u32_u24 v9, v18, s19, v11
	s_waitcnt lgkmcnt(2)
	v_mul_f64 v[6:7], v[2:3], v[24:25]
	v_mul_f64 v[12:13], v[0:1], v[24:25]
	v_fma_f64 v[6:7], v[0:1], v[22:23], -v[6:7]
	v_fmac_f64_e32 v[12:13], v[2:3], v[22:23]
	ds_read_b128 v[22:25], v21 offset:18224
	ds_read_b128 v[44:47], v9
	v_add_f64 v[2:3], v[6:7], 0
	v_add_f64 v[6:7], v[12:13], 0
	v_mov_b64_e32 v[0:1], 0
	v_cmp_gt_u32_e64 s[12:13], 32, v42
	s_waitcnt lgkmcnt(0)
	v_mul_f64 v[12:13], v[28:29], v[46:47]
	v_fma_f64 v[12:13], v[26:27], v[44:45], -v[12:13]
	v_mul_f64 v[26:27], v[26:27], v[46:47]
	ds_read_b128 v[46:49], v9 offset:528
	v_fmac_f64_e32 v[26:27], v[28:29], v[44:45]
	v_add_f64 v[6:7], v[6:7], v[26:27]
	ds_read_b128 v[26:29], v9 offset:1056
	v_add_f64 v[2:3], v[2:3], v[12:13]
	s_waitcnt lgkmcnt(1)
	v_mul_f64 v[12:13], v[32:33], v[48:49]
	v_fma_f64 v[12:13], v[30:31], v[46:47], -v[12:13]
	v_add_f64 v[2:3], v[2:3], v[12:13]
	s_waitcnt lgkmcnt(0)
	v_mul_f64 v[12:13], v[24:25], v[28:29]
	v_mul_f64 v[30:31], v[30:31], v[48:49]
	v_fma_f64 v[12:13], v[22:23], v[26:27], -v[12:13]
	v_fmac_f64_e32 v[30:31], v[32:33], v[46:47]
	v_mul_f64 v[28:29], v[22:23], v[28:29]
	v_add_f64 v[22:23], v[2:3], v[12:13]
	v_mul_u32_u24_e32 v2, 33, v10
	v_add_f64 v[6:7], v[6:7], v[30:31]
	v_fmac_f64_e32 v[28:29], v[24:25], v[26:27]
	v_lshlrev_b32_e32 v43, 4, v2
	v_add_f64 v[24:25], v[6:7], v[28:29]
	v_lshl_add_u32 v44, v14, 4, v43
	v_mov_b64_e32 v[2:3], 0
	s_barrier
	ds_write_b128 v44, v[22:25]
	s_waitcnt lgkmcnt(0)
	s_barrier
	s_and_saveexec_b64 s[14:15], s[12:13]
	s_cbranch_execz .LBB48_55
; %bb.54:
	ds_read_b128 v[0:3], v43
	ds_read_b128 v[22:25], v43 offset:16
	ds_read_b128 v[26:29], v43 offset:32
	;; [unrolled: 1-line block ×3, first 2 shown]
	s_waitcnt lgkmcnt(2)
	v_add_f64 v[0:1], v[22:23], v[0:1]
	v_add_f64 v[6:7], v[24:25], v[2:3]
	s_waitcnt lgkmcnt(1)
	v_add_f64 v[12:13], v[0:1], v[26:27]
	ds_read_b128 v[0:3], v43 offset:64
	ds_read_b128 v[22:25], v43 offset:80
	v_add_f64 v[6:7], v[6:7], v[28:29]
	s_waitcnt lgkmcnt(2)
	v_add_f64 v[12:13], v[12:13], v[30:31]
	v_add_f64 v[6:7], v[6:7], v[32:33]
	ds_read_b128 v[26:29], v43 offset:96
	s_waitcnt lgkmcnt(2)
	v_add_f64 v[12:13], v[12:13], v[0:1]
	v_add_f64 v[6:7], v[6:7], v[2:3]
	ds_read_b128 v[0:3], v43 offset:112
	s_waitcnt lgkmcnt(2)
	v_add_f64 v[12:13], v[12:13], v[22:23]
	v_add_f64 v[6:7], v[6:7], v[24:25]
	s_waitcnt lgkmcnt(1)
	v_add_f64 v[12:13], v[12:13], v[26:27]
	v_add_f64 v[6:7], v[6:7], v[28:29]
	;; [unrolled: 3-line block ×3, first 2 shown]
.LBB48_55:
	s_or_b64 exec, exec, s[14:15]
	s_lshl_b64 s[14:15], s[22:23], 9
	v_lshl_add_u64 v[6:7], v[4:5], 0, s[14:15]
	s_mov_b64 s[14:15], 0x200
	v_lshl_add_u64 v[4:5], v[6:7], 0, s[14:15]
	v_mad_u32_u24 v16, v14, s19, v11
	s_and_b64 vcc, exec, s[30:31]
	s_barrier
	s_cbranch_vccz .LBB48_81
; %bb.56:
	v_sub_co_u32_e32 v12, vcc, v6, v8
	s_ashr_i32 s19, s18, 31
	s_nop 0
	v_subbrev_co_u32_e32 v13, vcc, 0, v7, vcc
	v_or_b32_e32 v9, 32, v10
	v_lshl_add_u64 v[12:13], s[18:19], 4, v[12:13]
	v_lshl_add_u64 v[12:13], v[12:13], 0, -16
	v_cmp_gt_i32_e32 vcc, s18, v9
	s_sub_i32 s34, s18, 32
	v_cmp_le_i32_e64 s[14:15], s34, v14
	v_cndmask_b32_e32 v13, v13, v5, vcc
	v_cndmask_b32_e32 v12, v12, v4, vcc
	s_and_saveexec_b64 s[38:39], s[14:15]
	s_xor_b64 s[14:15], exec, s[38:39]
; %bb.57:
	v_mov_b32_e32 v22, 0
	v_mov_b32_e32 v23, v22
	;; [unrolled: 1-line block ×4, first 2 shown]
	ds_write_b128 v16, v[22:25]
; %bb.58:
	s_andn2_saveexec_b64 s[14:15], s[14:15]
	s_cbranch_execz .LBB48_60
; %bb.59:
	flat_load_dwordx4 v[22:25], v[12:13]
	s_waitcnt vmcnt(0) lgkmcnt(0)
	ds_write2_b64 v16, v[22:23], v[24:25] offset1:1
.LBB48_60:
	s_or_b64 exec, exec, s[14:15]
	v_add_u32_e32 v9, 8, v14
	v_cmp_le_i32_e64 s[14:15], s34, v9
	s_and_saveexec_b64 s[38:39], s[14:15]
	s_xor_b64 s[14:15], exec, s[38:39]
	s_cbranch_execz .LBB48_62
; %bb.61:
	s_movk_i32 s35, 0x210
	v_mov_b32_e32 v22, 0
	v_mad_u32_u24 v9, v9, s35, v11
	v_mov_b32_e32 v23, v22
	v_mov_b32_e32 v24, v22
	v_mov_b32_e32 v25, v22
	ds_write_b128 v9, v[22:25]
                                        ; implicit-def: $vgpr9
.LBB48_62:
	s_andn2_saveexec_b64 s[14:15], s[14:15]
	s_cbranch_execz .LBB48_64
; %bb.63:
	s_lshl_b64 s[38:39], s[22:23], 7
	v_lshl_add_u64 v[22:23], v[12:13], 0, s[38:39]
	flat_load_dwordx4 v[22:25], v[22:23]
	s_movk_i32 s35, 0x210
	v_mad_u32_u24 v9, v9, s35, v11
	s_waitcnt vmcnt(0) lgkmcnt(0)
	ds_write2_b64 v9, v[22:23], v[24:25] offset1:1
.LBB48_64:
	s_or_b64 exec, exec, s[14:15]
	v_add_u32_e32 v9, 16, v14
	v_cmp_le_i32_e64 s[14:15], s34, v9
	s_and_saveexec_b64 s[38:39], s[14:15]
	s_xor_b64 s[14:15], exec, s[38:39]
	s_cbranch_execz .LBB48_66
; %bb.65:
	s_movk_i32 s35, 0x210
	v_mov_b32_e32 v22, 0
	v_mad_u32_u24 v9, v9, s35, v11
	v_mov_b32_e32 v23, v22
	v_mov_b32_e32 v24, v22
	;; [unrolled: 1-line block ×3, first 2 shown]
	ds_write_b128 v9, v[22:25]
                                        ; implicit-def: $vgpr9
.LBB48_66:
	s_andn2_saveexec_b64 s[14:15], s[14:15]
	s_cbranch_execz .LBB48_68
; %bb.67:
	s_lshl_b64 s[38:39], s[22:23], 8
	v_lshl_add_u64 v[22:23], v[12:13], 0, s[38:39]
	flat_load_dwordx4 v[22:25], v[22:23]
	s_movk_i32 s35, 0x210
	v_mad_u32_u24 v9, v9, s35, v11
	s_waitcnt vmcnt(0) lgkmcnt(0)
	ds_write2_b64 v9, v[22:23], v[24:25] offset1:1
.LBB48_68:
	s_or_b64 exec, exec, s[14:15]
	v_add_u32_e32 v9, 24, v14
	v_cmp_le_i32_e64 s[14:15], s34, v9
	s_and_saveexec_b64 s[34:35], s[14:15]
	s_xor_b64 s[14:15], exec, s[34:35]
	s_cbranch_execz .LBB48_70
; %bb.69:
	s_movk_i32 s34, 0x210
	v_mov_b32_e32 v22, 0
	v_mad_u32_u24 v9, v9, s34, v11
	v_mov_b32_e32 v23, v22
	v_mov_b32_e32 v24, v22
	;; [unrolled: 1-line block ×3, first 2 shown]
	ds_write_b128 v9, v[22:25]
                                        ; implicit-def: $vgpr9
.LBB48_70:
	s_andn2_saveexec_b64 s[14:15], s[14:15]
	s_cbranch_execz .LBB48_72
; %bb.71:
	v_mov_b32_e32 v22, 0x180
	v_mad_u64_u32 v[22:23], s[34:35], s22, v22, v[12:13]
	s_mul_i32 s34, s23, 0x180
	s_nop 0
	v_add_u32_e32 v23, s34, v23
	flat_load_dwordx4 v[22:25], v[22:23]
	s_movk_i32 s34, 0x210
	v_mad_u32_u24 v9, v9, s34, v11
	s_waitcnt vmcnt(0) lgkmcnt(0)
	ds_write2_b64 v9, v[22:23], v[24:25] offset1:1
.LBB48_72:
	s_or_b64 exec, exec, s[14:15]
	v_mov_b32_e32 v9, 0
	v_lshl_add_u64 v[12:13], v[12:13], 0, v[8:9]
	s_lshl_b64 s[14:15], s[18:19], 4
	v_mov_b32_e32 v9, s15
	v_subrev_co_u32_e64 v12, s[14:15], s14, v12
	s_nop 1
	v_subb_co_u32_e64 v13, s[14:15], v13, v9, s[14:15]
	s_mov_b64 s[14:15], 0x210
	s_nop 0
	v_lshl_add_u64 v[12:13], v[12:13], 0, s[14:15]
	v_cndmask_b32_e32 v13, v13, v5, vcc
	v_cndmask_b32_e32 v12, v12, v4, vcc
	s_branch .LBB48_83
.LBB48_73:
	s_andn2_saveexec_b64 s[10:11], s[10:11]
	s_cbranch_execz .LBB48_39
.LBB48_74:
	v_cmp_eq_u32_e32 vcc, v18, v10
	s_mov_b64 s[12:13], s[8:9]
                                        ; implicit-def: $vgpr7
	s_and_saveexec_b64 s[14:15], vcc
; %bb.75:
	v_add_u32_e32 v7, v11, v15
	s_or_b64 s[12:13], s[8:9], exec
; %bb.76:
	s_or_b64 exec, exec, s[14:15]
	s_andn2_b64 s[8:9], s[8:9], exec
	s_and_b64 s[12:13], s[12:13], exec
	v_mov_b64_e32 v[2:3], 0
	s_or_b64 s[8:9], s[8:9], s[12:13]
	s_or_b64 exec, exec, s[10:11]
	s_and_saveexec_b64 s[10:11], s[8:9]
	s_cbranch_execnz .LBB48_40
	s_branch .LBB48_41
.LBB48_77:
	s_or_saveexec_b64 s[12:13], s[12:13]
	v_mov_b64_e32 v[2:3], 0
	s_xor_b64 exec, exec, s[12:13]
	s_cbranch_execz .LBB48_45
.LBB48_78:
	s_movk_i32 s14, 0x210
	v_mad_u32_u24 v0, v19, s14, v11
	ds_read_b128 v[0:3], v0
	v_add_u32_e32 v7, 32, v6
	s_or_b64 s[10:11], s[10:11], exec
	s_waitcnt lgkmcnt(0)
	v_xor_b32_e32 v3, 0x80000000, v3
	ds_write_b64 v6, v[0:1] offset:32
	s_or_b64 exec, exec, s[12:13]
	s_and_saveexec_b64 s[12:13], s[10:11]
	s_cbranch_execnz .LBB48_46
	s_branch .LBB48_47
.LBB48_79:
	s_or_saveexec_b64 s[14:15], s[14:15]
	v_mov_b64_e32 v[2:3], 0
	s_xor_b64 exec, exec, s[14:15]
	s_cbranch_execz .LBB48_51
.LBB48_80:
	s_movk_i32 s19, 0x210
	v_mad_u32_u24 v0, v20, s19, v11
	ds_read_b128 v[0:3], v0
	v_add_u32_e32 v7, 48, v6
	s_or_b64 s[12:13], s[12:13], exec
	s_waitcnt lgkmcnt(0)
	v_xor_b32_e32 v3, 0x80000000, v3
	ds_write_b64 v6, v[0:1] offset:48
	s_or_b64 exec, exec, s[14:15]
	s_and_saveexec_b64 s[14:15], s[12:13]
	s_cbranch_execnz .LBB48_52
	s_branch .LBB48_53
.LBB48_81:
                                        ; implicit-def: $vgpr12_vgpr13
	s_cbranch_execz .LBB48_83
; %bb.82:
	flat_load_dwordx4 v[22:25], v[4:5]
	s_lshl_b64 s[14:15], s[22:23], 7
	v_lshl_add_u64 v[6:7], v[6:7], 0, s[14:15]
	v_add_u32_e32 v9, 0x1080, v16
	v_mov_b64_e32 v[12:13], v[4:5]
	s_waitcnt vmcnt(0) lgkmcnt(0)
	ds_write2_b64 v16, v[22:23], v[24:25] offset1:1
	flat_load_dwordx4 v[22:25], v[6:7] offset:512
	v_lshl_add_u64 v[6:7], v[6:7], 0, s[14:15]
	s_waitcnt vmcnt(0) lgkmcnt(0)
	ds_write2_b64 v9, v[22:23], v[24:25] offset1:1
	flat_load_dwordx4 v[22:25], v[6:7] offset:512
	v_add_u32_e32 v9, 0x2100, v16
	v_lshl_add_u64 v[6:7], v[6:7], 0, s[14:15]
	s_waitcnt vmcnt(0) lgkmcnt(0)
	ds_write2_b64 v9, v[22:23], v[24:25] offset1:1
	flat_load_dwordx4 v[22:25], v[6:7] offset:512
	v_add_u32_e32 v6, 0x3180, v16
	s_waitcnt vmcnt(0) lgkmcnt(0)
	ds_write2_b64 v6, v[22:23], v[24:25] offset1:1
.LBB48_83:
	v_mul_u32_u24_e32 v5, 0x840, v14
	s_mov_b64 s[14:15], 0
	s_waitcnt lgkmcnt(0)
	s_barrier
                                        ; implicit-def: $vgpr4
	s_and_saveexec_b64 s[34:35], s[4:5]
	s_xor_b64 s[4:5], exec, s[34:35]
	s_cbranch_execz .LBB48_87
; %bb.84:
	v_cmp_eq_u32_e32 vcc, v17, v10
                                        ; implicit-def: $vgpr4
	s_and_saveexec_b64 s[34:35], vcc
	s_xor_b64 s[34:35], exec, s[34:35]
; %bb.85:
	s_mov_b64 s[14:15], exec
	v_add_u32_e32 v4, v11, v15
; %bb.86:
	s_or_b64 exec, exec, s[34:35]
	s_and_b64 s[14:15], s[14:15], exec
.LBB48_87:
	s_or_saveexec_b64 s[4:5], s[4:5]
	v_mov_b64_e32 v[6:7], 0
	v_add_u32_e32 v32, v11, v5
	v_lshl_add_u32 v9, v17, 4, v43
	s_xor_b64 exec, exec, s[4:5]
	s_cbranch_execz .LBB48_89
; %bb.88:
	ds_read_b128 v[4:7], v32
	s_or_b64 s[14:15], s[14:15], exec
	s_waitcnt lgkmcnt(0)
	v_xor_b32_e32 v7, 0x80000000, v7
	ds_write_b64 v9, v[4:5]
	v_mov_b32_e32 v4, v9
.LBB48_89:
	s_or_b64 exec, exec, s[4:5]
	v_mul_u32_u24_e32 v5, 0x210, v18
	s_and_saveexec_b64 s[4:5], s[14:15]
; %bb.90:
	ds_write_b64 v4, v[6:7] offset:8
; %bb.91:
	s_or_b64 exec, exec, s[4:5]
	s_mov_b64 s[4:5], 0
	v_add_u32_e32 v45, v11, v5
                                        ; implicit-def: $vgpr6_vgpr7
                                        ; implicit-def: $vgpr17
	s_and_saveexec_b64 s[14:15], s[6:7]
	s_xor_b64 s[6:7], exec, s[14:15]
	s_cbranch_execz .LBB48_127
; %bb.92:
	ds_read_b128 v[4:7], v45
	s_mov_b64 s[4:5], exec
	v_add_u32_e32 v17, 16, v9
                                        ; implicit-def: $vgpr18
	s_waitcnt lgkmcnt(0)
	v_xor_b32_e32 v7, 0x80000000, v7
	ds_write_b64 v9, v[4:5] offset:16
	s_andn2_saveexec_b64 s[6:7], s[6:7]
	s_cbranch_execnz .LBB48_128
.LBB48_93:
	s_or_b64 exec, exec, s[6:7]
	s_and_saveexec_b64 s[6:7], s[4:5]
.LBB48_94:
	ds_write_b64 v17, v[6:7] offset:8
.LBB48_95:
	s_or_b64 exec, exec, s[6:7]
	s_mov_b64 s[4:5], 0
                                        ; implicit-def: $vgpr17
	s_and_saveexec_b64 s[6:7], s[8:9]
	s_xor_b64 s[6:7], exec, s[6:7]
	s_cbranch_execz .LBB48_131
; %bb.96:
	v_cmp_eq_u32_e32 vcc, v19, v10
                                        ; implicit-def: $vgpr17
	s_and_saveexec_b64 s[8:9], vcc
; %bb.97:
	s_mov_b64 s[4:5], exec
	v_add_u32_e32 v17, v11, v15
; %bb.98:
	s_or_b64 exec, exec, s[8:9]
	s_and_b64 s[4:5], s[4:5], exec
	s_or_saveexec_b64 s[6:7], s[6:7]
	v_mov_b64_e32 v[6:7], 0
	s_xor_b64 exec, exec, s[6:7]
	s_cbranch_execnz .LBB48_132
.LBB48_99:
	s_or_b64 exec, exec, s[6:7]
	s_and_saveexec_b64 s[6:7], s[4:5]
.LBB48_100:
	ds_write_b64 v17, v[6:7] offset:8
.LBB48_101:
	s_or_b64 exec, exec, s[6:7]
	s_mov_b64 s[4:5], 0
                                        ; implicit-def: $vgpr18
	s_and_saveexec_b64 s[6:7], s[10:11]
	s_xor_b64 s[6:7], exec, s[6:7]
	s_cbranch_execz .LBB48_133
; %bb.102:
	v_cmp_eq_u32_e32 vcc, v20, v10
                                        ; implicit-def: $vgpr18
	s_and_saveexec_b64 s[8:9], vcc
; %bb.103:
	s_mov_b64 s[4:5], exec
	v_add_u32_e32 v18, v11, v15
; %bb.104:
	s_or_b64 exec, exec, s[8:9]
	s_and_b64 s[4:5], s[4:5], exec
                                        ; implicit-def: $vgpr9
	s_or_saveexec_b64 s[6:7], s[6:7]
	v_mov_b64_e32 v[6:7], 0
	s_xor_b64 exec, exec, s[6:7]
	s_cbranch_execnz .LBB48_134
.LBB48_105:
	s_or_b64 exec, exec, s[6:7]
	v_add_u32_e32 v17, 0x4700, v21
	s_and_saveexec_b64 s[6:7], s[4:5]
.LBB48_106:
	ds_write_b64 v18, v[6:7] offset:8
.LBB48_107:
	s_or_b64 exec, exec, s[6:7]
	s_waitcnt lgkmcnt(0)
	s_barrier
	ds_read_b128 v[4:7], v32
	ds_read_b128 v[18:21], v17 offset:512
	ds_read_b128 v[22:25], v17 offset:528
	;; [unrolled: 1-line block ×5, first 2 shown]
	ds_read_b128 v[54:57], v45
	s_waitcnt lgkmcnt(5)
	v_mul_f64 v[30:31], v[20:21], v[6:7]
	v_mul_f64 v[6:7], v[18:19], v[6:7]
	v_fmac_f64_e32 v[6:7], v[20:21], v[4:5]
	v_fma_f64 v[30:31], v[18:19], v[4:5], -v[30:31]
	v_add_f64 v[20:21], v[6:7], 0
	ds_read_b128 v[4:7], v45 offset:528
	v_add_f64 v[18:19], v[30:31], 0
	s_waitcnt lgkmcnt(1)
	v_mul_f64 v[30:31], v[24:25], v[56:57]
	v_fma_f64 v[30:31], v[22:23], v[54:55], -v[30:31]
	v_mul_f64 v[22:23], v[22:23], v[56:57]
	v_fmac_f64_e32 v[22:23], v[24:25], v[54:55]
	v_add_f64 v[20:21], v[20:21], v[22:23]
	s_waitcnt lgkmcnt(0)
	v_mul_f64 v[22:23], v[28:29], v[6:7]
	v_mul_f64 v[6:7], v[26:27], v[6:7]
	v_add_f64 v[18:19], v[18:19], v[30:31]
	v_fma_f64 v[22:23], v[26:27], v[4:5], -v[22:23]
	v_fmac_f64_e32 v[6:7], v[28:29], v[4:5]
	v_add_f64 v[4:5], v[18:19], v[22:23]
	v_add_f64 v[6:7], v[20:21], v[6:7]
	v_mul_f64 v[18:19], v[48:49], v[52:53]
	v_mul_f64 v[20:21], v[46:47], v[52:53]
	v_fma_f64 v[18:19], v[46:47], v[50:51], -v[18:19]
	v_fmac_f64_e32 v[20:21], v[48:49], v[50:51]
	v_add_f64 v[4:5], v[4:5], v[18:19]
	v_add_f64 v[6:7], v[6:7], v[20:21]
	v_cmp_eq_u32_e64 s[4:5], 1, v14
	s_barrier
	ds_write_b128 v44, v[4:7]
	s_waitcnt lgkmcnt(0)
	s_barrier
	s_and_saveexec_b64 s[6:7], s[4:5]
	s_cbranch_execz .LBB48_109
; %bb.108:
	ds_read_b128 v[0:3], v43
	ds_read_b128 v[4:7], v43 offset:16
	ds_read_b128 v[18:21], v43 offset:32
	;; [unrolled: 1-line block ×3, first 2 shown]
	s_waitcnt lgkmcnt(2)
	v_add_f64 v[0:1], v[4:5], v[0:1]
	v_add_f64 v[4:5], v[6:7], v[2:3]
	s_waitcnt lgkmcnt(1)
	v_add_f64 v[6:7], v[0:1], v[18:19]
	ds_read_b128 v[0:3], v43 offset:64
	v_add_f64 v[4:5], v[4:5], v[20:21]
	s_waitcnt lgkmcnt(1)
	v_add_f64 v[18:19], v[6:7], v[22:23]
	v_add_f64 v[22:23], v[4:5], v[24:25]
	ds_read_b128 v[4:7], v43 offset:80
	s_waitcnt lgkmcnt(1)
	v_add_f64 v[24:25], v[18:19], v[0:1]
	ds_read_b128 v[18:21], v43 offset:96
	v_add_f64 v[22:23], v[22:23], v[2:3]
	ds_read_b128 v[0:3], v43 offset:112
	s_waitcnt lgkmcnt(2)
	v_add_f64 v[4:5], v[24:25], v[4:5]
	v_add_f64 v[6:7], v[22:23], v[6:7]
	s_waitcnt lgkmcnt(1)
	v_add_f64 v[4:5], v[4:5], v[18:19]
	v_add_f64 v[6:7], v[6:7], v[20:21]
	;; [unrolled: 3-line block ×3, first 2 shown]
.LBB48_109:
	s_or_b64 exec, exec, s[6:7]
	s_movk_i32 s6, 0xfe00
	s_mov_b32 s7, -1
	v_lshl_add_u64 v[4:5], v[12:13], 0, s[6:7]
	s_and_b64 vcc, exec, s[30:31]
	s_barrier
	s_cbranch_vccz .LBB48_135
; %bb.110:
	v_sub_co_u32_e32 v6, vcc, v4, v8
	s_ashr_i32 s19, s18, 31
	s_nop 0
	v_subbrev_co_u32_e32 v7, vcc, 0, v5, vcc
	v_lshl_add_u64 v[6:7], s[18:19], 4, v[6:7]
	v_lshl_add_u64 v[6:7], v[6:7], 0, -16
	v_cmp_gt_i32_e32 vcc, s18, v10
	s_sub_i32 s8, s18, 32
	v_cmp_le_i32_e64 s[6:7], s8, v14
	v_cndmask_b32_e32 v7, v7, v5, vcc
	v_cndmask_b32_e32 v6, v6, v4, vcc
	s_and_saveexec_b64 s[10:11], s[6:7]
	s_xor_b64 s[6:7], exec, s[10:11]
; %bb.111:
	v_mov_b32_e32 v18, 0
	v_mov_b32_e32 v19, v18
	;; [unrolled: 1-line block ×4, first 2 shown]
	ds_write_b128 v16, v[18:21]
; %bb.112:
	s_andn2_saveexec_b64 s[6:7], s[6:7]
	s_cbranch_execz .LBB48_114
; %bb.113:
	flat_load_dwordx4 v[18:21], v[6:7]
	s_waitcnt vmcnt(0) lgkmcnt(0)
	ds_write2_b64 v16, v[18:19], v[20:21] offset1:1
.LBB48_114:
	s_or_b64 exec, exec, s[6:7]
	v_add_u32_e32 v10, 8, v14
	v_cmp_le_i32_e64 s[6:7], s8, v10
	s_and_saveexec_b64 s[10:11], s[6:7]
	s_xor_b64 s[6:7], exec, s[10:11]
	s_cbranch_execz .LBB48_116
; %bb.115:
	s_movk_i32 s9, 0x210
	v_mov_b32_e32 v18, 0
	v_mad_u32_u24 v9, v10, s9, v11
	v_mov_b32_e32 v19, v18
	v_mov_b32_e32 v20, v18
	;; [unrolled: 1-line block ×3, first 2 shown]
	ds_write_b128 v9, v[18:21]
.LBB48_116:
	s_andn2_saveexec_b64 s[6:7], s[6:7]
	s_cbranch_execz .LBB48_118
; %bb.117:
	s_lshl_b64 s[10:11], s[22:23], 7
	v_lshl_add_u64 v[12:13], v[6:7], 0, s[10:11]
	flat_load_dwordx4 v[18:21], v[12:13]
	s_movk_i32 s9, 0x210
	v_mad_u32_u24 v9, v10, s9, v11
	s_waitcnt vmcnt(0) lgkmcnt(0)
	ds_write2_b64 v9, v[18:19], v[20:21] offset1:1
.LBB48_118:
	s_or_b64 exec, exec, s[6:7]
	v_add_u32_e32 v12, 16, v14
	v_cmp_le_i32_e64 s[6:7], s8, v12
	s_and_saveexec_b64 s[10:11], s[6:7]
	s_xor_b64 s[6:7], exec, s[10:11]
	s_cbranch_execz .LBB48_120
; %bb.119:
	s_movk_i32 s9, 0x210
	v_mov_b32_e32 v18, 0
	v_mad_u32_u24 v9, v12, s9, v11
	v_mov_b32_e32 v19, v18
	v_mov_b32_e32 v20, v18
	;; [unrolled: 1-line block ×3, first 2 shown]
	ds_write_b128 v9, v[18:21]
.LBB48_120:
	s_andn2_saveexec_b64 s[6:7], s[6:7]
	s_cbranch_execz .LBB48_122
; %bb.121:
	s_lshl_b64 s[10:11], s[22:23], 8
	v_lshl_add_u64 v[18:19], v[6:7], 0, s[10:11]
	flat_load_dwordx4 v[18:21], v[18:19]
	s_movk_i32 s9, 0x210
	v_mad_u32_u24 v9, v12, s9, v11
	s_waitcnt vmcnt(0) lgkmcnt(0)
	ds_write2_b64 v9, v[18:19], v[20:21] offset1:1
.LBB48_122:
	s_or_b64 exec, exec, s[6:7]
	v_add_u32_e32 v13, 24, v14
	v_cmp_le_i32_e64 s[6:7], s8, v13
	s_and_saveexec_b64 s[8:9], s[6:7]
	s_xor_b64 s[6:7], exec, s[8:9]
	s_cbranch_execz .LBB48_124
; %bb.123:
	s_movk_i32 s8, 0x210
	v_mov_b32_e32 v18, 0
	v_mad_u32_u24 v9, v13, s8, v11
	v_mov_b32_e32 v19, v18
	v_mov_b32_e32 v20, v18
	;; [unrolled: 1-line block ×3, first 2 shown]
	ds_write_b128 v9, v[18:21]
.LBB48_124:
	s_andn2_saveexec_b64 s[6:7], s[6:7]
	s_cbranch_execz .LBB48_126
; %bb.125:
	v_mov_b32_e32 v9, 0x180
	v_mad_u64_u32 v[18:19], s[8:9], s22, v9, v[6:7]
	s_mul_i32 s8, s23, 0x180
	s_nop 0
	v_add_u32_e32 v19, s8, v19
	flat_load_dwordx4 v[18:21], v[18:19]
	s_movk_i32 s8, 0x210
	v_mad_u32_u24 v9, v13, s8, v11
	s_waitcnt vmcnt(0) lgkmcnt(0)
	ds_write2_b64 v9, v[18:19], v[20:21] offset1:1
.LBB48_126:
	s_or_b64 exec, exec, s[6:7]
	v_mov_b32_e32 v9, 0
	v_lshl_add_u64 v[6:7], v[6:7], 0, v[8:9]
	s_lshl_b64 s[6:7], s[18:19], 4
	v_mov_b32_e32 v8, s7
	v_subrev_co_u32_e64 v6, s[6:7], s6, v6
	s_nop 1
	v_subb_co_u32_e64 v7, s[6:7], v7, v8, s[6:7]
	v_lshl_add_u64 v[6:7], v[6:7], 0, 16
	v_cndmask_b32_e32 v41, v7, v5, vcc
	v_cndmask_b32_e32 v40, v6, v4, vcc
	s_branch .LBB48_137
.LBB48_127:
	s_andn2_saveexec_b64 s[6:7], s[6:7]
	s_cbranch_execz .LBB48_93
.LBB48_128:
	v_cmp_eq_u32_e32 vcc, v18, v10
	s_mov_b64 s[14:15], s[4:5]
                                        ; implicit-def: $vgpr17
	s_and_saveexec_b64 s[34:35], vcc
; %bb.129:
	v_add_u32_e32 v17, v11, v15
	s_or_b64 s[14:15], s[4:5], exec
; %bb.130:
	s_or_b64 exec, exec, s[34:35]
	s_andn2_b64 s[4:5], s[4:5], exec
	s_and_b64 s[14:15], s[14:15], exec
	v_mov_b64_e32 v[6:7], 0
	s_or_b64 s[4:5], s[4:5], s[14:15]
	s_or_b64 exec, exec, s[6:7]
	s_and_saveexec_b64 s[6:7], s[4:5]
	s_cbranch_execnz .LBB48_94
	s_branch .LBB48_95
.LBB48_131:
	s_or_saveexec_b64 s[6:7], s[6:7]
	v_mov_b64_e32 v[6:7], 0
	s_xor_b64 exec, exec, s[6:7]
	s_cbranch_execz .LBB48_99
.LBB48_132:
	ds_read_b128 v[4:7], v45 offset:528
	v_add_u32_e32 v17, 32, v9
	s_or_b64 s[4:5], s[4:5], exec
	s_waitcnt lgkmcnt(0)
	v_xor_b32_e32 v7, 0x80000000, v7
	ds_write_b64 v9, v[4:5] offset:32
	s_or_b64 exec, exec, s[6:7]
	s_and_saveexec_b64 s[6:7], s[4:5]
	s_cbranch_execnz .LBB48_100
	s_branch .LBB48_101
.LBB48_133:
	s_or_saveexec_b64 s[6:7], s[6:7]
	v_mov_b64_e32 v[6:7], 0
	s_xor_b64 exec, exec, s[6:7]
	s_cbranch_execz .LBB48_105
.LBB48_134:
	ds_read_b128 v[4:7], v45 offset:1056
	v_add_u32_e32 v18, 48, v9
	s_or_b64 s[4:5], s[4:5], exec
	s_waitcnt lgkmcnt(0)
	v_xor_b32_e32 v7, 0x80000000, v7
	ds_write_b64 v9, v[4:5] offset:48
	s_or_b64 exec, exec, s[6:7]
	v_add_u32_e32 v17, 0x4700, v21
	s_and_saveexec_b64 s[6:7], s[4:5]
	s_cbranch_execnz .LBB48_106
	s_branch .LBB48_107
.LBB48_135:
                                        ; implicit-def: $vgpr40_vgpr41
                                        ; implicit-def: $vgpr10
                                        ; implicit-def: $vgpr12
                                        ; implicit-def: $vgpr13
	s_cbranch_execz .LBB48_137
; %bb.136:
	flat_load_dwordx4 v[6:9], v[4:5]
	s_lshl_b64 s[6:7], s[22:23], 7
	v_lshl_add_u64 v[12:13], v[4:5], 0, s[6:7]
	v_add_u32_e32 v10, 8, v14
	s_movk_i32 s8, 0x210
	v_mad_u32_u24 v11, v10, s8, v11
	v_add_u32_e32 v15, 0x1080, v11
	v_mov_b64_e32 v[40:41], v[4:5]
	s_waitcnt vmcnt(0) lgkmcnt(0)
	ds_write2_b64 v16, v[6:7], v[8:9] offset1:1
	flat_load_dwordx4 v[6:9], v[12:13]
	v_lshl_add_u64 v[12:13], v[12:13], 0, s[6:7]
	s_waitcnt vmcnt(0) lgkmcnt(0)
	ds_write2_b64 v11, v[6:7], v[8:9] offset1:1
	flat_load_dwordx4 v[6:9], v[12:13]
	v_lshl_add_u64 v[12:13], v[12:13], 0, s[6:7]
	v_add_u32_e32 v11, 0x2100, v11
	s_waitcnt vmcnt(0) lgkmcnt(0)
	ds_write2_b64 v15, v[6:7], v[8:9] offset1:1
	flat_load_dwordx4 v[6:9], v[12:13]
	v_add_u32_e32 v12, 16, v14
	v_add_u32_e32 v13, 24, v14
	s_waitcnt vmcnt(0) lgkmcnt(0)
	ds_write2_b64 v11, v[6:7], v[8:9] offset1:1
.LBB48_137:
	v_lshlrev_b32_e32 v8, 4, v14
	v_add_u32_e32 v4, v43, v8
	v_lshlrev_b32_e32 v14, 4, v10
	s_waitcnt lgkmcnt(0)
	s_barrier
	ds_read_b128 v[4:7], v4
	ds_read_b128 v[22:25], v8 offset:18176
	v_add_u32_e32 v8, v43, v14
	v_lshlrev_b32_e32 v12, 4, v12
	ds_read_b128 v[8:11], v8
	ds_read_b128 v[46:49], v14 offset:18176
	v_add_u32_e32 v16, v43, v12
	ds_read_b128 v[50:53], v16
	ds_read_b128 v[54:57], v12 offset:18176
	v_lshlrev_b32_e32 v12, 4, v13
	v_add_u32_e32 v13, v43, v12
	ds_read_b128 v[58:61], v13
	ds_read_b128 v[62:65], v12 offset:18176
	s_waitcnt lgkmcnt(6)
	v_mul_f64 v[14:15], v[6:7], v[24:25]
	v_fmac_f64_e32 v[14:15], v[4:5], v[22:23]
	s_waitcnt lgkmcnt(4)
	v_mul_f64 v[18:19], v[10:11], v[48:49]
	v_add_f64 v[14:15], v[14:15], 0
	v_fmac_f64_e32 v[18:19], v[8:9], v[46:47]
	s_waitcnt lgkmcnt(2)
	v_mul_f64 v[12:13], v[52:53], v[56:57]
	v_mul_f64 v[6:7], v[6:7], v[22:23]
	v_add_f64 v[14:15], v[14:15], v[18:19]
	v_fmac_f64_e32 v[12:13], v[50:51], v[54:55]
	v_mul_f64 v[10:11], v[10:11], v[46:47]
	v_add_f64 v[12:13], v[14:15], v[12:13]
	s_waitcnt lgkmcnt(0)
	v_mul_f64 v[14:15], v[60:61], v[64:65]
	v_fma_f64 v[34:35], v[4:5], v[24:25], -v[6:7]
	v_fmac_f64_e32 v[14:15], v[58:59], v[62:63]
	v_fma_f64 v[8:9], v[8:9], v[48:49], -v[10:11]
	v_add_f64 v[10:11], v[34:35], 0
	v_add_f64 v[46:47], v[12:13], v[14:15]
	ds_read_b128 v[28:31], v17 offset:512
	ds_read_b128 v[20:23], v17 offset:528
	;; [unrolled: 1-line block ×4, first 2 shown]
	ds_read_b128 v[24:27], v45
	ds_read_b128 v[16:19], v45 offset:528
	v_add_f64 v[48:49], v[10:11], v[8:9]
	ds_read_b128 v[32:35], v32
	ds_read_b128 v[8:11], v45 offset:1056
	v_mul_f64 v[52:53], v[52:53], v[54:55]
	v_mul_f64 v[54:55], v[60:61], v[62:63]
	v_fma_f64 v[50:51], v[50:51], v[56:57], -v[52:53]
	v_add_f64 v[48:49], v[48:49], v[50:51]
	v_fma_f64 v[50:51], v[58:59], v[64:65], -v[54:55]
	v_add_f64 v[48:49], v[48:49], v[50:51]
	s_waitcnt lgkmcnt(0)
	s_barrier
	ds_write_b128 v44, v[46:49]
	s_waitcnt lgkmcnt(0)
	s_barrier
	s_and_saveexec_b64 s[6:7], s[4:5]
	s_cbranch_execz .LBB48_139
; %bb.138:
	ds_read_b128 v[46:49], v43
	ds_read_b128 v[50:53], v43 offset:16
	ds_read_b128 v[54:57], v43 offset:32
	;; [unrolled: 1-line block ×3, first 2 shown]
	s_waitcnt lgkmcnt(3)
	v_add_f64 v[0:1], v[0:1], v[46:47]
	v_add_f64 v[2:3], v[2:3], v[48:49]
	s_waitcnt lgkmcnt(2)
	v_add_f64 v[0:1], v[0:1], v[50:51]
	v_add_f64 v[46:47], v[2:3], v[52:53]
	s_waitcnt lgkmcnt(1)
	v_add_f64 v[48:49], v[0:1], v[54:55]
	ds_read_b128 v[0:3], v43 offset:64
	v_add_f64 v[46:47], v[46:47], v[56:57]
	s_waitcnt lgkmcnt(1)
	v_add_f64 v[50:51], v[48:49], v[58:59]
	v_add_f64 v[54:55], v[46:47], v[60:61]
	ds_read_b128 v[46:49], v43 offset:80
	s_waitcnt lgkmcnt(1)
	v_add_f64 v[56:57], v[50:51], v[0:1]
	ds_read_b128 v[50:53], v43 offset:96
	v_add_f64 v[54:55], v[54:55], v[2:3]
	ds_read_b128 v[0:3], v43 offset:112
	s_waitcnt lgkmcnt(2)
	v_add_f64 v[46:47], v[56:57], v[46:47]
	v_add_f64 v[48:49], v[54:55], v[48:49]
	s_waitcnt lgkmcnt(1)
	v_add_f64 v[46:47], v[46:47], v[50:51]
	v_add_f64 v[48:49], v[48:49], v[52:53]
	;; [unrolled: 3-line block ×3, first 2 shown]
.LBB48_139:
	s_or_b64 exec, exec, s[6:7]
	v_mul_f64 v[46:47], v[30:31], v[34:35]
	v_fma_f64 v[46:47], v[28:29], v[32:33], -v[46:47]
	v_mul_f64 v[28:29], v[28:29], v[34:35]
	v_fmac_f64_e32 v[28:29], v[30:31], v[32:33]
	v_mul_f64 v[32:33], v[22:23], v[26:27]
	v_fma_f64 v[32:33], v[20:21], v[24:25], -v[32:33]
	v_mul_f64 v[20:21], v[20:21], v[26:27]
	v_fmac_f64_e32 v[20:21], v[22:23], v[24:25]
	v_mul_f64 v[24:25], v[14:15], v[18:19]
	v_add_f64 v[30:31], v[46:47], 0
	v_add_f64 v[28:29], v[28:29], 0
	v_fma_f64 v[24:25], v[12:13], v[16:17], -v[24:25]
	v_mul_f64 v[12:13], v[12:13], v[18:19]
	v_add_f64 v[22:23], v[30:31], v[32:33]
	v_add_f64 v[20:21], v[28:29], v[20:21]
	v_fmac_f64_e32 v[12:13], v[14:15], v[16:17]
	v_mul_f64 v[16:17], v[6:7], v[10:11]
	v_mul_f64 v[10:11], v[4:5], v[10:11]
	v_add_f64 v[14:15], v[22:23], v[24:25]
	v_add_f64 v[12:13], v[20:21], v[12:13]
	v_fma_f64 v[16:17], v[4:5], v[8:9], -v[16:17]
	v_fmac_f64_e32 v[10:11], v[6:7], v[8:9]
	v_add_f64 v[4:5], v[14:15], v[16:17]
	v_add_f64 v[6:7], v[12:13], v[10:11]
	s_barrier
	ds_write_b128 v44, v[4:7]
	s_waitcnt lgkmcnt(0)
	s_barrier
	s_and_saveexec_b64 s[4:5], s[12:13]
	s_cbranch_execz .LBB48_141
; %bb.140:
	ds_read_b128 v[4:7], v43
	ds_read_b128 v[8:11], v43 offset:16
	ds_read_b128 v[12:15], v43 offset:32
	;; [unrolled: 1-line block ×3, first 2 shown]
	s_waitcnt lgkmcnt(3)
	v_add_f64 v[0:1], v[0:1], v[4:5]
	v_add_f64 v[2:3], v[2:3], v[6:7]
	s_waitcnt lgkmcnt(2)
	v_add_f64 v[0:1], v[0:1], v[8:9]
	v_add_f64 v[4:5], v[2:3], v[10:11]
	s_waitcnt lgkmcnt(1)
	v_add_f64 v[6:7], v[0:1], v[12:13]
	ds_read_b128 v[0:3], v43 offset:64
	v_add_f64 v[4:5], v[4:5], v[14:15]
	s_waitcnt lgkmcnt(1)
	v_add_f64 v[8:9], v[6:7], v[16:17]
	v_add_f64 v[12:13], v[4:5], v[18:19]
	ds_read_b128 v[4:7], v43 offset:80
	s_waitcnt lgkmcnt(1)
	v_add_f64 v[14:15], v[8:9], v[0:1]
	ds_read_b128 v[8:11], v43 offset:96
	v_add_f64 v[12:13], v[12:13], v[2:3]
	ds_read_b128 v[0:3], v43 offset:112
	s_waitcnt lgkmcnt(2)
	v_add_f64 v[4:5], v[14:15], v[4:5]
	v_add_f64 v[6:7], v[12:13], v[6:7]
	s_waitcnt lgkmcnt(1)
	v_add_f64 v[4:5], v[4:5], v[8:9]
	v_add_f64 v[6:7], v[6:7], v[10:11]
	;; [unrolled: 3-line block ×3, first 2 shown]
.LBB48_141:
	s_or_b64 exec, exec, s[4:5]
	s_mul_hi_u32 s4, s33, s26
	s_mul_i32 s36, s36, s26
	s_add_i32 s4, s4, s36
	s_mul_i32 s6, s33, s26
	s_mul_i32 s4, s4, s3
	s_mul_hi_u32 s5, s6, s3
	s_add_i32 s5, s5, s4
	s_mul_i32 s4, s6, s3
	s_lshl_b64 s[4:5], s[4:5], 4
	s_add_u32 s6, s28, s4
	s_addc_u32 s7, s29, s5
	s_mul_hi_i32 s5, s33, s2
	s_mul_i32 s4, s33, s2
	s_lshl_b64 s[4:5], s[4:5], 4
	s_add_u32 s8, s6, s4
	s_addc_u32 s9, s7, s5
	s_add_i32 s4, s2, 1
	s_cmp_ge_u32 s4, s3
	v_lshlrev_b32_e32 v166, 4, v202
	s_barrier
	s_cbranch_scc1 .LBB48_199
; %bb.142:
	s_mul_i32 s4, s16, s25
	s_mul_hi_u32 s5, s16, s24
	s_add_i32 s4, s5, s4
	s_mul_i32 s5, s17, s24
	s_add_i32 s5, s4, s5
	s_mul_i32 s4, s16, s24
	s_lshl_b64 s[4:5], s[4:5], 4
	v_mov_b32_e32 v4, s5
	v_subrev_co_u32_e32 v168, vcc, s4, v36
	s_movk_i32 s4, 0x10c0
	s_nop 0
	v_subb_co_u32_e32 v169, vcc, v37, v4, vcc
	v_lshrrev_b32_e32 v4, 4, v42
	v_lshlrev_b32_e32 v6, 6, v4
	v_mul_i32_i24_e32 v44, 0xffffffd0, v4
	v_and_b32_e32 v4, 48, v202
	v_and_b32_e32 v5, 15, v202
	v_lshlrev_b32_e32 v43, 6, v203
	v_mad_u32_u24 v208, v203, s4, v166
	s_movk_i32 s4, 0x430
	v_lshlrev_b32_e32 v4, 4, v4
	v_mad_u32_u24 v210, v5, s4, v4
	v_or_b32_e32 v4, 0xf0, v166
	v_add_u32_e32 v7, 0x220, v43
	v_mad_u32_u24 v209, v5, s4, v6
	v_mad_u32_u24 v211, v5, s4, v4
	v_mad_u64_u32 v[4:5], s[4:5], s22, v7, 0
	v_mov_b32_e32 v6, v5
	v_lshlrev_b64 v[8:9], 4, v[38:39]
	v_mad_u64_u32 v[6:7], s[4:5], s23, v7, v[6:7]
	v_sub_co_u32_e32 v4, vcc, v4, v8
	v_add_u32_e32 v11, 0x530, v43
	s_nop 0
	v_subb_co_u32_e32 v5, vcc, v6, v9, vcc
	v_mad_u64_u32 v[6:7], s[4:5], s22, v11, 0
	v_mov_b32_e32 v10, v7
	v_mad_u64_u32 v[10:11], s[4:5], s23, v11, v[10:11]
	v_sub_co_u32_e32 v6, vcc, v6, v8
	v_add_u32_e32 v13, 0x210, v43
	s_nop 0
	v_subb_co_u32_e32 v7, vcc, v10, v9, vcc
	v_mad_u64_u32 v[10:11], s[4:5], s22, v13, 0
	v_mov_b32_e32 v12, v11
	;; [unrolled: 7-line block ×15, first 2 shown]
	v_mad_u64_u32 v[38:39], s[4:5], s23, v39, v[38:39]
	v_lshl_add_u64 v[170:171], v[40:41], 0, v[4:5]
	v_sub_co_u32_e32 v4, vcc, v36, v8
	v_lshlrev_b32_e32 v204, 2, v203
	v_mov_b32_e32 v167, 0
	v_subb_co_u32_e32 v5, vcc, v38, v9, vcc
	s_add_i32 s19, s3, -2
	v_add_u32_e32 v205, 0x4300, v166
	v_add_u32_e32 v206, 0x4300, v43
	;; [unrolled: 1-line block ×3, first 2 shown]
	v_cmp_gt_u32_e64 s[6:7], 64, v42
	v_or_b32_e32 v212, 1, v204
	v_or_b32_e32 v213, 2, v204
	v_or_b32_e32 v214, 3, v204
	v_add_u32_e32 v215, 16, v204
	v_add_u32_e32 v216, 17, v204
	;; [unrolled: 1-line block ×12, first 2 shown]
	s_add_i32 s24, s24, 64
	s_lshl_b64 s[10:11], s[22:23], 10
	v_lshl_add_u64 v[172:173], v[40:41], 0, v[6:7]
	v_lshl_add_u64 v[174:175], v[40:41], 0, v[10:11]
	;; [unrolled: 1-line block ×15, first 2 shown]
	v_add_u32_e32 v227, v209, v44
	v_mov_b32_e32 v228, v167
	v_mov_b32_e32 v229, v167
	;; [unrolled: 1-line block ×4, first 2 shown]
	s_cmp_eq_u32 s19, s2
	s_cselect_b32 s25, s27, 0
	s_and_saveexec_b64 s[4:5], s[0:1]
	s_cbranch_execz .LBB48_148
	s_branch .LBB48_144
.LBB48_143:                             ;   in Loop: Header=BB48_148 Depth=1
	s_mov_b32 s2, s4
	s_cmp_eq_u32 s19, s2
	s_cselect_b32 s25, s27, 0
	s_and_saveexec_b64 s[4:5], s[0:1]
	s_cbranch_execz .LBB48_148
.LBB48_144:
	s_cmp_lg_u32 s25, 0
	s_cselect_b64 s[12:13], -1, 0
	v_cmp_le_i32_e32 vcc, s25, v202
	s_and_b64 s[12:13], s[12:13], vcc
	s_and_saveexec_b64 s[14:15], s[12:13]
	s_xor_b64 s[12:13], exec, s[14:15]
; %bb.145:
	ds_write_b128 v205, v[228:231]
; %bb.146:
	s_andn2_saveexec_b64 s[12:13], s[12:13]
	s_cbranch_execz .LBB48_148
; %bb.147:
	s_ashr_i32 s12, s24, 31
	s_mul_hi_u32 s13, s16, s24
	s_mul_i32 s12, s16, s12
	s_add_i32 s12, s13, s12
	s_mul_i32 s13, s17, s24
	s_add_i32 s13, s12, s13
	s_mul_i32 s12, s16, s24
	v_lshl_add_u64 v[4:5], s[12:13], 4, v[168:169]
	flat_load_dwordx4 v[4:7], v[4:5]
	s_waitcnt vmcnt(0) lgkmcnt(0)
	ds_write2_b64 v205, v[4:5], v[6:7] offset1:1
.LBB48_148:                             ; =>This Inner Loop Header: Depth=1
	s_or_b64 exec, exec, s[4:5]
	s_cmp_eq_u32 s25, 0
	s_cselect_b64 s[12:13], -1, 0
	s_cmp_lg_u32 s25, 0
	s_cselect_b64 s[14:15], -1, 0
	v_lshl_add_u64 v[16:17], v[178:179], 0, v[166:167]
	s_and_b64 vcc, exec, s[14:15]
	s_waitcnt lgkmcnt(0)
	s_barrier
	s_cbranch_vccz .LBB48_156
; %bb.149:                              ;   in Loop: Header=BB48_148 Depth=1
	v_cmp_gt_i32_e32 vcc, s25, v204
	v_mov_b64_e32 v[8:9], 0
	v_mov_b64_e32 v[4:5], 0
	;; [unrolled: 1-line block ×3, first 2 shown]
	s_and_saveexec_b64 s[4:5], vcc
	s_cbranch_execz .LBB48_151
; %bb.150:                              ;   in Loop: Header=BB48_148 Depth=1
	flat_load_dwordx4 v[4:7], v[16:17]
.LBB48_151:                             ;   in Loop: Header=BB48_148 Depth=1
	s_or_b64 exec, exec, s[4:5]
	v_cmp_gt_i32_e32 vcc, s25, v212
	v_mov_b64_e32 v[10:11], 0
	s_and_saveexec_b64 s[4:5], vcc
	s_cbranch_execz .LBB48_153
; %bb.152:                              ;   in Loop: Header=BB48_148 Depth=1
	v_lshl_add_u64 v[8:9], v[174:175], 0, v[166:167]
	flat_load_dwordx4 v[8:11], v[8:9]
.LBB48_153:                             ;   in Loop: Header=BB48_148 Depth=1
	s_or_b64 exec, exec, s[4:5]
	v_cmp_gt_i32_e32 vcc, s25, v213
	v_mov_b64_e32 v[12:13], 0
	v_mov_b64_e32 v[14:15], 0
	s_and_saveexec_b64 s[4:5], vcc
	s_cbranch_execz .LBB48_155
; %bb.154:                              ;   in Loop: Header=BB48_148 Depth=1
	v_lshl_add_u64 v[12:13], v[170:171], 0, v[166:167]
	flat_load_dwordx4 v[12:15], v[12:13]
.LBB48_155:                             ;   in Loop: Header=BB48_148 Depth=1
	s_or_b64 exec, exec, s[4:5]
	v_cmp_gt_i32_e64 s[4:5], s25, v214
	s_branch .LBB48_158
.LBB48_156:                             ;   in Loop: Header=BB48_148 Depth=1
	s_mov_b64 s[4:5], 0
                                        ; implicit-def: $vgpr14_vgpr15
                                        ; implicit-def: $vgpr10_vgpr11
                                        ; implicit-def: $vgpr6_vgpr7
	s_cbranch_execz .LBB48_158
; %bb.157:                              ;   in Loop: Header=BB48_148 Depth=1
	s_waitcnt vmcnt(0) lgkmcnt(0)
	v_lshl_add_u64 v[8:9], v[174:175], 0, v[166:167]
	v_lshl_add_u64 v[12:13], v[170:171], 0, v[166:167]
	flat_load_dwordx4 v[4:7], v[16:17]
	s_or_b64 s[4:5], s[4:5], exec
	flat_load_dwordx4 v[8:11], v[8:9]
	s_nop 0
	flat_load_dwordx4 v[12:15], v[12:13]
.LBB48_158:                             ;   in Loop: Header=BB48_148 Depth=1
	v_mov_b64_e32 v[16:17], 0
	v_mov_b64_e32 v[18:19], 0
	s_and_saveexec_b64 s[22:23], s[4:5]
	s_cbranch_execz .LBB48_160
; %bb.159:                              ;   in Loop: Header=BB48_148 Depth=1
	v_lshl_add_u64 v[16:17], v[182:183], 0, v[166:167]
	flat_load_dwordx4 v[16:19], v[16:17]
.LBB48_160:                             ;   in Loop: Header=BB48_148 Depth=1
	s_or_b64 exec, exec, s[22:23]
	ds_read_b128 v[36:39], v207
	ds_read_b128 v[32:35], v206
	ds_read_b128 v[28:31], v206 offset:16
	ds_read_b128 v[24:27], v206 offset:32
	;; [unrolled: 1-line block ×3, first 2 shown]
	s_waitcnt vmcnt(0) lgkmcnt(0)
	v_mul_f64 v[40:41], v[6:7], v[38:39]
	v_mul_f64 v[42:43], v[6:7], v[36:37]
	v_fmac_f64_e32 v[40:41], v[4:5], v[36:37]
	v_fma_f64 v[42:43], v[4:5], v[38:39], -v[42:43]
	ds_write_b128 v208, v[40:43]
	v_mul_f64 v[40:41], v[10:11], v[38:39]
	v_mul_f64 v[42:43], v[10:11], v[36:37]
	v_fmac_f64_e32 v[40:41], v[8:9], v[36:37]
	v_fma_f64 v[42:43], v[8:9], v[38:39], -v[42:43]
	ds_write_b128 v208, v[40:43] offset:1072
	v_mul_f64 v[40:41], v[14:15], v[38:39]
	v_mul_f64 v[42:43], v[14:15], v[36:37]
	v_fmac_f64_e32 v[40:41], v[12:13], v[36:37]
	v_fma_f64 v[42:43], v[12:13], v[38:39], -v[42:43]
	ds_write_b128 v208, v[40:43] offset:2144
	v_mul_f64 v[40:41], v[18:19], v[38:39]
	v_fmac_f64_e32 v[40:41], v[16:17], v[36:37]
	v_mul_f64 v[36:37], v[18:19], v[36:37]
	v_fma_f64 v[42:43], v[16:17], v[38:39], -v[36:37]
	ds_write_b128 v208, v[40:43] offset:3216
	s_waitcnt lgkmcnt(0)
	s_barrier
	ds_read_b128 v[92:95], v209
	ds_read_b128 v[88:91], v209 offset:16
	ds_read_b128 v[84:87], v209 offset:32
	;; [unrolled: 1-line block ×3, first 2 shown]
	v_cndmask_b32_e64 v36, 0, 1, s[14:15]
	v_cmp_ne_u32_e64 s[4:5], 1, v36
	s_andn2_b64 vcc, exec, s[14:15]
	v_lshl_add_u64 v[48:49], v[194:195], 0, v[166:167]
	s_waitcnt lgkmcnt(0)
	s_barrier
	s_cbranch_vccnz .LBB48_168
; %bb.161:                              ;   in Loop: Header=BB48_148 Depth=1
	v_cmp_gt_i32_e32 vcc, s25, v215
	v_mov_b64_e32 v[40:41], 0
	v_mov_b64_e32 v[36:37], 0
	;; [unrolled: 1-line block ×3, first 2 shown]
	s_and_saveexec_b64 s[14:15], vcc
	s_cbranch_execz .LBB48_163
; %bb.162:                              ;   in Loop: Header=BB48_148 Depth=1
	flat_load_dwordx4 v[36:39], v[48:49]
.LBB48_163:                             ;   in Loop: Header=BB48_148 Depth=1
	s_or_b64 exec, exec, s[14:15]
	v_cmp_gt_i32_e32 vcc, s25, v216
	v_mov_b64_e32 v[42:43], 0
	s_and_saveexec_b64 s[14:15], vcc
	s_cbranch_execz .LBB48_165
; %bb.164:                              ;   in Loop: Header=BB48_148 Depth=1
	v_lshl_add_u64 v[40:41], v[190:191], 0, v[166:167]
	flat_load_dwordx4 v[40:43], v[40:41]
.LBB48_165:                             ;   in Loop: Header=BB48_148 Depth=1
	s_or_b64 exec, exec, s[14:15]
	v_cmp_gt_i32_e32 vcc, s25, v217
	v_mov_b64_e32 v[44:45], 0
	v_mov_b64_e32 v[46:47], 0
	s_and_saveexec_b64 s[14:15], vcc
	s_cbranch_execz .LBB48_167
; %bb.166:                              ;   in Loop: Header=BB48_148 Depth=1
	v_lshl_add_u64 v[44:45], v[184:185], 0, v[166:167]
	flat_load_dwordx4 v[44:47], v[44:45]
.LBB48_167:                             ;   in Loop: Header=BB48_148 Depth=1
	s_or_b64 exec, exec, s[14:15]
	v_cmp_gt_i32_e64 s[14:15], s25, v218
	s_branch .LBB48_170
.LBB48_168:                             ;   in Loop: Header=BB48_148 Depth=1
	s_mov_b64 s[14:15], 0
                                        ; implicit-def: $vgpr46_vgpr47
                                        ; implicit-def: $vgpr42_vgpr43
                                        ; implicit-def: $vgpr38_vgpr39
	s_cbranch_execz .LBB48_170
; %bb.169:                              ;   in Loop: Header=BB48_148 Depth=1
	s_waitcnt vmcnt(0) lgkmcnt(0)
	v_lshl_add_u64 v[40:41], v[190:191], 0, v[166:167]
	v_lshl_add_u64 v[44:45], v[184:185], 0, v[166:167]
	flat_load_dwordx4 v[36:39], v[48:49]
	s_or_b64 s[14:15], s[14:15], exec
	flat_load_dwordx4 v[40:43], v[40:41]
	s_nop 0
	flat_load_dwordx4 v[44:47], v[44:45]
.LBB48_170:                             ;   in Loop: Header=BB48_148 Depth=1
	v_mov_b64_e32 v[48:49], 0
	v_mov_b64_e32 v[50:51], 0
	s_and_saveexec_b64 s[22:23], s[14:15]
	s_cbranch_execz .LBB48_172
; %bb.171:                              ;   in Loop: Header=BB48_148 Depth=1
	v_lshl_add_u64 v[48:49], v[198:199], 0, v[166:167]
	flat_load_dwordx4 v[48:51], v[48:49]
.LBB48_172:                             ;   in Loop: Header=BB48_148 Depth=1
	s_or_b64 exec, exec, s[22:23]
	ds_read_b128 v[68:71], v207
	ds_read_b128 v[64:67], v206 offset:256
	ds_read_b128 v[60:63], v206 offset:272
	;; [unrolled: 1-line block ×4, first 2 shown]
	s_waitcnt vmcnt(0) lgkmcnt(0)
	v_mul_f64 v[72:73], v[38:39], v[70:71]
	v_mul_f64 v[74:75], v[38:39], v[68:69]
	v_fmac_f64_e32 v[72:73], v[36:37], v[68:69]
	v_fma_f64 v[74:75], v[36:37], v[70:71], -v[74:75]
	ds_write_b128 v208, v[72:75]
	v_mul_f64 v[72:73], v[42:43], v[70:71]
	v_mul_f64 v[74:75], v[42:43], v[68:69]
	v_fmac_f64_e32 v[72:73], v[40:41], v[68:69]
	v_fma_f64 v[74:75], v[40:41], v[70:71], -v[74:75]
	ds_write_b128 v208, v[72:75] offset:1072
	v_mul_f64 v[72:73], v[46:47], v[70:71]
	v_mul_f64 v[74:75], v[46:47], v[68:69]
	v_fmac_f64_e32 v[72:73], v[44:45], v[68:69]
	v_fma_f64 v[74:75], v[44:45], v[70:71], -v[74:75]
	ds_write_b128 v208, v[72:75] offset:2144
	v_mul_f64 v[72:73], v[50:51], v[70:71]
	v_fmac_f64_e32 v[72:73], v[48:49], v[68:69]
	v_mul_f64 v[68:69], v[50:51], v[68:69]
	v_fma_f64 v[74:75], v[48:49], v[70:71], -v[68:69]
	ds_write_b128 v208, v[72:75] offset:3216
	s_waitcnt lgkmcnt(0)
	s_barrier
	ds_read_b128 v[144:147], v209
	ds_read_b128 v[140:143], v209 offset:16
	ds_read_b128 v[136:139], v209 offset:32
	;; [unrolled: 1-line block ×3, first 2 shown]
	s_and_b64 vcc, exec, s[4:5]
	v_lshl_add_u64 v[96:97], v[192:193], 0, v[166:167]
	s_waitcnt lgkmcnt(0)
	s_barrier
	s_cbranch_vccnz .LBB48_180
; %bb.173:                              ;   in Loop: Header=BB48_148 Depth=1
	v_cmp_gt_i32_e32 vcc, s25, v219
	v_mov_b64_e32 v[72:73], 0
	v_mov_b64_e32 v[68:69], 0
	;; [unrolled: 1-line block ×3, first 2 shown]
	s_and_saveexec_b64 s[14:15], vcc
	s_cbranch_execz .LBB48_175
; %bb.174:                              ;   in Loop: Header=BB48_148 Depth=1
	flat_load_dwordx4 v[68:71], v[96:97]
.LBB48_175:                             ;   in Loop: Header=BB48_148 Depth=1
	s_or_b64 exec, exec, s[14:15]
	v_cmp_gt_i32_e32 vcc, s25, v220
	v_mov_b64_e32 v[74:75], 0
	s_and_saveexec_b64 s[14:15], vcc
	s_cbranch_execz .LBB48_177
; %bb.176:                              ;   in Loop: Header=BB48_148 Depth=1
	v_lshl_add_u64 v[72:73], v[196:197], 0, v[166:167]
	flat_load_dwordx4 v[72:75], v[72:73]
.LBB48_177:                             ;   in Loop: Header=BB48_148 Depth=1
	s_or_b64 exec, exec, s[14:15]
	v_cmp_gt_i32_e32 vcc, s25, v221
	v_mov_b64_e32 v[76:77], 0
	v_mov_b64_e32 v[78:79], 0
	s_and_saveexec_b64 s[14:15], vcc
	s_cbranch_execz .LBB48_179
; %bb.178:                              ;   in Loop: Header=BB48_148 Depth=1
	v_lshl_add_u64 v[76:77], v[200:201], 0, v[166:167]
	flat_load_dwordx4 v[76:79], v[76:77]
.LBB48_179:                             ;   in Loop: Header=BB48_148 Depth=1
	s_or_b64 exec, exec, s[14:15]
	v_cmp_gt_i32_e64 s[14:15], s25, v222
	s_branch .LBB48_182
.LBB48_180:                             ;   in Loop: Header=BB48_148 Depth=1
	s_mov_b64 s[14:15], 0
                                        ; implicit-def: $vgpr78_vgpr79
                                        ; implicit-def: $vgpr74_vgpr75
                                        ; implicit-def: $vgpr70_vgpr71
	s_cbranch_execz .LBB48_182
; %bb.181:                              ;   in Loop: Header=BB48_148 Depth=1
	s_waitcnt vmcnt(0) lgkmcnt(0)
	v_lshl_add_u64 v[72:73], v[196:197], 0, v[166:167]
	v_lshl_add_u64 v[76:77], v[200:201], 0, v[166:167]
	flat_load_dwordx4 v[68:71], v[96:97]
	s_or_b64 s[14:15], s[14:15], exec
	flat_load_dwordx4 v[72:75], v[72:73]
	s_nop 0
	flat_load_dwordx4 v[76:79], v[76:77]
.LBB48_182:                             ;   in Loop: Header=BB48_148 Depth=1
	v_mov_b64_e32 v[96:97], 0
	v_mov_b64_e32 v[98:99], 0
	s_and_saveexec_b64 s[22:23], s[14:15]
	s_cbranch_execz .LBB48_184
; %bb.183:                              ;   in Loop: Header=BB48_148 Depth=1
	v_lshl_add_u64 v[96:97], v[188:189], 0, v[166:167]
	flat_load_dwordx4 v[96:99], v[96:97]
.LBB48_184:                             ;   in Loop: Header=BB48_148 Depth=1
	s_or_b64 exec, exec, s[22:23]
	ds_read_b128 v[116:119], v207
	ds_read_b128 v[112:115], v206 offset:512
	ds_read_b128 v[108:111], v206 offset:528
	;; [unrolled: 1-line block ×4, first 2 shown]
	s_waitcnt vmcnt(0) lgkmcnt(0)
	v_mul_f64 v[120:121], v[70:71], v[118:119]
	v_mul_f64 v[122:123], v[70:71], v[116:117]
	v_fmac_f64_e32 v[120:121], v[68:69], v[116:117]
	v_fma_f64 v[122:123], v[68:69], v[118:119], -v[122:123]
	ds_write_b128 v208, v[120:123]
	v_mul_f64 v[120:121], v[74:75], v[118:119]
	v_mul_f64 v[122:123], v[74:75], v[116:117]
	v_fmac_f64_e32 v[120:121], v[72:73], v[116:117]
	v_fma_f64 v[122:123], v[72:73], v[118:119], -v[122:123]
	ds_write_b128 v208, v[120:123] offset:1072
	v_mul_f64 v[120:121], v[78:79], v[118:119]
	v_mul_f64 v[122:123], v[78:79], v[116:117]
	v_fmac_f64_e32 v[120:121], v[76:77], v[116:117]
	v_fma_f64 v[122:123], v[76:77], v[118:119], -v[122:123]
	ds_write_b128 v208, v[120:123] offset:2144
	v_mul_f64 v[120:121], v[98:99], v[118:119]
	v_fmac_f64_e32 v[120:121], v[96:97], v[116:117]
	v_mul_f64 v[116:117], v[98:99], v[116:117]
	v_fma_f64 v[122:123], v[96:97], v[118:119], -v[116:117]
	ds_write_b128 v208, v[120:123] offset:3216
	s_waitcnt lgkmcnt(0)
	s_barrier
	ds_read_b128 v[160:163], v209
	ds_read_b128 v[156:159], v209 offset:16
	ds_read_b128 v[152:155], v209 offset:32
	;; [unrolled: 1-line block ×3, first 2 shown]
	s_and_b64 vcc, exec, s[4:5]
	v_lshl_add_u64 v[128:129], v[176:177], 0, v[166:167]
	s_waitcnt lgkmcnt(0)
	s_barrier
	s_cbranch_vccnz .LBB48_192
; %bb.185:                              ;   in Loop: Header=BB48_148 Depth=1
	v_cmp_gt_i32_e32 vcc, s25, v223
	v_mov_b64_e32 v[120:121], 0
	v_mov_b64_e32 v[116:117], 0
	;; [unrolled: 1-line block ×3, first 2 shown]
	s_and_saveexec_b64 s[4:5], vcc
	s_cbranch_execz .LBB48_187
; %bb.186:                              ;   in Loop: Header=BB48_148 Depth=1
	flat_load_dwordx4 v[116:119], v[128:129]
.LBB48_187:                             ;   in Loop: Header=BB48_148 Depth=1
	s_or_b64 exec, exec, s[4:5]
	v_cmp_gt_i32_e32 vcc, s25, v224
	v_mov_b64_e32 v[122:123], 0
	s_and_saveexec_b64 s[4:5], vcc
	s_cbranch_execz .LBB48_189
; %bb.188:                              ;   in Loop: Header=BB48_148 Depth=1
	v_lshl_add_u64 v[120:121], v[180:181], 0, v[166:167]
	flat_load_dwordx4 v[120:123], v[120:121]
.LBB48_189:                             ;   in Loop: Header=BB48_148 Depth=1
	s_or_b64 exec, exec, s[4:5]
	v_cmp_gt_i32_e32 vcc, s25, v225
	v_mov_b64_e32 v[124:125], 0
	v_mov_b64_e32 v[126:127], 0
	s_and_saveexec_b64 s[4:5], vcc
	s_cbranch_execz .LBB48_191
; %bb.190:                              ;   in Loop: Header=BB48_148 Depth=1
	v_lshl_add_u64 v[124:125], v[186:187], 0, v[166:167]
	flat_load_dwordx4 v[124:127], v[124:125]
.LBB48_191:                             ;   in Loop: Header=BB48_148 Depth=1
	s_or_b64 exec, exec, s[4:5]
	v_cmp_gt_i32_e64 s[4:5], s25, v226
	s_branch .LBB48_194
.LBB48_192:                             ;   in Loop: Header=BB48_148 Depth=1
	s_mov_b64 s[4:5], 0
                                        ; implicit-def: $vgpr126_vgpr127
                                        ; implicit-def: $vgpr122_vgpr123
                                        ; implicit-def: $vgpr118_vgpr119
	s_cbranch_execz .LBB48_194
; %bb.193:                              ;   in Loop: Header=BB48_148 Depth=1
	s_waitcnt vmcnt(0) lgkmcnt(0)
	v_lshl_add_u64 v[120:121], v[180:181], 0, v[166:167]
	v_lshl_add_u64 v[124:125], v[186:187], 0, v[166:167]
	flat_load_dwordx4 v[116:119], v[128:129]
	s_or_b64 s[4:5], s[4:5], exec
	flat_load_dwordx4 v[120:123], v[120:121]
	s_nop 0
	flat_load_dwordx4 v[124:127], v[124:125]
.LBB48_194:                             ;   in Loop: Header=BB48_148 Depth=1
	v_mov_b64_e32 v[128:129], 0
	v_mov_b64_e32 v[130:131], 0
	s_and_saveexec_b64 s[14:15], s[4:5]
	s_cbranch_execz .LBB48_196
; %bb.195:                              ;   in Loop: Header=BB48_148 Depth=1
	v_lshl_add_u64 v[128:129], v[172:173], 0, v[166:167]
	flat_load_dwordx4 v[128:131], v[128:129]
.LBB48_196:                             ;   in Loop: Header=BB48_148 Depth=1
	s_or_b64 exec, exec, s[14:15]
	v_add_f64 v[160:161], v[160:161], 0
	v_add_f64 v[144:145], v[144:145], 0
	;; [unrolled: 1-line block ×19, first 2 shown]
	ds_read_b128 v[140:143], v207
	ds_read_b128 v[132:135], v206 offset:768
	ds_read_b128 v[92:95], v206 offset:784
	;; [unrolled: 1-line block ×4, first 2 shown]
	s_waitcnt vmcnt(0) lgkmcnt(0)
	v_mul_f64 v[144:145], v[118:119], v[142:143]
	v_mul_f64 v[146:147], v[118:119], v[140:141]
	v_fmac_f64_e32 v[144:145], v[116:117], v[140:141]
	v_fma_f64 v[146:147], v[116:117], v[142:143], -v[146:147]
	ds_write_b128 v208, v[144:147]
	v_mul_f64 v[144:145], v[122:123], v[142:143]
	v_mul_f64 v[146:147], v[122:123], v[140:141]
	v_fmac_f64_e32 v[144:145], v[120:121], v[140:141]
	v_fma_f64 v[146:147], v[120:121], v[142:143], -v[146:147]
	ds_write_b128 v208, v[144:147] offset:1072
	v_mul_f64 v[144:145], v[126:127], v[142:143]
	v_mul_f64 v[146:147], v[126:127], v[140:141]
	v_fmac_f64_e32 v[144:145], v[124:125], v[140:141]
	v_fma_f64 v[146:147], v[124:125], v[142:143], -v[146:147]
	ds_write_b128 v208, v[144:147] offset:2144
	v_mul_f64 v[144:145], v[130:131], v[142:143]
	v_fmac_f64_e32 v[144:145], v[128:129], v[140:141]
	v_mul_f64 v[140:141], v[130:131], v[140:141]
	v_fma_f64 v[146:147], v[128:129], v[142:143], -v[140:141]
	v_add_f64 v[162:163], v[162:163], 0
	ds_write_b128 v208, v[144:147] offset:3216
	s_waitcnt lgkmcnt(0)
	s_barrier
	ds_read_b128 v[140:143], v209
	v_add_f64 v[158:159], v[162:163], v[158:159]
	v_add_f64 v[154:155], v[158:159], v[154:155]
	;; [unrolled: 1-line block ×4, first 2 shown]
	ds_read_b128 v[144:147], v209 offset:16
	ds_read_b128 v[152:155], v209 offset:32
	;; [unrolled: 1-line block ×3, first 2 shown]
	s_waitcnt lgkmcnt(3)
	v_add_f64 v[140:141], v[140:141], 0
	v_add_f64 v[142:143], v[142:143], 0
	v_cmp_gt_i32_e32 vcc, s25, v202
	s_waitcnt lgkmcnt(2)
	v_add_f64 v[140:141], v[140:141], v[144:145]
	v_add_f64 v[142:143], v[142:143], v[146:147]
	s_or_b64 s[4:5], s[12:13], vcc
	s_waitcnt lgkmcnt(1)
	v_add_f64 v[140:141], v[140:141], v[152:153]
	v_add_f64 v[142:143], v[142:143], v[154:155]
	s_and_b64 s[12:13], s[6:7], s[4:5]
	s_waitcnt lgkmcnt(0)
	v_add_f64 v[140:141], v[140:141], v[156:157]
	v_add_f64 v[142:143], v[142:143], v[158:159]
	s_barrier
	ds_write_b128 v227, v[80:83]
	ds_write_b128 v227, v[136:139] offset:256
	ds_write_b128 v227, v[148:151] offset:512
	;; [unrolled: 1-line block ×3, first 2 shown]
	s_waitcnt lgkmcnt(0)
	s_barrier
	s_and_saveexec_b64 s[4:5], s[12:13]
	s_cbranch_execz .LBB48_198
; %bb.197:                              ;   in Loop: Header=BB48_148 Depth=1
	ds_read_b128 v[80:83], v210
	ds_read_b128 v[136:139], v210 offset:16
	ds_read_b128 v[140:143], v210 offset:32
	;; [unrolled: 1-line block ×3, first 2 shown]
	s_waitcnt lgkmcnt(2)
	v_add_f64 v[80:81], v[136:137], v[80:81]
	v_add_f64 v[136:137], v[138:139], v[82:83]
	s_waitcnt lgkmcnt(1)
	v_add_f64 v[138:139], v[80:81], v[140:141]
	ds_read_b128 v[80:83], v210 offset:64
	v_add_f64 v[140:141], v[136:137], v[142:143]
	s_waitcnt lgkmcnt(1)
	v_add_f64 v[142:143], v[138:139], v[144:145]
	ds_read_b128 v[136:139], v210 offset:80
	;; [unrolled: 4-line block ×9, first 2 shown]
	v_add_f64 v[82:83], v[144:145], v[82:83]
	s_waitcnt lgkmcnt(1)
	v_add_f64 v[136:137], v[80:81], v[136:137]
	v_add_f64 v[144:145], v[82:83], v[138:139]
	ds_read_b128 v[80:83], v210 offset:208
	s_waitcnt lgkmcnt(1)
	v_add_f64 v[146:147], v[136:137], v[140:141]
	ds_read_b128 v[136:139], v210 offset:224
	v_add_f64 v[144:145], v[144:145], v[142:143]
	ds_read_b128 v[140:143], v211
	s_waitcnt lgkmcnt(2)
	v_add_f64 v[80:81], v[146:147], v[80:81]
	v_add_f64 v[82:83], v[144:145], v[82:83]
	s_waitcnt lgkmcnt(1)
	v_add_f64 v[80:81], v[80:81], v[136:137]
	v_add_u32_e32 v136, s24, v202
	v_add_f64 v[82:83], v[82:83], v[138:139]
	v_ashrrev_i32_e32 v137, 31, v136
	s_waitcnt lgkmcnt(0)
	v_add_f64 v[80:81], v[80:81], v[140:141]
	v_add_f64 v[82:83], v[82:83], v[142:143]
	v_lshl_add_u64 v[136:137], v[136:137], 4, s[8:9]
	global_store_dwordx4 v[136:137], v[80:83], off
.LBB48_198:                             ;   in Loop: Header=BB48_148 Depth=1
	s_or_b64 exec, exec, s[4:5]
	s_nop 0
	v_mul_f64 v[80:81], v[6:7], v[34:35]
	v_fma_f64 v[80:81], v[4:5], v[32:33], -v[80:81]
	v_mul_f64 v[4:5], v[4:5], v[34:35]
	v_mul_f64 v[34:35], v[10:11], v[30:31]
	v_add_f64 v[0:1], v[0:1], v[80:81]
	v_fma_f64 v[34:35], v[8:9], v[28:29], -v[34:35]
	v_mul_f64 v[8:9], v[8:9], v[30:31]
	v_mul_f64 v[30:31], v[14:15], v[26:27]
	v_add_f64 v[0:1], v[0:1], v[34:35]
	v_fma_f64 v[30:31], v[12:13], v[24:25], -v[30:31]
	v_mul_f64 v[12:13], v[12:13], v[26:27]
	v_mul_f64 v[26:27], v[18:19], v[22:23]
	v_fmac_f64_e32 v[4:5], v[6:7], v[32:33]
	v_add_f64 v[0:1], v[0:1], v[30:31]
	v_fma_f64 v[26:27], v[16:17], v[20:21], -v[26:27]
	v_add_f64 v[2:3], v[2:3], v[4:5]
	v_mul_f64 v[4:5], v[38:39], v[66:67]
	v_add_f64 v[0:1], v[0:1], v[26:27]
	v_fma_f64 v[4:5], v[36:37], v[64:65], -v[4:5]
	v_add_f64 v[0:1], v[0:1], v[4:5]
	v_mul_f64 v[4:5], v[42:43], v[62:63]
	v_fma_f64 v[4:5], v[40:41], v[60:61], -v[4:5]
	v_add_f64 v[0:1], v[0:1], v[4:5]
	v_mul_f64 v[4:5], v[46:47], v[58:59]
	;; [unrolled: 3-line block ×4, first 2 shown]
	v_fmac_f64_e32 v[8:9], v[10:11], v[28:29]
	v_fma_f64 v[4:5], v[68:69], v[112:113], -v[4:5]
	v_mul_f64 v[16:17], v[16:17], v[22:23]
	v_add_f64 v[2:3], v[2:3], v[8:9]
	v_fmac_f64_e32 v[12:13], v[14:15], v[24:25]
	v_add_f64 v[0:1], v[0:1], v[4:5]
	v_mul_f64 v[4:5], v[74:75], v[110:111]
	v_add_f64 v[2:3], v[2:3], v[12:13]
	v_fmac_f64_e32 v[16:17], v[18:19], v[20:21]
	v_mul_f64 v[6:7], v[36:37], v[66:67]
	v_fma_f64 v[4:5], v[72:73], v[108:109], -v[4:5]
	v_add_f64 v[2:3], v[2:3], v[16:17]
	v_mul_f64 v[8:9], v[40:41], v[62:63]
	v_fmac_f64_e32 v[6:7], v[38:39], v[64:65]
	v_add_f64 v[0:1], v[0:1], v[4:5]
	v_mul_f64 v[4:5], v[78:79], v[106:107]
	v_mul_f64 v[10:11], v[44:45], v[58:59]
	v_add_f64 v[2:3], v[2:3], v[6:7]
	v_fmac_f64_e32 v[8:9], v[42:43], v[60:61]
	v_fma_f64 v[4:5], v[76:77], v[104:105], -v[4:5]
	v_mul_f64 v[12:13], v[48:49], v[54:55]
	v_add_f64 v[2:3], v[2:3], v[8:9]
	v_fmac_f64_e32 v[10:11], v[46:47], v[56:57]
	v_add_f64 v[0:1], v[0:1], v[4:5]
	v_mul_f64 v[4:5], v[98:99], v[102:103]
	v_add_f64 v[2:3], v[2:3], v[10:11]
	v_fmac_f64_e32 v[12:13], v[50:51], v[52:53]
	v_mul_f64 v[6:7], v[68:69], v[114:115]
	v_fma_f64 v[4:5], v[96:97], v[100:101], -v[4:5]
	v_add_f64 v[2:3], v[2:3], v[12:13]
	v_mul_f64 v[8:9], v[72:73], v[110:111]
	v_add_f64 v[0:1], v[0:1], v[4:5]
	v_fmac_f64_e32 v[6:7], v[70:71], v[112:113]
	v_mul_f64 v[4:5], v[118:119], v[134:135]
	v_mul_f64 v[10:11], v[76:77], v[106:107]
	v_add_f64 v[2:3], v[2:3], v[6:7]
	v_fmac_f64_e32 v[8:9], v[74:75], v[108:109]
	v_fma_f64 v[4:5], v[116:117], v[132:133], -v[4:5]
	v_mul_f64 v[12:13], v[96:97], v[102:103]
	v_add_f64 v[2:3], v[2:3], v[8:9]
	v_fmac_f64_e32 v[10:11], v[78:79], v[104:105]
	v_add_f64 v[0:1], v[0:1], v[4:5]
	v_mul_f64 v[4:5], v[122:123], v[94:95]
	v_add_f64 v[2:3], v[2:3], v[10:11]
	v_fmac_f64_e32 v[12:13], v[98:99], v[100:101]
	v_mul_f64 v[6:7], v[116:117], v[134:135]
	v_fma_f64 v[4:5], v[120:121], v[92:93], -v[4:5]
	v_add_f64 v[2:3], v[2:3], v[12:13]
	v_mul_f64 v[8:9], v[120:121], v[94:95]
	v_add_f64 v[0:1], v[0:1], v[4:5]
	v_mul_f64 v[4:5], v[126:127], v[90:91]
	v_fmac_f64_e32 v[6:7], v[118:119], v[132:133]
	v_fma_f64 v[4:5], v[124:125], v[88:89], -v[4:5]
	v_mul_f64 v[10:11], v[124:125], v[90:91]
	v_fmac_f64_e32 v[8:9], v[122:123], v[92:93]
	v_add_f64 v[2:3], v[2:3], v[6:7]
	v_add_f64 v[0:1], v[0:1], v[4:5]
	v_mul_f64 v[4:5], v[130:131], v[86:87]
	v_mul_f64 v[12:13], v[128:129], v[86:87]
	v_fmac_f64_e32 v[10:11], v[126:127], v[88:89]
	v_add_f64 v[2:3], v[2:3], v[8:9]
	v_fma_f64 v[4:5], v[128:129], v[84:85], -v[4:5]
	v_fmac_f64_e32 v[12:13], v[130:131], v[84:85]
	v_add_f64 v[2:3], v[2:3], v[10:11]
	s_add_i32 s4, s2, 1
	s_add_i32 s24, s24, 64
	;; [unrolled: 1-line block ×3, first 2 shown]
	v_add_f64 v[0:1], v[0:1], v[4:5]
	v_add_f64 v[2:3], v[2:3], v[12:13]
	v_lshl_add_u64 v[170:171], v[170:171], 0, s[10:11]
	v_lshl_add_u64 v[172:173], v[172:173], 0, s[10:11]
	;; [unrolled: 1-line block ×15, first 2 shown]
	s_cmp_ge_u32 s2, s3
	v_lshl_add_u64 v[200:201], v[200:201], 0, s[10:11]
	s_barrier
	s_cbranch_scc0 .LBB48_143
.LBB48_199:
	s_movk_i32 s2, 0x430
	v_cmp_gt_i32_e32 vcc, s18, v202
	v_mad_u32_u24 v4, v203, s2, v166
	s_or_b64 s[2:3], s[20:21], vcc
	s_and_b64 s[0:1], s[0:1], s[2:3]
	ds_write_b128 v4, v[0:3]
	s_waitcnt lgkmcnt(0)
	s_barrier
	s_and_saveexec_b64 s[2:3], s[0:1]
	s_cbranch_execz .LBB48_201
; %bb.200:
	ds_read_b128 v[0:3], v166 offset:1072
	ds_read_b128 v[4:7], v166
	ds_read_b128 v[8:11], v166 offset:2144
	ds_read_b128 v[12:15], v166 offset:3216
	s_waitcnt lgkmcnt(2)
	v_add_f64 v[0:1], v[0:1], v[4:5]
	v_add_f64 v[2:3], v[2:3], v[6:7]
	s_waitcnt lgkmcnt(1)
	v_add_f64 v[0:1], v[0:1], v[8:9]
	v_add_f64 v[2:3], v[2:3], v[10:11]
	;; [unrolled: 3-line block ×3, first 2 shown]
	v_lshl_add_u64 v[4:5], v[164:165], 4, s[8:9]
	global_store_dwordx4 v[4:5], v[0:3], off
.LBB48_201:
	s_endpgm
	.section	.rodata,"a",@progbits
	.p2align	6, 0x0
	.amdhsa_kernel _ZL26rocblas_hemvn_kernel_upperILb1ELi64ELi4ELi33ELi32ELi16ElPK19rocblas_complex_numIdEPKS3_PS1_EviT6_lT7_lT5_lS8_lS9_lS7_lT8_i
		.amdhsa_group_segment_fixed_size 19200
		.amdhsa_private_segment_fixed_size 0
		.amdhsa_kernarg_size 376
		.amdhsa_user_sgpr_count 2
		.amdhsa_user_sgpr_dispatch_ptr 0
		.amdhsa_user_sgpr_queue_ptr 0
		.amdhsa_user_sgpr_kernarg_segment_ptr 1
		.amdhsa_user_sgpr_dispatch_id 0
		.amdhsa_user_sgpr_kernarg_preload_length 0
		.amdhsa_user_sgpr_kernarg_preload_offset 0
		.amdhsa_user_sgpr_private_segment_size 0
		.amdhsa_uses_dynamic_stack 0
		.amdhsa_enable_private_segment 0
		.amdhsa_system_sgpr_workgroup_id_x 1
		.amdhsa_system_sgpr_workgroup_id_y 0
		.amdhsa_system_sgpr_workgroup_id_z 1
		.amdhsa_system_sgpr_workgroup_info 0
		.amdhsa_system_vgpr_workitem_id 1
		.amdhsa_next_free_vgpr 232
		.amdhsa_next_free_sgpr 40
		.amdhsa_accum_offset 232
		.amdhsa_reserve_vcc 1
		.amdhsa_float_round_mode_32 0
		.amdhsa_float_round_mode_16_64 0
		.amdhsa_float_denorm_mode_32 3
		.amdhsa_float_denorm_mode_16_64 3
		.amdhsa_dx10_clamp 1
		.amdhsa_ieee_mode 1
		.amdhsa_fp16_overflow 0
		.amdhsa_tg_split 0
		.amdhsa_exception_fp_ieee_invalid_op 0
		.amdhsa_exception_fp_denorm_src 0
		.amdhsa_exception_fp_ieee_div_zero 0
		.amdhsa_exception_fp_ieee_overflow 0
		.amdhsa_exception_fp_ieee_underflow 0
		.amdhsa_exception_fp_ieee_inexact 0
		.amdhsa_exception_int_div_zero 0
	.end_amdhsa_kernel
	.section	.text._ZL26rocblas_hemvn_kernel_upperILb1ELi64ELi4ELi33ELi32ELi16ElPK19rocblas_complex_numIdEPKS3_PS1_EviT6_lT7_lT5_lS8_lS9_lS7_lT8_i,"axG",@progbits,_ZL26rocblas_hemvn_kernel_upperILb1ELi64ELi4ELi33ELi32ELi16ElPK19rocblas_complex_numIdEPKS3_PS1_EviT6_lT7_lT5_lS8_lS9_lS7_lT8_i,comdat
.Lfunc_end48:
	.size	_ZL26rocblas_hemvn_kernel_upperILb1ELi64ELi4ELi33ELi32ELi16ElPK19rocblas_complex_numIdEPKS3_PS1_EviT6_lT7_lT5_lS8_lS9_lS7_lT8_i, .Lfunc_end48-_ZL26rocblas_hemvn_kernel_upperILb1ELi64ELi4ELi33ELi32ELi16ElPK19rocblas_complex_numIdEPKS3_PS1_EviT6_lT7_lT5_lS8_lS9_lS7_lT8_i
                                        ; -- End function
	.set _ZL26rocblas_hemvn_kernel_upperILb1ELi64ELi4ELi33ELi32ELi16ElPK19rocblas_complex_numIdEPKS3_PS1_EviT6_lT7_lT5_lS8_lS9_lS7_lT8_i.num_vgpr, 232
	.set _ZL26rocblas_hemvn_kernel_upperILb1ELi64ELi4ELi33ELi32ELi16ElPK19rocblas_complex_numIdEPKS3_PS1_EviT6_lT7_lT5_lS8_lS9_lS7_lT8_i.num_agpr, 0
	.set _ZL26rocblas_hemvn_kernel_upperILb1ELi64ELi4ELi33ELi32ELi16ElPK19rocblas_complex_numIdEPKS3_PS1_EviT6_lT7_lT5_lS8_lS9_lS7_lT8_i.numbered_sgpr, 40
	.set _ZL26rocblas_hemvn_kernel_upperILb1ELi64ELi4ELi33ELi32ELi16ElPK19rocblas_complex_numIdEPKS3_PS1_EviT6_lT7_lT5_lS8_lS9_lS7_lT8_i.num_named_barrier, 0
	.set _ZL26rocblas_hemvn_kernel_upperILb1ELi64ELi4ELi33ELi32ELi16ElPK19rocblas_complex_numIdEPKS3_PS1_EviT6_lT7_lT5_lS8_lS9_lS7_lT8_i.private_seg_size, 0
	.set _ZL26rocblas_hemvn_kernel_upperILb1ELi64ELi4ELi33ELi32ELi16ElPK19rocblas_complex_numIdEPKS3_PS1_EviT6_lT7_lT5_lS8_lS9_lS7_lT8_i.uses_vcc, 1
	.set _ZL26rocblas_hemvn_kernel_upperILb1ELi64ELi4ELi33ELi32ELi16ElPK19rocblas_complex_numIdEPKS3_PS1_EviT6_lT7_lT5_lS8_lS9_lS7_lT8_i.uses_flat_scratch, 0
	.set _ZL26rocblas_hemvn_kernel_upperILb1ELi64ELi4ELi33ELi32ELi16ElPK19rocblas_complex_numIdEPKS3_PS1_EviT6_lT7_lT5_lS8_lS9_lS7_lT8_i.has_dyn_sized_stack, 0
	.set _ZL26rocblas_hemvn_kernel_upperILb1ELi64ELi4ELi33ELi32ELi16ElPK19rocblas_complex_numIdEPKS3_PS1_EviT6_lT7_lT5_lS8_lS9_lS7_lT8_i.has_recursion, 0
	.set _ZL26rocblas_hemvn_kernel_upperILb1ELi64ELi4ELi33ELi32ELi16ElPK19rocblas_complex_numIdEPKS3_PS1_EviT6_lT7_lT5_lS8_lS9_lS7_lT8_i.has_indirect_call, 0
	.section	.AMDGPU.csdata,"",@progbits
; Kernel info:
; codeLenInByte = 11236
; TotalNumSgprs: 46
; NumVgprs: 232
; NumAgprs: 0
; TotalNumVgprs: 232
; ScratchSize: 0
; MemoryBound: 1
; FloatMode: 240
; IeeeMode: 1
; LDSByteSize: 19200 bytes/workgroup (compile time only)
; SGPRBlocks: 5
; VGPRBlocks: 28
; NumSGPRsForWavesPerEU: 46
; NumVGPRsForWavesPerEU: 232
; AccumOffset: 232
; Occupancy: 2
; WaveLimiterHint : 1
; COMPUTE_PGM_RSRC2:SCRATCH_EN: 0
; COMPUTE_PGM_RSRC2:USER_SGPR: 2
; COMPUTE_PGM_RSRC2:TRAP_HANDLER: 0
; COMPUTE_PGM_RSRC2:TGID_X_EN: 1
; COMPUTE_PGM_RSRC2:TGID_Y_EN: 0
; COMPUTE_PGM_RSRC2:TGID_Z_EN: 1
; COMPUTE_PGM_RSRC2:TIDIG_COMP_CNT: 1
; COMPUTE_PGM_RSRC3_GFX90A:ACCUM_OFFSET: 57
; COMPUTE_PGM_RSRC3_GFX90A:TG_SPLIT: 0
	.section	.text._ZL36rocblas_hemvn_kernel_upper_block_sumILi64ElPK19rocblas_complex_numIdEPKPS1_S1_EviT1_lS7_lT2_lT0_lPT3_i,"axG",@progbits,_ZL36rocblas_hemvn_kernel_upper_block_sumILi64ElPK19rocblas_complex_numIdEPKPS1_S1_EviT1_lS7_lT2_lT0_lPT3_i,comdat
	.globl	_ZL36rocblas_hemvn_kernel_upper_block_sumILi64ElPK19rocblas_complex_numIdEPKPS1_S1_EviT1_lS7_lT2_lT0_lPT3_i ; -- Begin function _ZL36rocblas_hemvn_kernel_upper_block_sumILi64ElPK19rocblas_complex_numIdEPKPS1_S1_EviT1_lS7_lT2_lT0_lPT3_i
	.p2align	8
	.type	_ZL36rocblas_hemvn_kernel_upper_block_sumILi64ElPK19rocblas_complex_numIdEPKPS1_S1_EviT1_lS7_lT2_lT0_lPT3_i,@function
_ZL36rocblas_hemvn_kernel_upper_block_sumILi64ElPK19rocblas_complex_numIdEPKPS1_S1_EviT1_lS7_lT2_lT0_lPT3_i: ; @_ZL36rocblas_hemvn_kernel_upper_block_sumILi64ElPK19rocblas_complex_numIdEPKPS1_S1_EviT1_lS7_lT2_lT0_lPT3_i
; %bb.0:
	s_load_dwordx8 s[4:11], s[0:1], 0x8
	s_mov_b32 s20, s3
	s_waitcnt lgkmcnt(0)
	s_mul_i32 s3, s7, s3
	s_mul_hi_u32 s7, s6, s20
	s_add_i32 s7, s7, s3
	s_mul_i32 s6, s6, s20
	s_lshl_b64 s[6:7], s[6:7], 4
	s_add_u32 s4, s4, s6
	s_addc_u32 s5, s5, s7
	s_load_dwordx4 s[12:15], s[4:5], 0x0
	s_mul_i32 s3, s11, s20
	s_mul_hi_u32 s4, s10, s20
	s_add_i32 s5, s4, s3
	s_mul_i32 s4, s10, s20
	s_lshl_b64 s[4:5], s[4:5], 4
	s_add_u32 s4, s8, s4
	s_addc_u32 s5, s9, s5
	s_load_dwordx4 s[8:11], s[4:5], 0x0
	s_waitcnt lgkmcnt(0)
	v_cmp_neq_f64_e64 s[4:5], s[12:13], 0
	v_cmp_neq_f64_e64 s[6:7], s[14:15], 0
	s_or_b64 s[4:5], s[4:5], s[6:7]
	s_mov_b64 s[6:7], -1
	s_and_b64 vcc, exec, s[4:5]
	s_cbranch_vccnz .LBB49_2
; %bb.1:
	v_cmp_neq_f64_e64 s[6:7], s[8:9], 1.0
	v_cmp_neq_f64_e64 s[16:17], s[10:11], 0
	s_or_b64 s[6:7], s[6:7], s[16:17]
.LBB49_2:
	s_andn2_b64 vcc, exec, s[6:7]
	s_cbranch_vccnz .LBB49_22
; %bb.3:
	s_load_dwordx2 s[16:17], s[0:1], 0x28
	s_mov_b32 s21, 0
	s_xor_b64 s[18:19], s[4:5], -1
	s_lshl_b64 s[24:25], s[20:21], 3
	s_load_dword s22, s[0:1], 0x0
	s_load_dwordx4 s[4:7], s[0:1], 0x30
	s_waitcnt lgkmcnt(0)
	s_add_u32 s16, s16, s24
	s_addc_u32 s17, s17, s25
	s_load_dwordx2 s[16:17], s[16:17], 0x0
	v_lshl_or_b32 v4, s2, 6, v0
	s_lshl_b64 s[4:5], s[4:5], 4
	s_waitcnt lgkmcnt(0)
	s_add_u32 s16, s16, s4
	s_addc_u32 s17, s17, s5
	s_andn2_b64 vcc, exec, s[18:19]
	v_cmp_gt_i32_e64 s[4:5], s22, v4
	s_cbranch_vccnz .LBB49_8
; %bb.4:
	s_mov_b64 s[24:25], 0
	s_mov_b64 s[18:19], 0
                                        ; implicit-def: $vgpr2_vgpr3
                                        ; implicit-def: $vgpr6_vgpr7
	s_and_saveexec_b64 s[26:27], s[4:5]
	s_cbranch_execz .LBB49_9
; %bb.5:
	v_cmp_neq_f64_e64 s[4:5], s[8:9], 0
	v_cmp_neq_f64_e64 s[18:19], s[10:11], 0
	v_ashrrev_i32_e32 v0, 31, v4
	v_mul_lo_u32 v1, s7, v4
	v_mul_lo_u32 v0, s6, v0
	v_mad_u64_u32 v[6:7], s[28:29], s6, v4, 0
	s_or_b64 s[4:5], s[4:5], s[18:19]
	v_mov_b64_e32 v[2:3], 0
	v_add3_u32 v7, v7, v0, v1
	s_andn2_b64 vcc, exec, s[4:5]
	v_mov_b64_e32 v[0:1], 0
	s_cbranch_vccnz .LBB49_7
; %bb.6:
	v_lshl_add_u64 v[0:1], v[6:7], 4, s[16:17]
	flat_load_dwordx4 v[8:11], v[0:1]
	s_waitcnt vmcnt(0) lgkmcnt(0)
	v_mul_f64 v[0:1], s[10:11], v[10:11]
	v_mul_f64 v[2:3], s[8:9], v[10:11]
	v_fma_f64 v[0:1], s[8:9], v[8:9], -v[0:1]
	v_fmac_f64_e32 v[2:3], s[10:11], v[8:9]
.LBB49_7:
	s_mov_b64 s[18:19], exec
	s_or_b64 exec, exec, s[26:27]
	s_and_b64 vcc, exec, s[24:25]
	s_cbranch_vccnz .LBB49_10
	s_branch .LBB49_20
.LBB49_8:
	s_mov_b64 s[18:19], 0
                                        ; implicit-def: $vgpr2_vgpr3
                                        ; implicit-def: $vgpr6_vgpr7
	s_cbranch_execnz .LBB49_10
	s_branch .LBB49_20
.LBB49_9:
	s_or_b64 exec, exec, s[26:27]
	s_and_b64 vcc, exec, s[24:25]
	s_cbranch_vccz .LBB49_20
.LBB49_10:
	v_cmp_gt_i32_e32 vcc, s22, v4
                                        ; implicit-def: $vgpr2_vgpr3
                                        ; implicit-def: $vgpr6_vgpr7
	s_and_saveexec_b64 s[4:5], vcc
	s_cbranch_execz .LBB49_19
; %bb.11:
	v_ashrrev_i32_e32 v5, 31, v4
	v_mov_b64_e32 v[0:1], 0
	s_cmp_lt_i32 s2, 0
	v_mov_b64_e32 v[6:7], 0
	s_cbranch_scc1 .LBB49_14
; %bb.12:
	s_load_dwordx2 s[24:25], s[0:1], 0x48
	s_load_dword s3, s[0:1], 0x58
	s_ashr_i32 s23, s22, 31
	s_mul_hi_u32 s0, s22, s20
	s_mul_i32 s1, s23, s20
	s_add_i32 s0, s0, s1
	s_mul_i32 s20, s22, s20
	s_waitcnt lgkmcnt(0)
	s_mul_i32 s0, s0, s3
	s_mul_hi_u32 s1, s20, s3
	s_add_i32 s1, s1, s0
	s_mul_i32 s0, s20, s3
	s_add_i32 s2, s2, 1
	s_lshl_b64 s[0:1], s[0:1], 4
	s_add_u32 s0, s24, s0
	s_addc_u32 s1, s25, s1
	v_lshl_add_u64 v[0:1], v[4:5], 4, s[0:1]
	v_lshl_add_u64 v[2:3], v[0:1], 0, 8
	s_lshl_b64 s[0:1], s[22:23], 4
	v_mov_b64_e32 v[0:1], 0
	v_mov_b64_e32 v[6:7], 0
.LBB49_13:                              ; =>This Inner Loop Header: Depth=1
	global_load_dwordx4 v[8:11], v[2:3], off offset:-8
	s_add_i32 s2, s2, -1
	v_lshl_add_u64 v[2:3], v[2:3], 0, s[0:1]
	s_cmp_eq_u32 s2, 0
	s_waitcnt vmcnt(0)
	v_add_f64 v[6:7], v[6:7], v[8:9]
	v_add_f64 v[0:1], v[0:1], v[10:11]
	s_cbranch_scc0 .LBB49_13
.LBB49_14:
	v_cmp_neq_f64_e64 s[2:3], s[8:9], 0
	v_cmp_neq_f64_e64 s[20:21], s[10:11], 0
	s_or_b64 s[2:3], s[2:3], s[20:21]
	v_mul_f64 v[8:9], s[14:15], v[0:1]
	v_mul_f64 v[2:3], s[12:13], v[0:1]
	s_mov_b64 s[0:1], 0
	s_andn2_b64 vcc, exec, s[2:3]
	v_fma_f64 v[0:1], s[12:13], v[6:7], -v[8:9]
	v_fmac_f64_e32 v[2:3], s[14:15], v[6:7]
	v_mul_lo_u32 v8, s7, v4
	v_mul_lo_u32 v5, s6, v5
	s_cbranch_vccz .LBB49_16
; %bb.15:
	v_mad_u64_u32 v[6:7], s[2:3], s6, v4, 0
	v_add3_u32 v7, v7, v5, v8
	s_andn2_b64 vcc, exec, s[0:1]
	s_cbranch_vccz .LBB49_17
	s_branch .LBB49_18
.LBB49_16:
                                        ; implicit-def: $vgpr6_vgpr7
.LBB49_17:
	v_mad_u64_u32 v[6:7], s[0:1], s6, v4, 0
	v_add3_u32 v7, v7, v5, v8
	v_lshl_add_u64 v[4:5], v[6:7], 4, s[16:17]
	flat_load_dwordx4 v[8:11], v[4:5]
	s_waitcnt vmcnt(0) lgkmcnt(0)
	v_mul_f64 v[4:5], s[10:11], v[10:11]
	v_mul_f64 v[10:11], s[8:9], v[10:11]
	v_fma_f64 v[4:5], s[8:9], v[8:9], -v[4:5]
	v_fmac_f64_e32 v[10:11], s[10:11], v[8:9]
	v_add_f64 v[0:1], v[0:1], v[4:5]
	v_add_f64 v[2:3], v[2:3], v[10:11]
.LBB49_18:
	s_or_b64 s[18:19], s[18:19], exec
.LBB49_19:
	s_or_b64 exec, exec, s[4:5]
.LBB49_20:
	s_and_saveexec_b64 s[0:1], s[18:19]
	s_cbranch_execz .LBB49_22
; %bb.21:
	v_lshl_add_u64 v[4:5], v[6:7], 4, s[16:17]
	flat_store_dwordx4 v[4:5], v[0:3]
.LBB49_22:
	s_endpgm
	.section	.rodata,"a",@progbits
	.p2align	6, 0x0
	.amdhsa_kernel _ZL36rocblas_hemvn_kernel_upper_block_sumILi64ElPK19rocblas_complex_numIdEPKPS1_S1_EviT1_lS7_lT2_lT0_lPT3_i
		.amdhsa_group_segment_fixed_size 0
		.amdhsa_private_segment_fixed_size 0
		.amdhsa_kernarg_size 344
		.amdhsa_user_sgpr_count 2
		.amdhsa_user_sgpr_dispatch_ptr 0
		.amdhsa_user_sgpr_queue_ptr 0
		.amdhsa_user_sgpr_kernarg_segment_ptr 1
		.amdhsa_user_sgpr_dispatch_id 0
		.amdhsa_user_sgpr_kernarg_preload_length 0
		.amdhsa_user_sgpr_kernarg_preload_offset 0
		.amdhsa_user_sgpr_private_segment_size 0
		.amdhsa_uses_dynamic_stack 0
		.amdhsa_enable_private_segment 0
		.amdhsa_system_sgpr_workgroup_id_x 1
		.amdhsa_system_sgpr_workgroup_id_y 0
		.amdhsa_system_sgpr_workgroup_id_z 1
		.amdhsa_system_sgpr_workgroup_info 0
		.amdhsa_system_vgpr_workitem_id 0
		.amdhsa_next_free_vgpr 12
		.amdhsa_next_free_sgpr 30
		.amdhsa_accum_offset 12
		.amdhsa_reserve_vcc 1
		.amdhsa_float_round_mode_32 0
		.amdhsa_float_round_mode_16_64 0
		.amdhsa_float_denorm_mode_32 3
		.amdhsa_float_denorm_mode_16_64 3
		.amdhsa_dx10_clamp 1
		.amdhsa_ieee_mode 1
		.amdhsa_fp16_overflow 0
		.amdhsa_tg_split 0
		.amdhsa_exception_fp_ieee_invalid_op 0
		.amdhsa_exception_fp_denorm_src 0
		.amdhsa_exception_fp_ieee_div_zero 0
		.amdhsa_exception_fp_ieee_overflow 0
		.amdhsa_exception_fp_ieee_underflow 0
		.amdhsa_exception_fp_ieee_inexact 0
		.amdhsa_exception_int_div_zero 0
	.end_amdhsa_kernel
	.section	.text._ZL36rocblas_hemvn_kernel_upper_block_sumILi64ElPK19rocblas_complex_numIdEPKPS1_S1_EviT1_lS7_lT2_lT0_lPT3_i,"axG",@progbits,_ZL36rocblas_hemvn_kernel_upper_block_sumILi64ElPK19rocblas_complex_numIdEPKPS1_S1_EviT1_lS7_lT2_lT0_lPT3_i,comdat
.Lfunc_end49:
	.size	_ZL36rocblas_hemvn_kernel_upper_block_sumILi64ElPK19rocblas_complex_numIdEPKPS1_S1_EviT1_lS7_lT2_lT0_lPT3_i, .Lfunc_end49-_ZL36rocblas_hemvn_kernel_upper_block_sumILi64ElPK19rocblas_complex_numIdEPKPS1_S1_EviT1_lS7_lT2_lT0_lPT3_i
                                        ; -- End function
	.set _ZL36rocblas_hemvn_kernel_upper_block_sumILi64ElPK19rocblas_complex_numIdEPKPS1_S1_EviT1_lS7_lT2_lT0_lPT3_i.num_vgpr, 12
	.set _ZL36rocblas_hemvn_kernel_upper_block_sumILi64ElPK19rocblas_complex_numIdEPKPS1_S1_EviT1_lS7_lT2_lT0_lPT3_i.num_agpr, 0
	.set _ZL36rocblas_hemvn_kernel_upper_block_sumILi64ElPK19rocblas_complex_numIdEPKPS1_S1_EviT1_lS7_lT2_lT0_lPT3_i.numbered_sgpr, 30
	.set _ZL36rocblas_hemvn_kernel_upper_block_sumILi64ElPK19rocblas_complex_numIdEPKPS1_S1_EviT1_lS7_lT2_lT0_lPT3_i.num_named_barrier, 0
	.set _ZL36rocblas_hemvn_kernel_upper_block_sumILi64ElPK19rocblas_complex_numIdEPKPS1_S1_EviT1_lS7_lT2_lT0_lPT3_i.private_seg_size, 0
	.set _ZL36rocblas_hemvn_kernel_upper_block_sumILi64ElPK19rocblas_complex_numIdEPKPS1_S1_EviT1_lS7_lT2_lT0_lPT3_i.uses_vcc, 1
	.set _ZL36rocblas_hemvn_kernel_upper_block_sumILi64ElPK19rocblas_complex_numIdEPKPS1_S1_EviT1_lS7_lT2_lT0_lPT3_i.uses_flat_scratch, 0
	.set _ZL36rocblas_hemvn_kernel_upper_block_sumILi64ElPK19rocblas_complex_numIdEPKPS1_S1_EviT1_lS7_lT2_lT0_lPT3_i.has_dyn_sized_stack, 0
	.set _ZL36rocblas_hemvn_kernel_upper_block_sumILi64ElPK19rocblas_complex_numIdEPKPS1_S1_EviT1_lS7_lT2_lT0_lPT3_i.has_recursion, 0
	.set _ZL36rocblas_hemvn_kernel_upper_block_sumILi64ElPK19rocblas_complex_numIdEPKPS1_S1_EviT1_lS7_lT2_lT0_lPT3_i.has_indirect_call, 0
	.section	.AMDGPU.csdata,"",@progbits
; Kernel info:
; codeLenInByte = 828
; TotalNumSgprs: 36
; NumVgprs: 12
; NumAgprs: 0
; TotalNumVgprs: 12
; ScratchSize: 0
; MemoryBound: 0
; FloatMode: 240
; IeeeMode: 1
; LDSByteSize: 0 bytes/workgroup (compile time only)
; SGPRBlocks: 4
; VGPRBlocks: 1
; NumSGPRsForWavesPerEU: 36
; NumVGPRsForWavesPerEU: 12
; AccumOffset: 12
; Occupancy: 8
; WaveLimiterHint : 1
; COMPUTE_PGM_RSRC2:SCRATCH_EN: 0
; COMPUTE_PGM_RSRC2:USER_SGPR: 2
; COMPUTE_PGM_RSRC2:TRAP_HANDLER: 0
; COMPUTE_PGM_RSRC2:TGID_X_EN: 1
; COMPUTE_PGM_RSRC2:TGID_Y_EN: 0
; COMPUTE_PGM_RSRC2:TGID_Z_EN: 1
; COMPUTE_PGM_RSRC2:TIDIG_COMP_CNT: 0
; COMPUTE_PGM_RSRC3_GFX90A:ACCUM_OFFSET: 2
; COMPUTE_PGM_RSRC3_GFX90A:TG_SPLIT: 0
	.section	.text._ZL26rocblas_hemvn_kernel_upperILb1ELi64ELi4ELi33ELi32ELi16EiPK19rocblas_complex_numIdEPKS3_PS1_EviT6_lT7_lT5_lS8_lS9_lS7_lT8_i,"axG",@progbits,_ZL26rocblas_hemvn_kernel_upperILb1ELi64ELi4ELi33ELi32ELi16EiPK19rocblas_complex_numIdEPKS3_PS1_EviT6_lT7_lT5_lS8_lS9_lS7_lT8_i,comdat
	.globl	_ZL26rocblas_hemvn_kernel_upperILb1ELi64ELi4ELi33ELi32ELi16EiPK19rocblas_complex_numIdEPKS3_PS1_EviT6_lT7_lT5_lS8_lS9_lS7_lT8_i ; -- Begin function _ZL26rocblas_hemvn_kernel_upperILb1ELi64ELi4ELi33ELi32ELi16EiPK19rocblas_complex_numIdEPKS3_PS1_EviT6_lT7_lT5_lS8_lS9_lS7_lT8_i
	.p2align	8
	.type	_ZL26rocblas_hemvn_kernel_upperILb1ELi64ELi4ELi33ELi32ELi16EiPK19rocblas_complex_numIdEPKS3_PS1_EviT6_lT7_lT5_lS8_lS9_lS7_lT8_i,@function
_ZL26rocblas_hemvn_kernel_upperILb1ELi64ELi4ELi33ELi32ELi16EiPK19rocblas_complex_numIdEPKS3_PS1_EviT6_lT7_lT5_lS8_lS9_lS7_lT8_i: ; @_ZL26rocblas_hemvn_kernel_upperILb1ELi64ELi4ELi33ELi32ELi16EiPK19rocblas_complex_numIdEPKS3_PS1_EviT6_lT7_lT5_lS8_lS9_lS7_lT8_i
; %bb.0:
	s_load_dwordx2 s[4:5], s[0:1], 0x84
	s_add_u32 s12, s0, 0x78
	s_mov_b32 s20, s3
	s_addc_u32 s13, s1, 0
	s_waitcnt lgkmcnt(0)
	s_and_b32 s3, s5, 0xffff
	s_lshr_b32 s5, s4, 16
	s_and_b32 s4, s4, 0xffff
	s_mul_i32 s4, s5, s4
	s_mul_i32 s4, s4, s3
	s_cmpk_lg_i32 s4, 0x100
	s_cbranch_scc1 .LBB50_201
; %bb.1:
	s_load_dwordx8 s[4:11], s[0:1], 0x8
	s_mov_b32 s21, 0
	s_waitcnt lgkmcnt(0)
	s_mul_i32 s3, s7, s20
	s_mul_hi_u32 s7, s6, s20
	s_mul_i32 s6, s6, s20
	s_add_i32 s7, s7, s3
	s_lshl_b64 s[6:7], s[6:7], 4
	s_add_u32 s14, s4, s6
	s_addc_u32 s15, s5, s7
	s_load_dwordx4 s[16:19], s[14:15], 0x0
	s_load_dwordx2 s[22:23], s[0:1], 0x68
	s_load_dwordx4 s[4:7], s[0:1], 0x58
	s_waitcnt lgkmcnt(0)
	v_cmp_neq_f64_e64 s[14:15], s[16:17], 0
	v_cmp_neq_f64_e64 s[16:17], s[18:19], 0
	s_or_b64 s[16:17], s[14:15], s[16:17]
	s_mov_b64 s[14:15], -1
	s_and_b64 vcc, exec, s[16:17]
	s_cbranch_vccnz .LBB50_3
; %bb.2:
	s_mul_i32 s3, s7, s20
	s_mul_hi_u32 s7, s6, s20
	s_add_i32 s7, s7, s3
	s_mul_i32 s6, s6, s20
	s_lshl_b64 s[6:7], s[6:7], 4
	s_add_u32 s14, s4, s6
	s_addc_u32 s15, s5, s7
	s_load_dwordx4 s[4:7], s[14:15], 0x0
	s_mov_b64 s[14:15], 0
	s_waitcnt lgkmcnt(0)
	v_cmp_eq_f64_e64 s[4:5], s[4:5], 1.0
	v_cmp_eq_f64_e64 s[6:7], s[6:7], 0
	s_and_b64 s[4:5], s[4:5], s[6:7]
	s_andn2_b64 vcc, exec, s[4:5]
.LBB50_3:
	s_andn2_b64 vcc, exec, s[14:15]
	s_cbranch_vccnz .LBB50_201
; %bb.4:
	s_load_dwordx4 s[4:7], s[0:1], 0x38
	s_load_dword s36, s[0:1], 0x48
	s_lshl_b64 s[14:15], s[20:21], 3
	s_add_u32 s8, s8, s14
	s_addc_u32 s9, s9, s15
	s_waitcnt lgkmcnt(0)
	s_add_u32 s14, s4, s14
	s_addc_u32 s15, s5, s15
	s_load_dwordx2 s[16:17], s[14:15], 0x0
	s_load_dword s21, s[0:1], 0x0
	s_load_dword s3, s[12:13], 0x0
	s_load_dwordx2 s[4:5], s[8:9], 0x0
	s_lshl_b64 s[6:7], s[6:7], 4
	s_waitcnt lgkmcnt(0)
	s_add_u32 s6, s16, s6
	s_addc_u32 s7, s17, s7
	s_ashr_i32 s37, s21, 31
	s_lshr_b32 s9, s37, 26
	v_and_b32_e32 v166, 0x3ff, v0
	s_lshl_b32 s26, s2, 6
	s_add_i32 s9, s21, s9
	s_andn2_b32 s9, s9, 63
	v_add_u32_e32 v164, s26, v166
	v_bfe_u32 v165, v0, 10, 10
	s_add_i32 s8, s3, -1
	s_sub_i32 s33, s21, s9
	v_mul_lo_u32 v0, s36, v164
	s_cmp_eq_u32 s2, s8
	v_ashrrev_i32_e32 v1, 31, v0
	s_cselect_b32 s16, s33, 0
	v_lshl_add_u64 v[38:39], v[0:1], 4, s[6:7]
	v_cmp_eq_u32_e64 s[12:13], 0, v165
	s_and_saveexec_b64 s[6:7], s[12:13]
	s_cbranch_execz .LBB50_9
; %bb.5:
	s_cmp_lg_u32 s16, 0
	s_cselect_b64 s[8:9], -1, 0
	v_cmp_le_i32_e32 vcc, s16, v166
	v_mov_b32_e32 v0, 0x4700
	s_and_b64 s[8:9], s[8:9], vcc
	v_lshl_add_u32 v0, v166, 4, v0
	s_and_saveexec_b64 s[14:15], s[8:9]
	s_xor_b64 s[8:9], exec, s[14:15]
; %bb.6:
	v_mov_b32_e32 v2, 0
	v_mov_b32_e32 v3, v2
	;; [unrolled: 1-line block ×4, first 2 shown]
	ds_write_b128 v0, v[2:5]
                                        ; implicit-def: $vgpr0
; %bb.7:
	s_andn2_saveexec_b64 s[8:9], s[8:9]
	s_cbranch_execz .LBB50_9
; %bb.8:
	flat_load_dwordx4 v[2:5], v[38:39]
	s_waitcnt vmcnt(0) lgkmcnt(0)
	ds_write2_b64 v0, v[2:3], v[4:5] offset1:1
.LBB50_9:
	s_or_b64 exec, exec, s[6:7]
	s_lshl_b64 s[6:7], s[10:11], 4
	s_load_dword s24, s[0:1], 0x28
	s_add_u32 s4, s4, s6
	s_addc_u32 s5, s5, s7
	s_ashr_i32 s27, s26, 31
	v_lshl_add_u32 v42, v165, 6, v166
	s_lshl_b64 s[0:1], s[26:27], 4
	v_and_b32_e32 v10, 31, v166
	v_lshrrev_b32_e32 v11, 5, v42
	s_add_u32 s0, s4, s0
	s_addc_u32 s1, s5, s1
	s_waitcnt lgkmcnt(0)
	v_mad_u64_u32 v[36:37], s[4:5], s24, v11, v[10:11]
	v_ashrrev_i32_e32 v37, 31, v36
	v_lshl_add_u64 v[0:1], v[36:37], 4, s[0:1]
	s_mul_i32 s0, s24, s26
	s_ashr_i32 s1, s0, 31
	s_cmp_eq_u32 s16, 0
	s_cselect_b64 s[18:19], -1, 0
	s_cmp_lg_u32 s16, 0
	s_cselect_b64 s[28:29], -1, 0
	v_lshl_add_u64 v[0:1], s[0:1], 4, v[0:1]
	s_and_b64 vcc, exec, s[28:29]
	v_cmp_gt_i32_e64 s[0:1], s16, v10
	v_lshlrev_b32_e32 v8, 4, v10
	s_cbranch_vccz .LBB50_27
; %bb.10:
	v_sub_co_u32_e32 v2, vcc, v0, v8
	s_ashr_i32 s17, s16, 31
	s_nop 0
	v_subbrev_co_u32_e32 v3, vcc, 0, v1, vcc
	v_lshl_add_u64 v[2:3], s[16:17], 4, v[2:3]
	v_lshl_add_u64 v[2:3], v[2:3], 0, -16
	s_movk_i32 s4, 0x210
	v_cndmask_b32_e64 v3, v3, v1, s[0:1]
	v_cndmask_b32_e64 v2, v2, v0, s[0:1]
	v_cmp_le_i32_e32 vcc, s16, v11
	v_mad_u32_u24 v5, v11, s4, v8
	s_and_saveexec_b64 s[4:5], vcc
	s_xor_b64 s[4:5], exec, s[4:5]
; %bb.11:
	v_mov_b32_e32 v12, 0
	v_mov_b32_e32 v13, v12
	;; [unrolled: 1-line block ×4, first 2 shown]
	ds_write_b128 v5, v[12:15]
                                        ; implicit-def: $vgpr5
; %bb.12:
	s_or_saveexec_b64 s[4:5], s[4:5]
	v_mul_u32_u24_e32 v4, 0x210, v11
	s_xor_b64 exec, exec, s[4:5]
	s_cbranch_execz .LBB50_14
; %bb.13:
	flat_load_dwordx4 v[12:15], v[2:3]
	s_waitcnt vmcnt(0) lgkmcnt(0)
	ds_write2_b64 v5, v[12:13], v[14:15] offset1:1
.LBB50_14:
	s_or_b64 exec, exec, s[4:5]
	v_add_u32_e32 v5, 8, v11
	v_cmp_le_i32_e32 vcc, s16, v5
	v_add_u32_e32 v5, v4, v8
	s_and_saveexec_b64 s[4:5], vcc
	s_xor_b64 s[4:5], exec, s[4:5]
; %bb.15:
	v_mov_b32_e32 v12, 0
	v_mov_b32_e32 v13, v12
	;; [unrolled: 1-line block ×4, first 2 shown]
	ds_write_b128 v5, v[12:15] offset:4224
; %bb.16:
	s_andn2_saveexec_b64 s[4:5], s[4:5]
	s_cbranch_execz .LBB50_18
; %bb.17:
	s_lshl_b32 s6, s24, 3
	s_ashr_i32 s7, s6, 31
	v_lshl_add_u64 v[6:7], s[6:7], 4, v[2:3]
	flat_load_dwordx4 v[12:15], v[6:7]
	s_movk_i32 s6, 0x1080
	v_add3_u32 v6, v4, v8, s6
	s_waitcnt vmcnt(0) lgkmcnt(0)
	ds_write2_b64 v6, v[12:13], v[14:15] offset1:1
.LBB50_18:
	s_or_b64 exec, exec, s[4:5]
	v_add_u32_e32 v6, 16, v11
	v_cmp_le_i32_e32 vcc, s16, v6
	s_and_saveexec_b64 s[4:5], vcc
	s_xor_b64 s[4:5], exec, s[4:5]
; %bb.19:
	v_mov_b32_e32 v12, 0
	v_mov_b32_e32 v13, v12
	;; [unrolled: 1-line block ×4, first 2 shown]
	ds_write_b128 v5, v[12:15] offset:8448
; %bb.20:
	s_andn2_saveexec_b64 s[4:5], s[4:5]
	s_cbranch_execz .LBB50_22
; %bb.21:
	s_lshl_b32 s6, s24, 4
	s_ashr_i32 s7, s6, 31
	v_lshl_add_u64 v[6:7], s[6:7], 4, v[2:3]
	flat_load_dwordx4 v[12:15], v[6:7]
	s_movk_i32 s6, 0x2100
	v_add3_u32 v6, v4, v8, s6
	s_waitcnt vmcnt(0) lgkmcnt(0)
	ds_write2_b64 v6, v[12:13], v[14:15] offset1:1
.LBB50_22:
	s_or_b64 exec, exec, s[4:5]
	v_add_u32_e32 v6, 24, v11
	v_cmp_le_i32_e32 vcc, s16, v6
	s_and_saveexec_b64 s[4:5], vcc
	s_xor_b64 s[4:5], exec, s[4:5]
; %bb.23:
	v_mov_b32_e32 v12, 0
	v_mov_b32_e32 v13, v12
	;; [unrolled: 1-line block ×4, first 2 shown]
	ds_write_b128 v5, v[12:15] offset:12672
                                        ; implicit-def: $vgpr4
; %bb.24:
	s_andn2_saveexec_b64 s[4:5], s[4:5]
	s_cbranch_execz .LBB50_26
; %bb.25:
	s_mul_i32 s6, s24, 24
	s_ashr_i32 s7, s6, 31
	v_lshl_add_u64 v[6:7], s[6:7], 4, v[2:3]
	flat_load_dwordx4 v[12:15], v[6:7]
	s_movk_i32 s6, 0x3180
	v_add3_u32 v4, v4, v8, s6
	s_waitcnt vmcnt(0) lgkmcnt(0)
	ds_write2_b64 v4, v[12:13], v[14:15] offset1:1
.LBB50_26:
	s_or_b64 exec, exec, s[4:5]
	v_mov_b32_e32 v9, 0
	v_lshl_add_u64 v[2:3], v[2:3], 0, v[8:9]
	s_lshl_b64 s[4:5], s[16:17], 4
	v_mov_b32_e32 v4, s5
	v_subrev_co_u32_e32 v2, vcc, s4, v2
	s_nop 1
	v_subb_co_u32_e32 v3, vcc, v3, v4, vcc
	v_lshl_add_u64 v[2:3], v[2:3], 0, 16
	v_cndmask_b32_e64 v5, v3, v1, s[0:1]
	v_cndmask_b32_e64 v4, v2, v0, s[0:1]
	s_branch .LBB50_29
.LBB50_27:
                                        ; implicit-def: $vgpr4_vgpr5
	s_cbranch_execz .LBB50_29
; %bb.28:
	flat_load_dwordx4 v[2:5], v[0:1]
	v_mul_u32_u24_e32 v6, 0x210, v11
	s_lshl_b32 s0, s24, 3
	v_lshl_add_u32 v9, v10, 4, v6
	s_ashr_i32 s1, s0, 31
	v_lshl_add_u64 v[6:7], s[0:1], 4, v[0:1]
	s_ashr_i32 s25, s24, 31
	s_lshl_b64 s[0:1], s[24:25], 7
	v_add_u32_e32 v12, 0x1080, v9
	s_waitcnt vmcnt(0) lgkmcnt(0)
	ds_write2_b64 v9, v[2:3], v[4:5] offset1:1
	flat_load_dwordx4 v[2:5], v[6:7]
	v_lshl_add_u64 v[6:7], v[6:7], 0, s[0:1]
	s_waitcnt vmcnt(0) lgkmcnt(0)
	ds_write2_b64 v12, v[2:3], v[4:5] offset1:1
	flat_load_dwordx4 v[2:5], v[6:7]
	v_add_u32_e32 v12, 0x2100, v9
	v_lshl_add_u64 v[6:7], v[6:7], 0, s[0:1]
	s_waitcnt vmcnt(0) lgkmcnt(0)
	ds_write2_b64 v12, v[2:3], v[4:5] offset1:1
	flat_load_dwordx4 v[2:5], v[6:7]
	v_add_u32_e32 v6, 0x3180, v9
	s_waitcnt vmcnt(0) lgkmcnt(0)
	ds_write2_b64 v6, v[2:3], v[4:5] offset1:1
	v_mov_b64_e32 v[4:5], v[0:1]
.LBB50_29:
	v_lshlrev_b32_e32 v15, 2, v11
	v_mul_u32_u24_e32 v14, 0x210, v10
	v_cmp_le_u32_e64 s[4:5], v15, v10
	s_mov_b64 s[0:1], 0
	s_waitcnt lgkmcnt(0)
	s_barrier
                                        ; implicit-def: $vgpr0
	s_and_saveexec_b64 s[6:7], s[4:5]
	s_xor_b64 s[6:7], exec, s[6:7]
	s_cbranch_execz .LBB50_33
; %bb.30:
	v_cmp_eq_u32_e32 vcc, v15, v10
                                        ; implicit-def: $vgpr0
	s_and_saveexec_b64 s[8:9], vcc
	s_xor_b64 s[8:9], exec, s[8:9]
; %bb.31:
	s_mov_b64 s[0:1], exec
	v_add_u32_e32 v0, v8, v14
; %bb.32:
	s_or_b64 exec, exec, s[8:9]
	s_and_b64 s[0:1], s[0:1], exec
.LBB50_33:
	s_or_saveexec_b64 s[6:7], s[6:7]
	v_lshl_or_b32 v1, v10, 9, v8
	v_mov_b64_e32 v[2:3], 0
	v_lshl_add_u32 v6, v15, 4, v1
	s_xor_b64 exec, exec, s[6:7]
	s_cbranch_execz .LBB50_35
; %bb.34:
	s_movk_i32 s8, 0x840
	v_mad_u32_u24 v0, v11, s8, v8
	ds_read_b128 v[0:3], v0
	s_or_b64 s[0:1], s[0:1], exec
	s_waitcnt lgkmcnt(0)
	v_xor_b32_e32 v3, 0x80000000, v3
	ds_write_b64 v6, v[0:1]
	v_mov_b32_e32 v0, v6
.LBB50_35:
	s_or_b64 exec, exec, s[6:7]
	s_and_saveexec_b64 s[6:7], s[0:1]
; %bb.36:
	ds_write_b64 v0, v[2:3] offset:8
; %bb.37:
	s_or_b64 exec, exec, s[6:7]
	v_or_b32_e32 v16, 1, v15
	v_cmp_ge_u32_e64 s[6:7], v15, v10
	s_mov_b64 s[0:1], 0
                                        ; implicit-def: $vgpr2_vgpr3
                                        ; implicit-def: $vgpr7
	s_and_saveexec_b64 s[8:9], s[6:7]
	s_xor_b64 s[8:9], exec, s[8:9]
	s_cbranch_execz .LBB50_73
; %bb.38:
	s_movk_i32 s10, 0x210
	v_mad_u32_u24 v0, v16, s10, v8
	ds_read_b128 v[0:3], v0
	s_mov_b64 s[0:1], exec
	v_add_u32_e32 v7, 16, v6
	s_waitcnt lgkmcnt(0)
	v_xor_b32_e32 v3, 0x80000000, v3
	ds_write_b64 v6, v[0:1] offset:16
	s_andn2_saveexec_b64 s[8:9], s[8:9]
	s_cbranch_execnz .LBB50_74
.LBB50_39:
	s_or_b64 exec, exec, s[8:9]
	s_and_saveexec_b64 s[8:9], s[0:1]
.LBB50_40:
	ds_write_b64 v7, v[2:3] offset:8
.LBB50_41:
	s_or_b64 exec, exec, s[8:9]
	v_or_b32_e32 v17, 2, v15
	v_cmp_le_u32_e64 s[8:9], v17, v10
	s_mov_b64 s[0:1], 0
                                        ; implicit-def: $vgpr7
	s_and_saveexec_b64 s[10:11], s[8:9]
	s_xor_b64 s[10:11], exec, s[10:11]
	s_cbranch_execz .LBB50_77
; %bb.42:
	v_cmp_eq_u32_e32 vcc, v17, v10
                                        ; implicit-def: $vgpr7
	s_and_saveexec_b64 s[14:15], vcc
; %bb.43:
	s_mov_b64 s[0:1], exec
	v_add_u32_e32 v7, v8, v14
; %bb.44:
	s_or_b64 exec, exec, s[14:15]
	s_and_b64 s[0:1], s[0:1], exec
	s_or_saveexec_b64 s[10:11], s[10:11]
	v_mov_b64_e32 v[2:3], 0
	s_xor_b64 exec, exec, s[10:11]
	s_cbranch_execnz .LBB50_78
.LBB50_45:
	s_or_b64 exec, exec, s[10:11]
	s_and_saveexec_b64 s[10:11], s[0:1]
.LBB50_46:
	ds_write_b64 v7, v[2:3] offset:8
.LBB50_47:
	s_or_b64 exec, exec, s[10:11]
	v_or_b32_e32 v18, 3, v15
	v_cmp_le_u32_e64 s[10:11], v18, v10
	s_mov_b64 s[0:1], 0
                                        ; implicit-def: $vgpr7
	s_and_saveexec_b64 s[14:15], s[10:11]
	s_xor_b64 s[14:15], exec, s[14:15]
	s_cbranch_execz .LBB50_79
; %bb.48:
	v_cmp_eq_u32_e32 vcc, v18, v10
                                        ; implicit-def: $vgpr7
	s_and_saveexec_b64 s[30:31], vcc
; %bb.49:
	s_mov_b64 s[0:1], exec
	v_add_u32_e32 v7, v8, v14
; %bb.50:
	s_or_b64 exec, exec, s[30:31]
	s_and_b64 s[0:1], s[0:1], exec
                                        ; implicit-def: $vgpr6
	s_or_saveexec_b64 s[14:15], s[14:15]
	v_mov_b64_e32 v[2:3], 0
	s_xor_b64 exec, exec, s[14:15]
	s_cbranch_execnz .LBB50_80
.LBB50_51:
	s_or_b64 exec, exec, s[14:15]
	s_and_saveexec_b64 s[14:15], s[0:1]
.LBB50_52:
	ds_write_b64 v7, v[2:3] offset:8
.LBB50_53:
	s_or_b64 exec, exec, s[14:15]
	s_movk_i32 s0, 0x840
	v_lshlrev_b32_e32 v19, 4, v15
	s_waitcnt lgkmcnt(0)
	s_barrier
	v_mad_u32_u24 v6, v11, s0, v8
	ds_read_b128 v[0:3], v19 offset:18176
	ds_read_b128 v[20:23], v6
	ds_read_b128 v[24:27], v19 offset:18192
	ds_read_b128 v[28:31], v19 offset:18208
	s_movk_i32 s0, 0x210
	v_mad_u32_u24 v9, v16, s0, v8
	s_waitcnt lgkmcnt(2)
	v_mul_f64 v[6:7], v[2:3], v[22:23]
	v_mul_f64 v[12:13], v[0:1], v[22:23]
	v_fma_f64 v[6:7], v[0:1], v[20:21], -v[6:7]
	v_fmac_f64_e32 v[12:13], v[2:3], v[20:21]
	ds_read_b128 v[20:23], v19 offset:18224
	ds_read_b128 v[32:35], v9
	v_add_f64 v[2:3], v[6:7], 0
	v_add_f64 v[6:7], v[12:13], 0
	ds_read_b128 v[44:47], v9 offset:528
	v_mov_b64_e32 v[0:1], 0
	s_waitcnt lgkmcnt(1)
	v_mul_f64 v[12:13], v[26:27], v[34:35]
	v_fma_f64 v[12:13], v[24:25], v[32:33], -v[12:13]
	v_mul_f64 v[24:25], v[24:25], v[34:35]
	v_fmac_f64_e32 v[24:25], v[26:27], v[32:33]
	v_add_f64 v[6:7], v[6:7], v[24:25]
	ds_read_b128 v[24:27], v9 offset:1056
	v_add_f64 v[2:3], v[2:3], v[12:13]
	s_waitcnt lgkmcnt(1)
	v_mul_f64 v[12:13], v[30:31], v[46:47]
	v_fma_f64 v[12:13], v[28:29], v[44:45], -v[12:13]
	v_add_f64 v[2:3], v[2:3], v[12:13]
	s_waitcnt lgkmcnt(0)
	v_mul_f64 v[12:13], v[22:23], v[26:27]
	v_mul_f64 v[28:29], v[28:29], v[46:47]
	v_fma_f64 v[12:13], v[20:21], v[24:25], -v[12:13]
	v_fmac_f64_e32 v[28:29], v[30:31], v[44:45]
	v_mul_f64 v[26:27], v[20:21], v[26:27]
	v_add_f64 v[20:21], v[2:3], v[12:13]
	v_mul_u32_u24_e32 v2, 33, v10
	v_add_f64 v[6:7], v[6:7], v[28:29]
	v_fmac_f64_e32 v[26:27], v[22:23], v[24:25]
	v_lshlrev_b32_e32 v43, 4, v2
	v_add_f64 v[22:23], v[6:7], v[26:27]
	v_lshl_add_u32 v44, v11, 4, v43
	v_cmp_gt_u32_e64 s[0:1], 32, v42
	v_mov_b64_e32 v[2:3], 0
	s_barrier
	ds_write_b128 v44, v[20:23]
	s_waitcnt lgkmcnt(0)
	s_barrier
	s_and_saveexec_b64 s[14:15], s[0:1]
	s_cbranch_execz .LBB50_55
; %bb.54:
	ds_read_b128 v[0:3], v43
	ds_read_b128 v[20:23], v43 offset:16
	ds_read_b128 v[24:27], v43 offset:32
	;; [unrolled: 1-line block ×3, first 2 shown]
	s_waitcnt lgkmcnt(2)
	v_add_f64 v[0:1], v[20:21], v[0:1]
	v_add_f64 v[6:7], v[22:23], v[2:3]
	s_waitcnt lgkmcnt(1)
	v_add_f64 v[12:13], v[0:1], v[24:25]
	ds_read_b128 v[0:3], v43 offset:64
	ds_read_b128 v[20:23], v43 offset:80
	v_add_f64 v[6:7], v[6:7], v[26:27]
	s_waitcnt lgkmcnt(2)
	v_add_f64 v[12:13], v[12:13], v[28:29]
	v_add_f64 v[6:7], v[6:7], v[30:31]
	ds_read_b128 v[24:27], v43 offset:96
	s_waitcnt lgkmcnt(2)
	v_add_f64 v[12:13], v[12:13], v[0:1]
	v_add_f64 v[6:7], v[6:7], v[2:3]
	ds_read_b128 v[0:3], v43 offset:112
	s_waitcnt lgkmcnt(2)
	v_add_f64 v[12:13], v[12:13], v[20:21]
	v_add_f64 v[6:7], v[6:7], v[22:23]
	s_waitcnt lgkmcnt(1)
	v_add_f64 v[12:13], v[12:13], v[24:25]
	v_add_f64 v[6:7], v[6:7], v[26:27]
	;; [unrolled: 3-line block ×3, first 2 shown]
.LBB50_55:
	s_or_b64 exec, exec, s[14:15]
	s_lshl_b32 s30, s24, 5
	s_ashr_i32 s31, s30, 31
	v_lshl_add_u64 v[6:7], s[30:31], 4, v[4:5]
	s_mov_b64 s[14:15], 0x200
	v_lshl_add_u64 v[4:5], v[6:7], 0, s[14:15]
	s_and_b64 vcc, exec, s[28:29]
	s_barrier
	s_cbranch_vccz .LBB50_81
; %bb.56:
	v_sub_co_u32_e32 v12, vcc, v6, v8
	s_ashr_i32 s17, s16, 31
	s_nop 0
	v_subbrev_co_u32_e32 v13, vcc, 0, v7, vcc
	v_or_b32_e32 v9, 32, v10
	v_lshl_add_u64 v[12:13], s[16:17], 4, v[12:13]
	v_lshl_add_u64 v[12:13], v[12:13], 0, -16
	v_cmp_gt_i32_e32 vcc, s16, v9
	s_sub_i32 s25, s16, 32
	s_movk_i32 s27, 0x210
	v_cndmask_b32_e32 v13, v13, v5, vcc
	v_cndmask_b32_e32 v12, v12, v4, vcc
	v_cmp_le_i32_e64 s[14:15], s25, v11
	v_mad_u32_u24 v20, v11, s27, v8
	s_and_saveexec_b64 s[34:35], s[14:15]
	s_xor_b64 s[14:15], exec, s[34:35]
; %bb.57:
	v_mov_b32_e32 v22, 0
	v_mov_b32_e32 v23, v22
	;; [unrolled: 1-line block ×4, first 2 shown]
	ds_write_b128 v20, v[22:25]
                                        ; implicit-def: $vgpr20
; %bb.58:
	s_or_saveexec_b64 s[14:15], s[14:15]
	v_mul_u32_u24_e32 v9, 0x210, v11
	s_xor_b64 exec, exec, s[14:15]
	s_cbranch_execz .LBB50_60
; %bb.59:
	flat_load_dwordx4 v[22:25], v[12:13]
	s_waitcnt vmcnt(0) lgkmcnt(0)
	ds_write2_b64 v20, v[22:23], v[24:25] offset1:1
.LBB50_60:
	s_or_b64 exec, exec, s[14:15]
	v_add_u32_e32 v20, 8, v11
	v_cmp_le_i32_e64 s[14:15], s25, v20
	v_add_u32_e32 v20, v9, v8
	s_and_saveexec_b64 s[34:35], s[14:15]
	s_xor_b64 s[14:15], exec, s[34:35]
; %bb.61:
	v_mov_b32_e32 v22, 0
	v_mov_b32_e32 v23, v22
	;; [unrolled: 1-line block ×4, first 2 shown]
	ds_write_b128 v20, v[22:25] offset:4224
; %bb.62:
	s_andn2_saveexec_b64 s[14:15], s[14:15]
	s_cbranch_execz .LBB50_64
; %bb.63:
	s_lshl_b32 s34, s24, 3
	s_ashr_i32 s35, s34, 31
	v_lshl_add_u64 v[22:23], s[34:35], 4, v[12:13]
	flat_load_dwordx4 v[22:25], v[22:23]
	s_movk_i32 s27, 0x1080
	v_add3_u32 v21, v9, v8, s27
	s_waitcnt vmcnt(0) lgkmcnt(0)
	ds_write2_b64 v21, v[22:23], v[24:25] offset1:1
.LBB50_64:
	s_or_b64 exec, exec, s[14:15]
	v_add_u32_e32 v21, 16, v11
	v_cmp_le_i32_e64 s[14:15], s25, v21
	s_and_saveexec_b64 s[34:35], s[14:15]
	s_xor_b64 s[14:15], exec, s[34:35]
; %bb.65:
	v_mov_b32_e32 v22, 0
	v_mov_b32_e32 v23, v22
	;; [unrolled: 1-line block ×4, first 2 shown]
	ds_write_b128 v20, v[22:25] offset:8448
; %bb.66:
	s_andn2_saveexec_b64 s[14:15], s[14:15]
	s_cbranch_execz .LBB50_68
; %bb.67:
	s_lshl_b32 s34, s24, 4
	s_ashr_i32 s35, s34, 31
	v_lshl_add_u64 v[22:23], s[34:35], 4, v[12:13]
	flat_load_dwordx4 v[22:25], v[22:23]
	s_movk_i32 s27, 0x2100
	v_add3_u32 v21, v9, v8, s27
	s_waitcnt vmcnt(0) lgkmcnt(0)
	ds_write2_b64 v21, v[22:23], v[24:25] offset1:1
.LBB50_68:
	s_or_b64 exec, exec, s[14:15]
	v_add_u32_e32 v21, 24, v11
	v_cmp_le_i32_e64 s[14:15], s25, v21
	s_and_saveexec_b64 s[34:35], s[14:15]
	s_xor_b64 s[14:15], exec, s[34:35]
; %bb.69:
	v_mov_b32_e32 v22, 0
	v_mov_b32_e32 v23, v22
	;; [unrolled: 1-line block ×4, first 2 shown]
	ds_write_b128 v20, v[22:25] offset:12672
                                        ; implicit-def: $vgpr9
; %bb.70:
	s_andn2_saveexec_b64 s[14:15], s[14:15]
	s_cbranch_execz .LBB50_72
; %bb.71:
	s_mul_i32 s34, s24, 24
	s_ashr_i32 s35, s34, 31
	v_lshl_add_u64 v[20:21], s[34:35], 4, v[12:13]
	flat_load_dwordx4 v[20:23], v[20:21]
	s_movk_i32 s25, 0x3180
	v_add3_u32 v9, v9, v8, s25
	s_waitcnt vmcnt(0) lgkmcnt(0)
	ds_write2_b64 v9, v[20:21], v[22:23] offset1:1
.LBB50_72:
	s_or_b64 exec, exec, s[14:15]
	v_mov_b32_e32 v9, 0
	v_lshl_add_u64 v[12:13], v[12:13], 0, v[8:9]
	s_lshl_b64 s[14:15], s[16:17], 4
	v_mov_b32_e32 v9, s15
	v_subrev_co_u32_e64 v12, s[14:15], s14, v12
	s_nop 1
	v_subb_co_u32_e64 v13, s[14:15], v13, v9, s[14:15]
	s_mov_b64 s[14:15], 0x210
	s_nop 0
	v_lshl_add_u64 v[12:13], v[12:13], 0, s[14:15]
	v_cndmask_b32_e32 v13, v13, v5, vcc
	v_cndmask_b32_e32 v12, v12, v4, vcc
	s_branch .LBB50_83
.LBB50_73:
	s_andn2_saveexec_b64 s[8:9], s[8:9]
	s_cbranch_execz .LBB50_39
.LBB50_74:
	v_cmp_eq_u32_e32 vcc, v16, v10
	s_mov_b64 s[10:11], s[0:1]
                                        ; implicit-def: $vgpr7
	s_and_saveexec_b64 s[14:15], vcc
; %bb.75:
	v_add_u32_e32 v7, v8, v14
	s_or_b64 s[10:11], s[0:1], exec
; %bb.76:
	s_or_b64 exec, exec, s[14:15]
	s_andn2_b64 s[0:1], s[0:1], exec
	s_and_b64 s[10:11], s[10:11], exec
	v_mov_b64_e32 v[2:3], 0
	s_or_b64 s[0:1], s[0:1], s[10:11]
	s_or_b64 exec, exec, s[8:9]
	s_and_saveexec_b64 s[8:9], s[0:1]
	s_cbranch_execnz .LBB50_40
	s_branch .LBB50_41
.LBB50_77:
	s_or_saveexec_b64 s[10:11], s[10:11]
	v_mov_b64_e32 v[2:3], 0
	s_xor_b64 exec, exec, s[10:11]
	s_cbranch_execz .LBB50_45
.LBB50_78:
	s_movk_i32 s14, 0x210
	v_mad_u32_u24 v0, v17, s14, v8
	ds_read_b128 v[0:3], v0
	v_add_u32_e32 v7, 32, v6
	s_or_b64 s[0:1], s[0:1], exec
	s_waitcnt lgkmcnt(0)
	v_xor_b32_e32 v3, 0x80000000, v3
	ds_write_b64 v6, v[0:1] offset:32
	s_or_b64 exec, exec, s[10:11]
	s_and_saveexec_b64 s[10:11], s[0:1]
	s_cbranch_execnz .LBB50_46
	s_branch .LBB50_47
.LBB50_79:
	s_or_saveexec_b64 s[14:15], s[14:15]
	v_mov_b64_e32 v[2:3], 0
	s_xor_b64 exec, exec, s[14:15]
	s_cbranch_execz .LBB50_51
.LBB50_80:
	s_movk_i32 s17, 0x210
	v_mad_u32_u24 v0, v18, s17, v8
	ds_read_b128 v[0:3], v0
	v_add_u32_e32 v7, 48, v6
	s_or_b64 s[0:1], s[0:1], exec
	s_waitcnt lgkmcnt(0)
	v_xor_b32_e32 v3, 0x80000000, v3
	ds_write_b64 v6, v[0:1] offset:48
	s_or_b64 exec, exec, s[14:15]
	s_and_saveexec_b64 s[14:15], s[0:1]
	s_cbranch_execnz .LBB50_52
	s_branch .LBB50_53
.LBB50_81:
                                        ; implicit-def: $vgpr12_vgpr13
	s_cbranch_execz .LBB50_83
; %bb.82:
	flat_load_dwordx4 v[20:23], v[4:5]
	s_movk_i32 s15, 0x210
	s_lshl_b32 s14, s24, 3
	v_mad_u32_u24 v9, v11, s15, v8
	s_ashr_i32 s15, s14, 31
	v_lshl_add_u64 v[6:7], s[14:15], 4, v[6:7]
	s_ashr_i32 s25, s24, 31
	s_lshl_b64 s[14:15], s[24:25], 7
	v_add_u32_e32 v12, 0x1080, v9
	s_waitcnt vmcnt(0) lgkmcnt(0)
	ds_write2_b64 v9, v[20:21], v[22:23] offset1:1
	flat_load_dwordx4 v[20:23], v[6:7] offset:512
	v_lshl_add_u64 v[6:7], v[6:7], 0, s[14:15]
	s_waitcnt vmcnt(0) lgkmcnt(0)
	ds_write2_b64 v12, v[20:21], v[22:23] offset1:1
	flat_load_dwordx4 v[20:23], v[6:7] offset:512
	v_add_u32_e32 v12, 0x2100, v9
	v_lshl_add_u64 v[6:7], v[6:7], 0, s[14:15]
	s_waitcnt vmcnt(0) lgkmcnt(0)
	ds_write2_b64 v12, v[20:21], v[22:23] offset1:1
	flat_load_dwordx4 v[20:23], v[6:7] offset:512
	v_add_u32_e32 v6, 0x3180, v9
	v_mov_b64_e32 v[12:13], v[4:5]
	s_waitcnt vmcnt(0) lgkmcnt(0)
	ds_write2_b64 v6, v[20:21], v[22:23] offset1:1
.LBB50_83:
	v_mul_u32_u24_e32 v5, 0x840, v11
	s_mov_b64 s[14:15], 0
	s_waitcnt lgkmcnt(0)
	s_barrier
                                        ; implicit-def: $vgpr4
	s_and_saveexec_b64 s[34:35], s[4:5]
	s_xor_b64 s[4:5], exec, s[34:35]
	s_cbranch_execz .LBB50_87
; %bb.84:
	v_cmp_eq_u32_e32 vcc, v15, v10
                                        ; implicit-def: $vgpr4
	s_and_saveexec_b64 s[34:35], vcc
	s_xor_b64 s[34:35], exec, s[34:35]
; %bb.85:
	s_mov_b64 s[14:15], exec
	v_add_u32_e32 v4, v8, v14
; %bb.86:
	s_or_b64 exec, exec, s[34:35]
	s_and_b64 s[14:15], s[14:15], exec
.LBB50_87:
	s_or_saveexec_b64 s[4:5], s[4:5]
	v_mov_b64_e32 v[6:7], 0
	v_add_u32_e32 v32, v8, v5
	v_lshl_add_u32 v9, v15, 4, v43
	s_xor_b64 exec, exec, s[4:5]
	s_cbranch_execz .LBB50_89
; %bb.88:
	ds_read_b128 v[4:7], v32
	s_or_b64 s[14:15], s[14:15], exec
	s_waitcnt lgkmcnt(0)
	v_xor_b32_e32 v7, 0x80000000, v7
	ds_write_b64 v9, v[4:5]
	v_mov_b32_e32 v4, v9
.LBB50_89:
	s_or_b64 exec, exec, s[4:5]
	v_mul_u32_u24_e32 v5, 0x210, v16
	s_and_saveexec_b64 s[4:5], s[14:15]
; %bb.90:
	ds_write_b64 v4, v[6:7] offset:8
; %bb.91:
	s_or_b64 exec, exec, s[4:5]
	s_mov_b64 s[4:5], 0
	v_add_u32_e32 v45, v8, v5
                                        ; implicit-def: $vgpr6_vgpr7
                                        ; implicit-def: $vgpr15
	s_and_saveexec_b64 s[14:15], s[6:7]
	s_xor_b64 s[6:7], exec, s[14:15]
	s_cbranch_execz .LBB50_127
; %bb.92:
	ds_read_b128 v[4:7], v45
	s_mov_b64 s[4:5], exec
	v_add_u32_e32 v15, 16, v9
                                        ; implicit-def: $vgpr16
	s_waitcnt lgkmcnt(0)
	v_xor_b32_e32 v7, 0x80000000, v7
	ds_write_b64 v9, v[4:5] offset:16
	s_andn2_saveexec_b64 s[6:7], s[6:7]
	s_cbranch_execnz .LBB50_128
.LBB50_93:
	s_or_b64 exec, exec, s[6:7]
	s_and_saveexec_b64 s[6:7], s[4:5]
.LBB50_94:
	ds_write_b64 v15, v[6:7] offset:8
.LBB50_95:
	s_or_b64 exec, exec, s[6:7]
	s_mov_b64 s[4:5], 0
                                        ; implicit-def: $vgpr15
	s_and_saveexec_b64 s[6:7], s[8:9]
	s_xor_b64 s[6:7], exec, s[6:7]
	s_cbranch_execz .LBB50_131
; %bb.96:
	v_cmp_eq_u32_e32 vcc, v17, v10
                                        ; implicit-def: $vgpr15
	s_and_saveexec_b64 s[8:9], vcc
; %bb.97:
	s_mov_b64 s[4:5], exec
	v_add_u32_e32 v15, v8, v14
; %bb.98:
	s_or_b64 exec, exec, s[8:9]
	s_and_b64 s[4:5], s[4:5], exec
	s_or_saveexec_b64 s[6:7], s[6:7]
	v_mov_b64_e32 v[6:7], 0
	s_xor_b64 exec, exec, s[6:7]
	s_cbranch_execnz .LBB50_132
.LBB50_99:
	s_or_b64 exec, exec, s[6:7]
	s_and_saveexec_b64 s[6:7], s[4:5]
.LBB50_100:
	ds_write_b64 v15, v[6:7] offset:8
.LBB50_101:
	s_or_b64 exec, exec, s[6:7]
	s_mov_b64 s[4:5], 0
                                        ; implicit-def: $vgpr15
	s_and_saveexec_b64 s[6:7], s[10:11]
	s_xor_b64 s[6:7], exec, s[6:7]
	s_cbranch_execz .LBB50_133
; %bb.102:
	v_cmp_eq_u32_e32 vcc, v18, v10
                                        ; implicit-def: $vgpr15
	s_and_saveexec_b64 s[8:9], vcc
; %bb.103:
	s_mov_b64 s[4:5], exec
	v_add_u32_e32 v15, v8, v14
; %bb.104:
	s_or_b64 exec, exec, s[8:9]
	s_and_b64 s[4:5], s[4:5], exec
                                        ; implicit-def: $vgpr9
	s_or_saveexec_b64 s[6:7], s[6:7]
	v_mov_b64_e32 v[6:7], 0
	s_xor_b64 exec, exec, s[6:7]
	s_cbranch_execnz .LBB50_134
.LBB50_105:
	s_or_b64 exec, exec, s[6:7]
	v_add_u32_e32 v16, 0x4700, v19
	s_and_saveexec_b64 s[6:7], s[4:5]
.LBB50_106:
	ds_write_b64 v15, v[6:7] offset:8
.LBB50_107:
	s_or_b64 exec, exec, s[6:7]
	s_waitcnt lgkmcnt(0)
	s_barrier
	ds_read_b128 v[4:7], v32
	ds_read_b128 v[18:21], v16 offset:512
	ds_read_b128 v[22:25], v16 offset:528
	;; [unrolled: 1-line block ×5, first 2 shown]
	s_waitcnt lgkmcnt(4)
	v_mul_f64 v[14:15], v[20:21], v[6:7]
	v_mul_f64 v[6:7], v[18:19], v[6:7]
	ds_read_b128 v[54:57], v45
	v_fmac_f64_e32 v[6:7], v[20:21], v[4:5]
	v_fma_f64 v[14:15], v[18:19], v[4:5], -v[14:15]
	v_add_f64 v[18:19], v[6:7], 0
	ds_read_b128 v[4:7], v45 offset:528
	s_waitcnt lgkmcnt(1)
	v_mul_f64 v[20:21], v[24:25], v[56:57]
	v_add_f64 v[14:15], v[14:15], 0
	v_fma_f64 v[20:21], v[22:23], v[54:55], -v[20:21]
	v_mul_f64 v[22:23], v[22:23], v[56:57]
	v_fmac_f64_e32 v[22:23], v[24:25], v[54:55]
	v_add_f64 v[14:15], v[14:15], v[20:21]
	s_waitcnt lgkmcnt(0)
	v_mul_f64 v[20:21], v[28:29], v[6:7]
	v_mul_f64 v[6:7], v[26:27], v[6:7]
	v_add_f64 v[18:19], v[18:19], v[22:23]
	v_fma_f64 v[20:21], v[26:27], v[4:5], -v[20:21]
	v_fmac_f64_e32 v[6:7], v[28:29], v[4:5]
	v_add_f64 v[4:5], v[14:15], v[20:21]
	v_add_f64 v[6:7], v[18:19], v[6:7]
	v_mul_f64 v[14:15], v[48:49], v[52:53]
	v_mul_f64 v[18:19], v[46:47], v[52:53]
	v_fma_f64 v[14:15], v[46:47], v[50:51], -v[14:15]
	v_fmac_f64_e32 v[18:19], v[48:49], v[50:51]
	v_add_f64 v[4:5], v[4:5], v[14:15]
	v_add_f64 v[6:7], v[6:7], v[18:19]
	v_cmp_eq_u32_e64 s[4:5], 1, v11
	s_barrier
	ds_write_b128 v44, v[4:7]
	s_waitcnt lgkmcnt(0)
	s_barrier
	s_and_saveexec_b64 s[6:7], s[4:5]
	s_cbranch_execz .LBB50_109
; %bb.108:
	ds_read_b128 v[0:3], v43
	ds_read_b128 v[4:7], v43 offset:16
	ds_read_b128 v[18:21], v43 offset:32
	;; [unrolled: 1-line block ×3, first 2 shown]
	s_waitcnt lgkmcnt(2)
	v_add_f64 v[0:1], v[4:5], v[0:1]
	v_add_f64 v[4:5], v[6:7], v[2:3]
	s_waitcnt lgkmcnt(1)
	v_add_f64 v[6:7], v[0:1], v[18:19]
	ds_read_b128 v[0:3], v43 offset:64
	v_add_f64 v[4:5], v[4:5], v[20:21]
	s_waitcnt lgkmcnt(1)
	v_add_f64 v[14:15], v[6:7], v[22:23]
	v_add_f64 v[22:23], v[4:5], v[24:25]
	ds_read_b128 v[4:7], v43 offset:80
	ds_read_b128 v[18:21], v43 offset:96
	s_waitcnt lgkmcnt(2)
	v_add_f64 v[14:15], v[14:15], v[0:1]
	v_add_f64 v[22:23], v[22:23], v[2:3]
	ds_read_b128 v[0:3], v43 offset:112
	s_waitcnt lgkmcnt(2)
	v_add_f64 v[4:5], v[14:15], v[4:5]
	v_add_f64 v[6:7], v[22:23], v[6:7]
	s_waitcnt lgkmcnt(1)
	v_add_f64 v[4:5], v[4:5], v[18:19]
	v_add_f64 v[6:7], v[6:7], v[20:21]
	;; [unrolled: 3-line block ×3, first 2 shown]
.LBB50_109:
	s_or_b64 exec, exec, s[6:7]
	s_movk_i32 s6, 0xfe00
	s_mov_b32 s7, -1
	v_lshl_add_u64 v[4:5], v[12:13], 0, s[6:7]
	s_and_b64 vcc, exec, s[28:29]
	s_barrier
	s_cbranch_vccz .LBB50_135
; %bb.110:
	v_sub_co_u32_e32 v6, vcc, v4, v8
	s_ashr_i32 s17, s16, 31
	s_nop 0
	v_subbrev_co_u32_e32 v7, vcc, 0, v5, vcc
	v_lshl_add_u64 v[6:7], s[16:17], 4, v[6:7]
	v_lshl_add_u64 v[6:7], v[6:7], 0, -16
	v_cmp_gt_i32_e32 vcc, s16, v10
	s_sub_i32 s8, s16, 32
	s_movk_i32 s9, 0x210
	v_cndmask_b32_e32 v7, v7, v5, vcc
	v_cndmask_b32_e32 v6, v6, v4, vcc
	v_cmp_le_i32_e64 s[6:7], s8, v11
	v_mad_u32_u24 v10, v11, s9, v8
	s_and_saveexec_b64 s[10:11], s[6:7]
	s_xor_b64 s[6:7], exec, s[10:11]
; %bb.111:
	v_mov_b32_e32 v12, 0
	v_mov_b32_e32 v13, v12
	;; [unrolled: 1-line block ×4, first 2 shown]
	ds_write_b128 v10, v[12:15]
                                        ; implicit-def: $vgpr10
; %bb.112:
	s_or_saveexec_b64 s[6:7], s[6:7]
	v_mul_u32_u24_e32 v9, 0x210, v11
	s_xor_b64 exec, exec, s[6:7]
	s_cbranch_execz .LBB50_114
; %bb.113:
	flat_load_dwordx4 v[12:15], v[6:7]
	s_waitcnt vmcnt(0) lgkmcnt(0)
	ds_write2_b64 v10, v[12:13], v[14:15] offset1:1
.LBB50_114:
	s_or_b64 exec, exec, s[6:7]
	v_add_u32_e32 v10, 8, v11
	v_cmp_le_i32_e64 s[6:7], s8, v10
	v_add_u32_e32 v14, v9, v8
	s_and_saveexec_b64 s[10:11], s[6:7]
	s_xor_b64 s[6:7], exec, s[10:11]
; %bb.115:
	v_mov_b32_e32 v18, 0
	v_mov_b32_e32 v19, v18
	;; [unrolled: 1-line block ×4, first 2 shown]
	ds_write_b128 v14, v[18:21] offset:4224
; %bb.116:
	s_andn2_saveexec_b64 s[6:7], s[6:7]
	s_cbranch_execz .LBB50_118
; %bb.117:
	s_lshl_b32 s10, s24, 3
	s_ashr_i32 s11, s10, 31
	v_lshl_add_u64 v[12:13], s[10:11], 4, v[6:7]
	flat_load_dwordx4 v[18:21], v[12:13]
	s_movk_i32 s9, 0x1080
	v_add3_u32 v12, v9, v8, s9
	s_waitcnt vmcnt(0) lgkmcnt(0)
	ds_write2_b64 v12, v[18:19], v[20:21] offset1:1
.LBB50_118:
	s_or_b64 exec, exec, s[6:7]
	v_add_u32_e32 v12, 16, v11
	v_cmp_le_i32_e64 s[6:7], s8, v12
	s_and_saveexec_b64 s[10:11], s[6:7]
	s_xor_b64 s[6:7], exec, s[10:11]
; %bb.119:
	v_mov_b32_e32 v18, 0
	v_mov_b32_e32 v19, v18
	;; [unrolled: 1-line block ×4, first 2 shown]
	ds_write_b128 v14, v[18:21] offset:8448
; %bb.120:
	s_andn2_saveexec_b64 s[6:7], s[6:7]
	s_cbranch_execz .LBB50_122
; %bb.121:
	s_lshl_b32 s10, s24, 4
	s_ashr_i32 s11, s10, 31
	v_lshl_add_u64 v[18:19], s[10:11], 4, v[6:7]
	flat_load_dwordx4 v[18:21], v[18:19]
	s_movk_i32 s9, 0x2100
	v_add3_u32 v13, v9, v8, s9
	s_waitcnt vmcnt(0) lgkmcnt(0)
	ds_write2_b64 v13, v[18:19], v[20:21] offset1:1
.LBB50_122:
	s_or_b64 exec, exec, s[6:7]
	v_add_u32_e32 v13, 24, v11
	v_cmp_le_i32_e64 s[6:7], s8, v13
	s_and_saveexec_b64 s[8:9], s[6:7]
	s_xor_b64 s[6:7], exec, s[8:9]
; %bb.123:
	v_mov_b32_e32 v18, 0
	v_mov_b32_e32 v19, v18
	v_mov_b32_e32 v20, v18
	v_mov_b32_e32 v21, v18
	ds_write_b128 v14, v[18:21] offset:12672
                                        ; implicit-def: $vgpr9
; %bb.124:
	s_andn2_saveexec_b64 s[6:7], s[6:7]
	s_cbranch_execz .LBB50_126
; %bb.125:
	s_mul_i32 s8, s24, 24
	s_ashr_i32 s9, s8, 31
	v_lshl_add_u64 v[14:15], s[8:9], 4, v[6:7]
	flat_load_dwordx4 v[18:21], v[14:15]
	s_movk_i32 s8, 0x3180
	v_add3_u32 v9, v9, v8, s8
	s_waitcnt vmcnt(0) lgkmcnt(0)
	ds_write2_b64 v9, v[18:19], v[20:21] offset1:1
.LBB50_126:
	s_or_b64 exec, exec, s[6:7]
	v_mov_b32_e32 v9, 0
	v_lshl_add_u64 v[6:7], v[6:7], 0, v[8:9]
	s_lshl_b64 s[6:7], s[16:17], 4
	v_mov_b32_e32 v9, s7
	v_subrev_co_u32_e64 v6, s[6:7], s6, v6
	s_nop 1
	v_subb_co_u32_e64 v7, s[6:7], v7, v9, s[6:7]
	v_lshl_add_u64 v[6:7], v[6:7], 0, 16
	v_cndmask_b32_e32 v41, v7, v5, vcc
	v_cndmask_b32_e32 v40, v6, v4, vcc
	s_branch .LBB50_137
.LBB50_127:
	s_andn2_saveexec_b64 s[6:7], s[6:7]
	s_cbranch_execz .LBB50_93
.LBB50_128:
	v_cmp_eq_u32_e32 vcc, v16, v10
	s_mov_b64 s[14:15], s[4:5]
                                        ; implicit-def: $vgpr15
	s_and_saveexec_b64 s[34:35], vcc
; %bb.129:
	v_add_u32_e32 v15, v8, v14
	s_or_b64 s[14:15], s[4:5], exec
; %bb.130:
	s_or_b64 exec, exec, s[34:35]
	s_andn2_b64 s[4:5], s[4:5], exec
	s_and_b64 s[14:15], s[14:15], exec
	v_mov_b64_e32 v[6:7], 0
	s_or_b64 s[4:5], s[4:5], s[14:15]
	s_or_b64 exec, exec, s[6:7]
	s_and_saveexec_b64 s[6:7], s[4:5]
	s_cbranch_execnz .LBB50_94
	s_branch .LBB50_95
.LBB50_131:
	s_or_saveexec_b64 s[6:7], s[6:7]
	v_mov_b64_e32 v[6:7], 0
	s_xor_b64 exec, exec, s[6:7]
	s_cbranch_execz .LBB50_99
.LBB50_132:
	ds_read_b128 v[4:7], v45 offset:528
	v_add_u32_e32 v15, 32, v9
	s_or_b64 s[4:5], s[4:5], exec
	s_waitcnt lgkmcnt(0)
	v_xor_b32_e32 v7, 0x80000000, v7
	ds_write_b64 v9, v[4:5] offset:32
	s_or_b64 exec, exec, s[6:7]
	s_and_saveexec_b64 s[6:7], s[4:5]
	s_cbranch_execnz .LBB50_100
	s_branch .LBB50_101
.LBB50_133:
	s_or_saveexec_b64 s[6:7], s[6:7]
	v_mov_b64_e32 v[6:7], 0
	s_xor_b64 exec, exec, s[6:7]
	s_cbranch_execz .LBB50_105
.LBB50_134:
	ds_read_b128 v[4:7], v45 offset:1056
	v_add_u32_e32 v15, 48, v9
	s_or_b64 s[4:5], s[4:5], exec
	s_waitcnt lgkmcnt(0)
	v_xor_b32_e32 v7, 0x80000000, v7
	ds_write_b64 v9, v[4:5] offset:48
	s_or_b64 exec, exec, s[6:7]
	v_add_u32_e32 v16, 0x4700, v19
	s_and_saveexec_b64 s[6:7], s[4:5]
	s_cbranch_execnz .LBB50_106
	s_branch .LBB50_107
.LBB50_135:
                                        ; implicit-def: $vgpr40_vgpr41
                                        ; implicit-def: $vgpr10
                                        ; implicit-def: $vgpr12
                                        ; implicit-def: $vgpr13
	s_cbranch_execz .LBB50_137
; %bb.136:
	flat_load_dwordx4 v[12:15], v[4:5]
	s_movk_i32 s7, 0x210
	s_lshl_b32 s6, s24, 3
	v_mad_u32_u24 v17, v11, s7, v8
	s_ashr_i32 s7, s6, 31
	v_lshl_add_u64 v[18:19], s[6:7], 4, v[4:5]
	s_ashr_i32 s25, s24, 31
	s_lshl_b64 s[6:7], s[24:25], 7
	v_add_u32_e32 v10, 0x1080, v17
	v_mov_b64_e32 v[40:41], v[4:5]
	s_waitcnt vmcnt(0) lgkmcnt(0)
	ds_write2_b64 v17, v[12:13], v[14:15] offset1:1
	flat_load_dwordx4 v[6:9], v[18:19]
	v_lshl_add_u64 v[12:13], v[18:19], 0, s[6:7]
	v_add_u32_e32 v14, 0x3180, v17
	s_waitcnt vmcnt(0) lgkmcnt(0)
	ds_write2_b64 v10, v[6:7], v[8:9] offset1:1
	flat_load_dwordx4 v[6:9], v[12:13]
	v_add_u32_e32 v10, 0x2100, v17
	v_lshl_add_u64 v[12:13], v[12:13], 0, s[6:7]
	s_waitcnt vmcnt(0) lgkmcnt(0)
	ds_write2_b64 v10, v[6:7], v[8:9] offset1:1
	flat_load_dwordx4 v[6:9], v[12:13]
	v_add_u32_e32 v10, 8, v11
	v_add_u32_e32 v12, 16, v11
	v_add_u32_e32 v13, 24, v11
	s_waitcnt vmcnt(0) lgkmcnt(0)
	ds_write2_b64 v14, v[6:7], v[8:9] offset1:1
.LBB50_137:
	v_lshlrev_b32_e32 v8, 4, v11
	v_add_u32_e32 v4, v43, v8
	v_lshlrev_b32_e32 v14, 4, v10
	s_waitcnt lgkmcnt(0)
	s_barrier
	ds_read_b128 v[4:7], v4
	ds_read_b128 v[22:25], v8 offset:18176
	v_add_u32_e32 v8, v43, v14
	v_lshlrev_b32_e32 v12, 4, v12
	ds_read_b128 v[8:11], v8
	ds_read_b128 v[46:49], v14 offset:18176
	v_add_u32_e32 v17, v43, v12
	ds_read_b128 v[50:53], v17
	ds_read_b128 v[54:57], v12 offset:18176
	v_lshlrev_b32_e32 v12, 4, v13
	v_add_u32_e32 v13, v43, v12
	ds_read_b128 v[58:61], v13
	ds_read_b128 v[62:65], v12 offset:18176
	s_waitcnt lgkmcnt(6)
	v_mul_f64 v[14:15], v[6:7], v[24:25]
	v_fmac_f64_e32 v[14:15], v[4:5], v[22:23]
	s_waitcnt lgkmcnt(4)
	v_mul_f64 v[18:19], v[10:11], v[48:49]
	v_add_f64 v[14:15], v[14:15], 0
	v_fmac_f64_e32 v[18:19], v[8:9], v[46:47]
	s_waitcnt lgkmcnt(2)
	v_mul_f64 v[12:13], v[52:53], v[56:57]
	v_mul_f64 v[6:7], v[6:7], v[22:23]
	v_add_f64 v[14:15], v[14:15], v[18:19]
	v_fmac_f64_e32 v[12:13], v[50:51], v[54:55]
	v_mul_f64 v[10:11], v[10:11], v[46:47]
	v_add_f64 v[12:13], v[14:15], v[12:13]
	s_waitcnt lgkmcnt(0)
	v_mul_f64 v[14:15], v[60:61], v[64:65]
	v_fma_f64 v[34:35], v[4:5], v[24:25], -v[6:7]
	v_fmac_f64_e32 v[14:15], v[58:59], v[62:63]
	v_fma_f64 v[8:9], v[8:9], v[48:49], -v[10:11]
	v_add_f64 v[10:11], v[34:35], 0
	v_add_f64 v[46:47], v[12:13], v[14:15]
	ds_read_b128 v[28:31], v16 offset:512
	ds_read_b128 v[20:23], v16 offset:528
	;; [unrolled: 1-line block ×4, first 2 shown]
	ds_read_b128 v[24:27], v45
	ds_read_b128 v[16:19], v45 offset:528
	v_add_f64 v[48:49], v[10:11], v[8:9]
	ds_read_b128 v[32:35], v32
	ds_read_b128 v[8:11], v45 offset:1056
	v_mul_f64 v[52:53], v[52:53], v[54:55]
	v_mul_f64 v[54:55], v[60:61], v[62:63]
	v_fma_f64 v[50:51], v[50:51], v[56:57], -v[52:53]
	v_add_f64 v[48:49], v[48:49], v[50:51]
	v_fma_f64 v[50:51], v[58:59], v[64:65], -v[54:55]
	v_add_f64 v[48:49], v[48:49], v[50:51]
	s_waitcnt lgkmcnt(0)
	s_barrier
	ds_write_b128 v44, v[46:49]
	s_waitcnt lgkmcnt(0)
	s_barrier
	s_and_saveexec_b64 s[6:7], s[4:5]
	s_cbranch_execz .LBB50_139
; %bb.138:
	ds_read_b128 v[46:49], v43
	ds_read_b128 v[50:53], v43 offset:16
	ds_read_b128 v[54:57], v43 offset:32
	;; [unrolled: 1-line block ×3, first 2 shown]
	s_waitcnt lgkmcnt(3)
	v_add_f64 v[0:1], v[0:1], v[46:47]
	v_add_f64 v[2:3], v[2:3], v[48:49]
	s_waitcnt lgkmcnt(2)
	v_add_f64 v[0:1], v[0:1], v[50:51]
	v_add_f64 v[46:47], v[2:3], v[52:53]
	s_waitcnt lgkmcnt(1)
	v_add_f64 v[48:49], v[0:1], v[54:55]
	ds_read_b128 v[0:3], v43 offset:64
	v_add_f64 v[46:47], v[46:47], v[56:57]
	s_waitcnt lgkmcnt(1)
	v_add_f64 v[50:51], v[48:49], v[58:59]
	v_add_f64 v[54:55], v[46:47], v[60:61]
	ds_read_b128 v[46:49], v43 offset:80
	s_waitcnt lgkmcnt(1)
	v_add_f64 v[56:57], v[50:51], v[0:1]
	ds_read_b128 v[50:53], v43 offset:96
	v_add_f64 v[54:55], v[54:55], v[2:3]
	ds_read_b128 v[0:3], v43 offset:112
	s_waitcnt lgkmcnt(2)
	v_add_f64 v[46:47], v[56:57], v[46:47]
	v_add_f64 v[48:49], v[54:55], v[48:49]
	s_waitcnt lgkmcnt(1)
	v_add_f64 v[46:47], v[46:47], v[50:51]
	v_add_f64 v[48:49], v[48:49], v[52:53]
	;; [unrolled: 3-line block ×3, first 2 shown]
.LBB50_139:
	s_or_b64 exec, exec, s[6:7]
	v_mul_f64 v[46:47], v[30:31], v[34:35]
	v_fma_f64 v[46:47], v[28:29], v[32:33], -v[46:47]
	v_mul_f64 v[28:29], v[28:29], v[34:35]
	v_fmac_f64_e32 v[28:29], v[30:31], v[32:33]
	v_mul_f64 v[32:33], v[22:23], v[26:27]
	v_fma_f64 v[32:33], v[20:21], v[24:25], -v[32:33]
	v_mul_f64 v[20:21], v[20:21], v[26:27]
	v_fmac_f64_e32 v[20:21], v[22:23], v[24:25]
	v_mul_f64 v[24:25], v[14:15], v[18:19]
	v_add_f64 v[30:31], v[46:47], 0
	v_add_f64 v[28:29], v[28:29], 0
	v_fma_f64 v[24:25], v[12:13], v[16:17], -v[24:25]
	v_mul_f64 v[12:13], v[12:13], v[18:19]
	v_add_f64 v[22:23], v[30:31], v[32:33]
	v_add_f64 v[20:21], v[28:29], v[20:21]
	v_fmac_f64_e32 v[12:13], v[14:15], v[16:17]
	v_mul_f64 v[16:17], v[6:7], v[10:11]
	v_mul_f64 v[10:11], v[4:5], v[10:11]
	v_add_f64 v[14:15], v[22:23], v[24:25]
	v_add_f64 v[12:13], v[20:21], v[12:13]
	v_fma_f64 v[16:17], v[4:5], v[8:9], -v[16:17]
	v_fmac_f64_e32 v[10:11], v[6:7], v[8:9]
	v_add_f64 v[4:5], v[14:15], v[16:17]
	v_add_f64 v[6:7], v[12:13], v[10:11]
	s_barrier
	ds_write_b128 v44, v[4:7]
	s_waitcnt lgkmcnt(0)
	s_barrier
	s_and_saveexec_b64 s[4:5], s[0:1]
	s_cbranch_execz .LBB50_141
; %bb.140:
	ds_read_b128 v[4:7], v43
	ds_read_b128 v[8:11], v43 offset:16
	ds_read_b128 v[12:15], v43 offset:32
	;; [unrolled: 1-line block ×3, first 2 shown]
	s_waitcnt lgkmcnt(3)
	v_add_f64 v[0:1], v[0:1], v[4:5]
	v_add_f64 v[2:3], v[2:3], v[6:7]
	s_waitcnt lgkmcnt(2)
	v_add_f64 v[0:1], v[0:1], v[8:9]
	v_add_f64 v[4:5], v[2:3], v[10:11]
	s_waitcnt lgkmcnt(1)
	v_add_f64 v[6:7], v[0:1], v[12:13]
	ds_read_b128 v[0:3], v43 offset:64
	v_add_f64 v[4:5], v[4:5], v[14:15]
	s_waitcnt lgkmcnt(1)
	v_add_f64 v[8:9], v[6:7], v[16:17]
	v_add_f64 v[12:13], v[4:5], v[18:19]
	ds_read_b128 v[4:7], v43 offset:80
	s_waitcnt lgkmcnt(1)
	v_add_f64 v[14:15], v[8:9], v[0:1]
	ds_read_b128 v[8:11], v43 offset:96
	v_add_f64 v[12:13], v[12:13], v[2:3]
	ds_read_b128 v[0:3], v43 offset:112
	s_waitcnt lgkmcnt(2)
	v_add_f64 v[4:5], v[14:15], v[4:5]
	v_add_f64 v[6:7], v[12:13], v[6:7]
	s_waitcnt lgkmcnt(1)
	v_add_f64 v[4:5], v[4:5], v[8:9]
	v_add_f64 v[6:7], v[6:7], v[10:11]
	;; [unrolled: 3-line block ×3, first 2 shown]
.LBB50_141:
	s_or_b64 exec, exec, s[4:5]
	s_mul_hi_u32 s0, s21, s20
	s_mul_i32 s37, s37, s20
	s_add_i32 s0, s0, s37
	s_mul_i32 s4, s21, s20
	s_mul_i32 s0, s0, s3
	s_mul_hi_u32 s1, s4, s3
	s_add_i32 s1, s1, s0
	s_mul_i32 s0, s4, s3
	s_lshl_b64 s[0:1], s[0:1], 4
	s_add_u32 s4, s22, s0
	s_addc_u32 s5, s23, s1
	s_mul_hi_i32 s1, s21, s2
	s_mul_i32 s0, s21, s2
	s_lshl_b64 s[0:1], s[0:1], 4
	s_add_u32 s6, s4, s0
	s_addc_u32 s7, s5, s1
	s_add_i32 s4, s2, 1
	s_cmp_ge_u32 s4, s3
	v_lshlrev_b32_e32 v167, 4, v166
	s_barrier
	s_cbranch_scc1 .LBB50_199
; %bb.142:
	s_mul_i32 s0, s36, s26
	v_lshrrev_b32_e32 v6, 4, v42
	v_mov_b32_e32 v8, 0x4300
	s_ashr_i32 s1, s0, 31
	v_lshl_add_u32 v216, v165, 6, v8
	v_lshlrev_b32_e32 v8, 6, v6
	v_mul_i32_i24_e32 v12, 0xffffffd0, v6
	v_and_b32_e32 v6, 48, v166
	s_lshl_b64 s[0:1], s[0:1], 4
	v_and_b32_e32 v7, 15, v166
	s_movk_i32 s5, 0x430
	v_lshlrev_b32_e32 v6, 4, v6
	v_lshlrev_b32_e32 v214, 2, v165
	v_mov_b32_e32 v4, s1
	v_subrev_co_u32_e32 v168, vcc, s0, v38
	s_lshl_b32 s26, s36, 6
	s_lshl_b32 s20, s24, 4
	v_mad_u32_u24 v220, v7, s5, v6
	v_or_b32_e32 v6, 0xf0, v167
	s_ashr_i32 s25, s24, 31
	s_lshl_b32 s22, s24, 1
	s_mul_i32 s28, s24, 3
	s_mul_i32 s36, s36, s4
	v_subb_co_u32_e32 v169, vcc, v39, v4, vcc
	v_mad_u64_u32 v[4:5], s[0:1], s24, v214, v[166:167]
	s_add_i32 s17, s3, -2
	v_mad_u32_u24 v219, v7, s5, v8
	s_ashr_i32 s21, s20, 31
	v_mad_u32_u24 v221, v7, s5, v6
	s_ashr_i32 s23, s22, 31
	s_ashr_i32 s29, s28, 31
	s_lshl_b64 s[14:15], s[24:25], 4
	s_lshl_b32 s8, s36, 6
	v_lshlrev_b64 v[6:7], 4, v[36:37]
	s_lshl_b64 s[34:35], s[24:25], 5
	s_lshl_b64 s[36:37], s[30:31], 4
	v_ashrrev_i32_e32 v5, 31, v4
	v_sub_co_u32_e32 v170, vcc, 0, v6
	s_add_u32 s4, s34, s36
	s_nop 0
	v_subb_co_u32_e32 v171, vcc, 0, v7, vcc
	s_addc_u32 s5, s35, s37
	v_lshlrev_b64 v[6:7], 4, v[4:5]
	v_lshl_add_u64 v[4:5], s[30:31], 0, v[4:5]
	v_lshl_add_u64 v[8:9], s[4:5], 0, v[6:7]
	v_lshlrev_b64 v[4:5], 4, v[4:5]
	v_lshl_add_u64 v[172:173], v[40:41], 0, v[8:9]
	s_mul_i32 s9, s24, 0x300
	v_mad_i64_i32 v[8:9], s[24:25], s20, 48, v[4:5]
	s_lshl_b64 s[10:11], s[20:21], 6
	s_lshl_b64 s[24:25], s[28:29], 4
	s_add_u32 s28, s14, s36
	v_lshl_add_u64 v[10:11], v[8:9], 0, s[24:25]
	s_addc_u32 s29, s15, s37
	v_lshl_add_u64 v[174:175], v[40:41], 0, v[10:11]
	v_lshl_add_u64 v[10:11], s[28:29], 0, v[6:7]
	s_lshl_b64 s[22:23], s[22:23], 4
	v_lshl_add_u64 v[176:177], v[40:41], 0, v[10:11]
	v_lshl_add_u64 v[10:11], v[8:9], 0, s[22:23]
	s_add_u32 s30, s36, s22
	v_lshl_add_u64 v[178:179], v[40:41], 0, v[10:11]
	v_lshl_add_u64 v[10:11], s[36:37], 0, v[6:7]
	s_addc_u32 s31, s37, s23
	v_lshl_add_u64 v[180:181], v[40:41], 0, v[10:11]
	v_lshl_add_u64 v[10:11], s[30:31], 0, v[6:7]
	s_add_u32 s30, s36, s24
	v_lshl_add_u64 v[182:183], v[40:41], 0, v[8:9]
	v_lshl_add_u64 v[8:9], v[8:9], 0, s[14:15]
	s_addc_u32 s31, s37, s25
	v_lshl_add_u64 v[186:187], v[40:41], 0, v[8:9]
	v_lshl_add_u64 v[8:9], s[30:31], 0, v[6:7]
	s_lshl_b64 s[30:31], s[20:21], 4
	s_add_u32 s38, s4, s30
	s_addc_u32 s39, s5, s31
	s_mul_hi_i32 s27, s20, 48
	s_add_u32 s34, s9, s34
	s_addc_u32 s35, s27, s35
	s_lshl_b64 s[20:21], s[20:21], 5
	v_lshl_add_u64 v[4:5], s[34:35], 0, v[4:5]
	s_add_u32 s34, s20, s36
	s_addc_u32 s35, s21, s37
	v_lshl_add_u64 v[188:189], v[40:41], 0, v[8:9]
	v_lshl_add_u64 v[8:9], s[38:39], 0, v[6:7]
	s_add_u32 s38, s34, s24
	s_addc_u32 s39, s35, s25
	s_add_u32 s28, s28, s30
	v_lshl_add_u64 v[192:193], v[40:41], 0, v[4:5]
	v_lshl_add_u64 v[4:5], s[38:39], 0, v[6:7]
	s_addc_u32 s29, s29, s31
	v_lshl_add_u64 v[194:195], v[40:41], 0, v[4:5]
	v_lshl_add_u64 v[4:5], s[28:29], 0, v[6:7]
	s_add_u32 s28, s34, s22
	s_addc_u32 s29, s35, s23
	v_lshl_add_u64 v[196:197], v[40:41], 0, v[4:5]
	v_lshl_add_u64 v[4:5], s[28:29], 0, v[6:7]
	s_add_u32 s28, s36, s30
	s_addc_u32 s29, s37, s31
	s_add_u32 s22, s28, s22
	v_lshl_add_u64 v[198:199], v[40:41], 0, v[4:5]
	v_lshl_add_u64 v[4:5], s[28:29], 0, v[6:7]
	s_addc_u32 s23, s29, s23
	v_lshl_add_u64 v[200:201], v[40:41], 0, v[4:5]
	v_lshl_add_u64 v[4:5], s[34:35], 0, v[6:7]
	s_add_u32 s14, s34, s14
	v_lshl_add_u64 v[202:203], v[40:41], 0, v[4:5]
	v_lshl_add_u64 v[4:5], s[22:23], 0, v[6:7]
	s_addc_u32 s15, s35, s15
	v_lshl_add_u64 v[204:205], v[40:41], 0, v[4:5]
	v_lshl_add_u64 v[4:5], s[14:15], 0, v[6:7]
	s_add_u32 s14, s28, s24
	s_addc_u32 s15, s29, s25
	s_add_u32 s4, s4, s20
	v_lshl_add_u64 v[206:207], v[40:41], 0, v[4:5]
	v_lshl_add_u64 v[4:5], s[14:15], 0, v[6:7]
	s_addc_u32 s5, s5, s21
	s_movk_i32 s0, 0x10c0
	v_lshl_add_u64 v[208:209], v[40:41], 0, v[4:5]
	v_lshl_add_u64 v[4:5], s[4:5], 0, v[6:7]
	v_mov_b32_e32 v238, 0
	v_add_u32_e32 v215, 0x4300, v167
	v_add_u32_e32 v217, 0x4700, v167
	v_mad_u32_u24 v218, v165, s0, v167
	v_cmp_gt_u32_e64 s[0:1], 64, v42
	v_or_b32_e32 v222, 1, v214
	v_or_b32_e32 v223, 2, v214
	;; [unrolled: 1-line block ×3, first 2 shown]
	v_add_u32_e32 v225, 16, v214
	v_add_u32_e32 v226, 17, v214
	;; [unrolled: 1-line block ×4, first 2 shown]
	v_lshl_add_u64 v[184:185], v[40:41], 0, v[10:11]
	v_lshl_add_u64 v[190:191], v[40:41], 0, v[8:9]
	;; [unrolled: 1-line block ×3, first 2 shown]
	v_add_u32_e32 v229, 32, v214
	v_add_u32_e32 v230, 33, v214
	;; [unrolled: 1-line block ×3, first 2 shown]
	v_mov_b32_e32 v239, v238
	v_mov_b32_e32 v240, v238
	;; [unrolled: 1-line block ×3, first 2 shown]
	v_add_u32_e32 v232, 34, v214
	v_add_u32_e32 v233, 35, v214
	;; [unrolled: 1-line block ×7, first 2 shown]
	s_cmp_eq_u32 s17, s2
	s_cselect_b32 s24, s33, 0
	s_and_saveexec_b64 s[4:5], s[12:13]
	s_cbranch_execz .LBB50_148
	s_branch .LBB50_144
.LBB50_143:                             ;   in Loop: Header=BB50_148 Depth=1
	s_mov_b32 s2, s4
	s_cmp_eq_u32 s17, s2
	s_cselect_b32 s24, s33, 0
	s_and_saveexec_b64 s[4:5], s[12:13]
	s_cbranch_execz .LBB50_148
.LBB50_144:
	s_cmp_lg_u32 s24, 0
	s_cselect_b64 s[14:15], -1, 0
	v_cmp_le_i32_e32 vcc, s24, v166
	s_and_b64 s[14:15], s[14:15], vcc
	s_and_saveexec_b64 s[20:21], s[14:15]
	s_xor_b64 s[14:15], exec, s[20:21]
; %bb.145:
	ds_write_b128 v215, v[238:241]
; %bb.146:
	s_andn2_saveexec_b64 s[14:15], s[14:15]
	s_cbranch_execz .LBB50_148
; %bb.147:
	s_ashr_i32 s9, s8, 31
	v_lshl_add_u64 v[4:5], s[8:9], 4, v[168:169]
	flat_load_dwordx4 v[4:7], v[4:5]
	s_waitcnt vmcnt(0) lgkmcnt(0)
	ds_write2_b64 v215, v[4:5], v[6:7] offset1:1
.LBB50_148:                             ; =>This Inner Loop Header: Depth=1
	s_or_b64 exec, exec, s[4:5]
	s_cmp_eq_u32 s24, 0
	s_cselect_b64 s[14:15], -1, 0
	s_cmp_lg_u32 s24, 0
	s_cselect_b64 s[20:21], -1, 0
	v_lshl_add_u64 v[16:17], v[180:181], 0, v[170:171]
	s_and_b64 vcc, exec, s[20:21]
	s_waitcnt lgkmcnt(0)
	s_barrier
	s_cbranch_vccz .LBB50_156
; %bb.149:                              ;   in Loop: Header=BB50_148 Depth=1
	v_cmp_gt_i32_e32 vcc, s24, v214
	v_mov_b64_e32 v[8:9], 0
	v_mov_b64_e32 v[4:5], 0
	;; [unrolled: 1-line block ×3, first 2 shown]
	s_and_saveexec_b64 s[4:5], vcc
	s_cbranch_execz .LBB50_151
; %bb.150:                              ;   in Loop: Header=BB50_148 Depth=1
	flat_load_dwordx4 v[4:7], v[16:17]
.LBB50_151:                             ;   in Loop: Header=BB50_148 Depth=1
	s_or_b64 exec, exec, s[4:5]
	v_cmp_gt_i32_e32 vcc, s24, v222
	v_mov_b64_e32 v[10:11], 0
	s_and_saveexec_b64 s[4:5], vcc
	s_cbranch_execz .LBB50_153
; %bb.152:                              ;   in Loop: Header=BB50_148 Depth=1
	v_lshl_add_u64 v[8:9], v[176:177], 0, v[170:171]
	flat_load_dwordx4 v[8:11], v[8:9]
.LBB50_153:                             ;   in Loop: Header=BB50_148 Depth=1
	s_or_b64 exec, exec, s[4:5]
	v_cmp_gt_i32_e32 vcc, s24, v223
	v_mov_b64_e32 v[12:13], 0
	v_mov_b64_e32 v[14:15], 0
	s_and_saveexec_b64 s[4:5], vcc
	s_cbranch_execz .LBB50_155
; %bb.154:                              ;   in Loop: Header=BB50_148 Depth=1
	v_lshl_add_u64 v[12:13], v[184:185], 0, v[170:171]
	flat_load_dwordx4 v[12:15], v[12:13]
.LBB50_155:                             ;   in Loop: Header=BB50_148 Depth=1
	s_or_b64 exec, exec, s[4:5]
	v_cmp_gt_i32_e64 s[4:5], s24, v224
	s_branch .LBB50_158
.LBB50_156:                             ;   in Loop: Header=BB50_148 Depth=1
	s_mov_b64 s[4:5], 0
                                        ; implicit-def: $vgpr14_vgpr15
                                        ; implicit-def: $vgpr10_vgpr11
                                        ; implicit-def: $vgpr6_vgpr7
	s_cbranch_execz .LBB50_158
; %bb.157:                              ;   in Loop: Header=BB50_148 Depth=1
	s_waitcnt vmcnt(0) lgkmcnt(0)
	v_lshl_add_u64 v[8:9], v[176:177], 0, v[170:171]
	v_lshl_add_u64 v[12:13], v[172:173], 0, v[170:171]
	flat_load_dwordx4 v[4:7], v[16:17]
	s_or_b64 s[4:5], s[4:5], exec
	flat_load_dwordx4 v[8:11], v[8:9]
	s_nop 0
	flat_load_dwordx4 v[12:15], v[12:13]
.LBB50_158:                             ;   in Loop: Header=BB50_148 Depth=1
	v_mov_b64_e32 v[16:17], 0
	v_mov_b64_e32 v[18:19], 0
	s_and_saveexec_b64 s[22:23], s[4:5]
	s_cbranch_execz .LBB50_160
; %bb.159:                              ;   in Loop: Header=BB50_148 Depth=1
	v_lshl_add_u64 v[16:17], v[188:189], 0, v[170:171]
	flat_load_dwordx4 v[16:19], v[16:17]
.LBB50_160:                             ;   in Loop: Header=BB50_148 Depth=1
	s_or_b64 exec, exec, s[22:23]
	ds_read_b128 v[36:39], v217
	ds_read_b128 v[32:35], v216
	ds_read_b128 v[28:31], v216 offset:16
	ds_read_b128 v[24:27], v216 offset:32
	;; [unrolled: 1-line block ×3, first 2 shown]
	s_waitcnt vmcnt(0) lgkmcnt(0)
	v_mul_f64 v[40:41], v[6:7], v[38:39]
	v_mul_f64 v[42:43], v[6:7], v[36:37]
	v_fmac_f64_e32 v[40:41], v[4:5], v[36:37]
	v_fma_f64 v[42:43], v[4:5], v[38:39], -v[42:43]
	ds_write_b128 v218, v[40:43]
	v_mul_f64 v[40:41], v[10:11], v[38:39]
	v_mul_f64 v[42:43], v[10:11], v[36:37]
	v_fmac_f64_e32 v[40:41], v[8:9], v[36:37]
	v_fma_f64 v[42:43], v[8:9], v[38:39], -v[42:43]
	ds_write_b128 v218, v[40:43] offset:1072
	v_mul_f64 v[40:41], v[14:15], v[38:39]
	v_mul_f64 v[42:43], v[14:15], v[36:37]
	v_fmac_f64_e32 v[40:41], v[12:13], v[36:37]
	v_fma_f64 v[42:43], v[12:13], v[38:39], -v[42:43]
	ds_write_b128 v218, v[40:43] offset:2144
	v_mul_f64 v[40:41], v[18:19], v[38:39]
	v_fmac_f64_e32 v[40:41], v[16:17], v[36:37]
	v_mul_f64 v[36:37], v[18:19], v[36:37]
	v_fma_f64 v[42:43], v[16:17], v[38:39], -v[36:37]
	ds_write_b128 v218, v[40:43] offset:3216
	s_waitcnt lgkmcnt(0)
	s_barrier
	ds_read_b128 v[92:95], v219
	ds_read_b128 v[88:91], v219 offset:16
	ds_read_b128 v[84:87], v219 offset:32
	ds_read_b128 v[80:83], v219 offset:48
	v_cndmask_b32_e64 v36, 0, 1, s[20:21]
	v_cmp_ne_u32_e64 s[4:5], 1, v36
	s_andn2_b64 vcc, exec, s[20:21]
	v_lshl_add_u64 v[48:49], v[200:201], 0, v[170:171]
	s_waitcnt lgkmcnt(0)
	s_barrier
	s_cbranch_vccnz .LBB50_168
; %bb.161:                              ;   in Loop: Header=BB50_148 Depth=1
	v_cmp_gt_i32_e32 vcc, s24, v225
	v_mov_b64_e32 v[40:41], 0
	v_mov_b64_e32 v[36:37], 0
	;; [unrolled: 1-line block ×3, first 2 shown]
	s_and_saveexec_b64 s[20:21], vcc
	s_cbranch_execz .LBB50_163
; %bb.162:                              ;   in Loop: Header=BB50_148 Depth=1
	flat_load_dwordx4 v[36:39], v[48:49]
.LBB50_163:                             ;   in Loop: Header=BB50_148 Depth=1
	s_or_b64 exec, exec, s[20:21]
	v_cmp_gt_i32_e32 vcc, s24, v226
	v_mov_b64_e32 v[42:43], 0
	s_and_saveexec_b64 s[20:21], vcc
	s_cbranch_execz .LBB50_165
; %bb.164:                              ;   in Loop: Header=BB50_148 Depth=1
	v_lshl_add_u64 v[40:41], v[196:197], 0, v[170:171]
	flat_load_dwordx4 v[40:43], v[40:41]
.LBB50_165:                             ;   in Loop: Header=BB50_148 Depth=1
	s_or_b64 exec, exec, s[20:21]
	v_cmp_gt_i32_e32 vcc, s24, v227
	v_mov_b64_e32 v[44:45], 0
	v_mov_b64_e32 v[46:47], 0
	s_and_saveexec_b64 s[20:21], vcc
	s_cbranch_execz .LBB50_167
; %bb.166:                              ;   in Loop: Header=BB50_148 Depth=1
	v_lshl_add_u64 v[44:45], v[204:205], 0, v[170:171]
	flat_load_dwordx4 v[44:47], v[44:45]
.LBB50_167:                             ;   in Loop: Header=BB50_148 Depth=1
	s_or_b64 exec, exec, s[20:21]
	v_cmp_gt_i32_e64 s[20:21], s24, v228
	s_branch .LBB50_170
.LBB50_168:                             ;   in Loop: Header=BB50_148 Depth=1
	s_mov_b64 s[20:21], 0
                                        ; implicit-def: $vgpr46_vgpr47
                                        ; implicit-def: $vgpr42_vgpr43
                                        ; implicit-def: $vgpr38_vgpr39
	s_cbranch_execz .LBB50_170
; %bb.169:                              ;   in Loop: Header=BB50_148 Depth=1
	s_waitcnt vmcnt(0) lgkmcnt(0)
	v_lshl_add_u64 v[40:41], v[196:197], 0, v[170:171]
	v_lshl_add_u64 v[44:45], v[190:191], 0, v[170:171]
	flat_load_dwordx4 v[36:39], v[48:49]
	s_or_b64 s[20:21], s[20:21], exec
	flat_load_dwordx4 v[40:43], v[40:41]
	s_nop 0
	flat_load_dwordx4 v[44:47], v[44:45]
.LBB50_170:                             ;   in Loop: Header=BB50_148 Depth=1
	v_mov_b64_e32 v[48:49], 0
	v_mov_b64_e32 v[50:51], 0
	s_and_saveexec_b64 s[22:23], s[20:21]
	s_cbranch_execz .LBB50_172
; %bb.171:                              ;   in Loop: Header=BB50_148 Depth=1
	v_lshl_add_u64 v[48:49], v[208:209], 0, v[170:171]
	flat_load_dwordx4 v[48:51], v[48:49]
.LBB50_172:                             ;   in Loop: Header=BB50_148 Depth=1
	s_or_b64 exec, exec, s[22:23]
	ds_read_b128 v[68:71], v217
	ds_read_b128 v[64:67], v216 offset:256
	ds_read_b128 v[60:63], v216 offset:272
	;; [unrolled: 1-line block ×4, first 2 shown]
	s_waitcnt vmcnt(0) lgkmcnt(0)
	v_mul_f64 v[72:73], v[38:39], v[70:71]
	v_mul_f64 v[74:75], v[38:39], v[68:69]
	v_fmac_f64_e32 v[72:73], v[36:37], v[68:69]
	v_fma_f64 v[74:75], v[36:37], v[70:71], -v[74:75]
	ds_write_b128 v218, v[72:75]
	v_mul_f64 v[72:73], v[42:43], v[70:71]
	v_mul_f64 v[74:75], v[42:43], v[68:69]
	v_fmac_f64_e32 v[72:73], v[40:41], v[68:69]
	v_fma_f64 v[74:75], v[40:41], v[70:71], -v[74:75]
	ds_write_b128 v218, v[72:75] offset:1072
	v_mul_f64 v[72:73], v[46:47], v[70:71]
	v_mul_f64 v[74:75], v[46:47], v[68:69]
	v_fmac_f64_e32 v[72:73], v[44:45], v[68:69]
	v_fma_f64 v[74:75], v[44:45], v[70:71], -v[74:75]
	ds_write_b128 v218, v[72:75] offset:2144
	v_mul_f64 v[72:73], v[50:51], v[70:71]
	v_fmac_f64_e32 v[72:73], v[48:49], v[68:69]
	v_mul_f64 v[68:69], v[50:51], v[68:69]
	v_fma_f64 v[74:75], v[48:49], v[70:71], -v[68:69]
	ds_write_b128 v218, v[72:75] offset:3216
	s_waitcnt lgkmcnt(0)
	s_barrier
	ds_read_b128 v[144:147], v219
	ds_read_b128 v[140:143], v219 offset:16
	ds_read_b128 v[136:139], v219 offset:32
	;; [unrolled: 1-line block ×3, first 2 shown]
	s_and_b64 vcc, exec, s[4:5]
	v_lshl_add_u64 v[96:97], v[202:203], 0, v[170:171]
	s_waitcnt lgkmcnt(0)
	s_barrier
	s_cbranch_vccnz .LBB50_180
; %bb.173:                              ;   in Loop: Header=BB50_148 Depth=1
	v_cmp_gt_i32_e32 vcc, s24, v229
	v_mov_b64_e32 v[72:73], 0
	v_mov_b64_e32 v[68:69], 0
	;; [unrolled: 1-line block ×3, first 2 shown]
	s_and_saveexec_b64 s[20:21], vcc
	s_cbranch_execz .LBB50_175
; %bb.174:                              ;   in Loop: Header=BB50_148 Depth=1
	flat_load_dwordx4 v[68:71], v[96:97]
.LBB50_175:                             ;   in Loop: Header=BB50_148 Depth=1
	s_or_b64 exec, exec, s[20:21]
	v_cmp_gt_i32_e32 vcc, s24, v230
	v_mov_b64_e32 v[74:75], 0
	s_and_saveexec_b64 s[20:21], vcc
	s_cbranch_execz .LBB50_177
; %bb.176:                              ;   in Loop: Header=BB50_148 Depth=1
	v_lshl_add_u64 v[72:73], v[206:207], 0, v[170:171]
	flat_load_dwordx4 v[72:75], v[72:73]
.LBB50_177:                             ;   in Loop: Header=BB50_148 Depth=1
	s_or_b64 exec, exec, s[20:21]
	v_cmp_gt_i32_e32 vcc, s24, v232
	v_mov_b64_e32 v[76:77], 0
	v_mov_b64_e32 v[78:79], 0
	s_and_saveexec_b64 s[20:21], vcc
	s_cbranch_execz .LBB50_179
; %bb.178:                              ;   in Loop: Header=BB50_148 Depth=1
	v_lshl_add_u64 v[76:77], v[198:199], 0, v[170:171]
	flat_load_dwordx4 v[76:79], v[76:77]
.LBB50_179:                             ;   in Loop: Header=BB50_148 Depth=1
	s_or_b64 exec, exec, s[20:21]
	v_cmp_gt_i32_e64 s[20:21], s24, v233
	s_branch .LBB50_182
.LBB50_180:                             ;   in Loop: Header=BB50_148 Depth=1
	s_mov_b64 s[20:21], 0
                                        ; implicit-def: $vgpr78_vgpr79
                                        ; implicit-def: $vgpr74_vgpr75
                                        ; implicit-def: $vgpr70_vgpr71
	s_cbranch_execz .LBB50_182
; %bb.181:                              ;   in Loop: Header=BB50_148 Depth=1
	s_waitcnt vmcnt(0) lgkmcnt(0)
	v_lshl_add_u64 v[72:73], v[206:207], 0, v[170:171]
	v_lshl_add_u64 v[76:77], v[210:211], 0, v[170:171]
	flat_load_dwordx4 v[68:71], v[96:97]
	s_or_b64 s[20:21], s[20:21], exec
	flat_load_dwordx4 v[72:75], v[72:73]
	s_nop 0
	flat_load_dwordx4 v[76:79], v[76:77]
.LBB50_182:                             ;   in Loop: Header=BB50_148 Depth=1
	v_mov_b64_e32 v[96:97], 0
	v_mov_b64_e32 v[98:99], 0
	s_and_saveexec_b64 s[22:23], s[20:21]
	s_cbranch_execz .LBB50_184
; %bb.183:                              ;   in Loop: Header=BB50_148 Depth=1
	v_lshl_add_u64 v[96:97], v[194:195], 0, v[170:171]
	flat_load_dwordx4 v[96:99], v[96:97]
.LBB50_184:                             ;   in Loop: Header=BB50_148 Depth=1
	s_or_b64 exec, exec, s[22:23]
	ds_read_b128 v[116:119], v217
	ds_read_b128 v[112:115], v216 offset:512
	ds_read_b128 v[108:111], v216 offset:528
	;; [unrolled: 1-line block ×4, first 2 shown]
	s_waitcnt vmcnt(0) lgkmcnt(0)
	v_mul_f64 v[120:121], v[70:71], v[118:119]
	v_mul_f64 v[122:123], v[70:71], v[116:117]
	v_fmac_f64_e32 v[120:121], v[68:69], v[116:117]
	v_fma_f64 v[122:123], v[68:69], v[118:119], -v[122:123]
	ds_write_b128 v218, v[120:123]
	v_mul_f64 v[120:121], v[74:75], v[118:119]
	v_mul_f64 v[122:123], v[74:75], v[116:117]
	v_fmac_f64_e32 v[120:121], v[72:73], v[116:117]
	v_fma_f64 v[122:123], v[72:73], v[118:119], -v[122:123]
	ds_write_b128 v218, v[120:123] offset:1072
	v_mul_f64 v[120:121], v[78:79], v[118:119]
	v_mul_f64 v[122:123], v[78:79], v[116:117]
	v_fmac_f64_e32 v[120:121], v[76:77], v[116:117]
	v_fma_f64 v[122:123], v[76:77], v[118:119], -v[122:123]
	ds_write_b128 v218, v[120:123] offset:2144
	v_mul_f64 v[120:121], v[98:99], v[118:119]
	v_fmac_f64_e32 v[120:121], v[96:97], v[116:117]
	v_mul_f64 v[116:117], v[98:99], v[116:117]
	v_fma_f64 v[122:123], v[96:97], v[118:119], -v[116:117]
	ds_write_b128 v218, v[120:123] offset:3216
	s_waitcnt lgkmcnt(0)
	s_barrier
	ds_read_b128 v[160:163], v219
	ds_read_b128 v[156:159], v219 offset:16
	ds_read_b128 v[152:155], v219 offset:32
	;; [unrolled: 1-line block ×3, first 2 shown]
	s_and_b64 vcc, exec, s[4:5]
	v_lshl_add_u64 v[128:129], v[182:183], 0, v[170:171]
	s_waitcnt lgkmcnt(0)
	s_barrier
	s_cbranch_vccnz .LBB50_192
; %bb.185:                              ;   in Loop: Header=BB50_148 Depth=1
	v_cmp_gt_i32_e32 vcc, s24, v234
	v_mov_b64_e32 v[120:121], 0
	v_mov_b64_e32 v[116:117], 0
	;; [unrolled: 1-line block ×3, first 2 shown]
	s_and_saveexec_b64 s[4:5], vcc
	s_cbranch_execz .LBB50_187
; %bb.186:                              ;   in Loop: Header=BB50_148 Depth=1
	flat_load_dwordx4 v[116:119], v[128:129]
.LBB50_187:                             ;   in Loop: Header=BB50_148 Depth=1
	s_or_b64 exec, exec, s[4:5]
	v_cmp_gt_i32_e32 vcc, s24, v235
	v_mov_b64_e32 v[122:123], 0
	s_and_saveexec_b64 s[4:5], vcc
	s_cbranch_execz .LBB50_189
; %bb.188:                              ;   in Loop: Header=BB50_148 Depth=1
	v_lshl_add_u64 v[120:121], v[186:187], 0, v[170:171]
	flat_load_dwordx4 v[120:123], v[120:121]
.LBB50_189:                             ;   in Loop: Header=BB50_148 Depth=1
	s_or_b64 exec, exec, s[4:5]
	v_cmp_gt_i32_e32 vcc, s24, v236
	v_mov_b64_e32 v[124:125], 0
	v_mov_b64_e32 v[126:127], 0
	s_and_saveexec_b64 s[4:5], vcc
	s_cbranch_execz .LBB50_191
; %bb.190:                              ;   in Loop: Header=BB50_148 Depth=1
	v_lshl_add_u64 v[124:125], v[178:179], 0, v[170:171]
	flat_load_dwordx4 v[124:127], v[124:125]
.LBB50_191:                             ;   in Loop: Header=BB50_148 Depth=1
	s_or_b64 exec, exec, s[4:5]
	v_cmp_gt_i32_e64 s[4:5], s24, v237
	s_branch .LBB50_194
.LBB50_192:                             ;   in Loop: Header=BB50_148 Depth=1
	s_mov_b64 s[4:5], 0
                                        ; implicit-def: $vgpr126_vgpr127
                                        ; implicit-def: $vgpr122_vgpr123
                                        ; implicit-def: $vgpr118_vgpr119
	s_cbranch_execz .LBB50_194
; %bb.193:                              ;   in Loop: Header=BB50_148 Depth=1
	s_waitcnt vmcnt(0) lgkmcnt(0)
	v_lshl_add_u64 v[120:121], v[186:187], 0, v[170:171]
	v_lshl_add_u64 v[124:125], v[192:193], 0, v[170:171]
	flat_load_dwordx4 v[116:119], v[128:129]
	s_or_b64 s[4:5], s[4:5], exec
	flat_load_dwordx4 v[120:123], v[120:121]
	s_nop 0
	flat_load_dwordx4 v[124:127], v[124:125]
.LBB50_194:                             ;   in Loop: Header=BB50_148 Depth=1
	v_mov_b64_e32 v[128:129], 0
	v_mov_b64_e32 v[130:131], 0
	s_and_saveexec_b64 s[20:21], s[4:5]
	s_cbranch_execz .LBB50_196
; %bb.195:                              ;   in Loop: Header=BB50_148 Depth=1
	v_lshl_add_u64 v[128:129], v[174:175], 0, v[170:171]
	flat_load_dwordx4 v[128:131], v[128:129]
.LBB50_196:                             ;   in Loop: Header=BB50_148 Depth=1
	s_or_b64 exec, exec, s[20:21]
	v_add_f64 v[160:161], v[160:161], 0
	v_add_f64 v[144:145], v[144:145], 0
	;; [unrolled: 1-line block ×19, first 2 shown]
	ds_read_b128 v[140:143], v217
	ds_read_b128 v[132:135], v216 offset:768
	ds_read_b128 v[92:95], v216 offset:784
	ds_read_b128 v[88:91], v216 offset:800
	ds_read_b128 v[84:87], v216 offset:816
	s_waitcnt vmcnt(0) lgkmcnt(0)
	v_mul_f64 v[144:145], v[118:119], v[142:143]
	v_mul_f64 v[146:147], v[118:119], v[140:141]
	v_fmac_f64_e32 v[144:145], v[116:117], v[140:141]
	v_fma_f64 v[146:147], v[116:117], v[142:143], -v[146:147]
	ds_write_b128 v218, v[144:147]
	v_mul_f64 v[144:145], v[122:123], v[142:143]
	v_mul_f64 v[146:147], v[122:123], v[140:141]
	v_fmac_f64_e32 v[144:145], v[120:121], v[140:141]
	v_fma_f64 v[146:147], v[120:121], v[142:143], -v[146:147]
	ds_write_b128 v218, v[144:147] offset:1072
	v_mul_f64 v[144:145], v[126:127], v[142:143]
	v_mul_f64 v[146:147], v[126:127], v[140:141]
	v_fmac_f64_e32 v[144:145], v[124:125], v[140:141]
	v_fma_f64 v[146:147], v[124:125], v[142:143], -v[146:147]
	ds_write_b128 v218, v[144:147] offset:2144
	v_mul_f64 v[144:145], v[130:131], v[142:143]
	v_fmac_f64_e32 v[144:145], v[128:129], v[140:141]
	v_mul_f64 v[140:141], v[130:131], v[140:141]
	v_fma_f64 v[146:147], v[128:129], v[142:143], -v[140:141]
	v_add_f64 v[162:163], v[162:163], 0
	ds_write_b128 v218, v[144:147] offset:3216
	s_waitcnt lgkmcnt(0)
	s_barrier
	ds_read_b128 v[140:143], v219
	v_add_f64 v[158:159], v[162:163], v[158:159]
	v_add_f64 v[154:155], v[158:159], v[154:155]
	;; [unrolled: 1-line block ×4, first 2 shown]
	ds_read_b128 v[144:147], v219 offset:16
	ds_read_b128 v[152:155], v219 offset:32
	ds_read_b128 v[156:159], v219 offset:48
	s_waitcnt lgkmcnt(3)
	v_add_f64 v[140:141], v[140:141], 0
	v_add_f64 v[142:143], v[142:143], 0
	v_cmp_gt_i32_e32 vcc, s24, v166
	s_waitcnt lgkmcnt(2)
	v_add_f64 v[140:141], v[140:141], v[144:145]
	v_add_f64 v[142:143], v[142:143], v[146:147]
	s_or_b64 s[4:5], s[14:15], vcc
	s_waitcnt lgkmcnt(1)
	v_add_f64 v[140:141], v[140:141], v[152:153]
	v_add_f64 v[142:143], v[142:143], v[154:155]
	s_and_b64 s[14:15], s[0:1], s[4:5]
	s_waitcnt lgkmcnt(0)
	v_add_f64 v[140:141], v[140:141], v[156:157]
	v_add_f64 v[142:143], v[142:143], v[158:159]
	s_barrier
	ds_write_b128 v231, v[80:83]
	ds_write_b128 v231, v[136:139] offset:256
	ds_write_b128 v231, v[148:151] offset:512
	;; [unrolled: 1-line block ×3, first 2 shown]
	s_waitcnt lgkmcnt(0)
	s_barrier
	s_and_saveexec_b64 s[4:5], s[14:15]
	s_cbranch_execz .LBB50_198
; %bb.197:                              ;   in Loop: Header=BB50_148 Depth=1
	ds_read_b128 v[80:83], v220
	ds_read_b128 v[136:139], v220 offset:16
	ds_read_b128 v[140:143], v220 offset:32
	;; [unrolled: 1-line block ×3, first 2 shown]
	v_ashrrev_i32_e32 v213, 31, v212
	s_waitcnt lgkmcnt(2)
	v_add_f64 v[80:81], v[136:137], v[80:81]
	v_add_f64 v[136:137], v[138:139], v[82:83]
	s_waitcnt lgkmcnt(1)
	v_add_f64 v[138:139], v[80:81], v[140:141]
	ds_read_b128 v[80:83], v220 offset:64
	v_add_f64 v[140:141], v[136:137], v[142:143]
	s_waitcnt lgkmcnt(1)
	v_add_f64 v[142:143], v[138:139], v[144:145]
	ds_read_b128 v[136:139], v220 offset:80
	;; [unrolled: 4-line block ×9, first 2 shown]
	v_add_f64 v[82:83], v[144:145], v[82:83]
	s_waitcnt lgkmcnt(1)
	v_add_f64 v[136:137], v[80:81], v[136:137]
	v_add_f64 v[144:145], v[82:83], v[138:139]
	ds_read_b128 v[80:83], v220 offset:208
	s_waitcnt lgkmcnt(1)
	v_add_f64 v[146:147], v[136:137], v[140:141]
	ds_read_b128 v[136:139], v220 offset:224
	v_add_f64 v[144:145], v[144:145], v[142:143]
	ds_read_b128 v[140:143], v221
	s_waitcnt lgkmcnt(2)
	v_add_f64 v[80:81], v[146:147], v[80:81]
	v_add_f64 v[82:83], v[144:145], v[82:83]
	s_waitcnt lgkmcnt(1)
	v_add_f64 v[80:81], v[80:81], v[136:137]
	v_add_f64 v[82:83], v[82:83], v[138:139]
	;; [unrolled: 3-line block ×3, first 2 shown]
	v_lshl_add_u64 v[136:137], v[212:213], 4, s[6:7]
	global_store_dwordx4 v[136:137], v[80:83], off
.LBB50_198:                             ;   in Loop: Header=BB50_148 Depth=1
	s_or_b64 exec, exec, s[4:5]
	s_nop 0
	v_mul_f64 v[80:81], v[6:7], v[34:35]
	v_fma_f64 v[80:81], v[4:5], v[32:33], -v[80:81]
	v_mul_f64 v[4:5], v[4:5], v[34:35]
	v_mul_f64 v[34:35], v[10:11], v[30:31]
	v_add_f64 v[0:1], v[0:1], v[80:81]
	v_fma_f64 v[34:35], v[8:9], v[28:29], -v[34:35]
	v_mul_f64 v[8:9], v[8:9], v[30:31]
	v_mul_f64 v[30:31], v[14:15], v[26:27]
	v_add_f64 v[0:1], v[0:1], v[34:35]
	v_fma_f64 v[30:31], v[12:13], v[24:25], -v[30:31]
	v_mul_f64 v[12:13], v[12:13], v[26:27]
	v_mul_f64 v[26:27], v[18:19], v[22:23]
	v_fmac_f64_e32 v[4:5], v[6:7], v[32:33]
	v_add_f64 v[0:1], v[0:1], v[30:31]
	v_fma_f64 v[26:27], v[16:17], v[20:21], -v[26:27]
	v_add_f64 v[2:3], v[2:3], v[4:5]
	v_mul_f64 v[4:5], v[38:39], v[66:67]
	v_add_f64 v[0:1], v[0:1], v[26:27]
	v_fma_f64 v[4:5], v[36:37], v[64:65], -v[4:5]
	v_add_f64 v[0:1], v[0:1], v[4:5]
	v_mul_f64 v[4:5], v[42:43], v[62:63]
	v_fma_f64 v[4:5], v[40:41], v[60:61], -v[4:5]
	v_add_f64 v[0:1], v[0:1], v[4:5]
	v_mul_f64 v[4:5], v[46:47], v[58:59]
	;; [unrolled: 3-line block ×4, first 2 shown]
	v_fmac_f64_e32 v[8:9], v[10:11], v[28:29]
	v_fma_f64 v[4:5], v[68:69], v[112:113], -v[4:5]
	v_mul_f64 v[16:17], v[16:17], v[22:23]
	v_add_f64 v[2:3], v[2:3], v[8:9]
	v_fmac_f64_e32 v[12:13], v[14:15], v[24:25]
	v_add_f64 v[0:1], v[0:1], v[4:5]
	v_mul_f64 v[4:5], v[74:75], v[110:111]
	v_add_f64 v[2:3], v[2:3], v[12:13]
	v_fmac_f64_e32 v[16:17], v[18:19], v[20:21]
	v_mul_f64 v[6:7], v[36:37], v[66:67]
	v_fma_f64 v[4:5], v[72:73], v[108:109], -v[4:5]
	v_add_f64 v[2:3], v[2:3], v[16:17]
	v_mul_f64 v[8:9], v[40:41], v[62:63]
	v_fmac_f64_e32 v[6:7], v[38:39], v[64:65]
	v_add_f64 v[0:1], v[0:1], v[4:5]
	v_mul_f64 v[4:5], v[78:79], v[106:107]
	v_mul_f64 v[10:11], v[44:45], v[58:59]
	v_add_f64 v[2:3], v[2:3], v[6:7]
	v_fmac_f64_e32 v[8:9], v[42:43], v[60:61]
	v_fma_f64 v[4:5], v[76:77], v[104:105], -v[4:5]
	v_mul_f64 v[12:13], v[48:49], v[54:55]
	v_add_f64 v[2:3], v[2:3], v[8:9]
	v_fmac_f64_e32 v[10:11], v[46:47], v[56:57]
	v_add_f64 v[0:1], v[0:1], v[4:5]
	v_mul_f64 v[4:5], v[98:99], v[102:103]
	v_add_f64 v[2:3], v[2:3], v[10:11]
	v_fmac_f64_e32 v[12:13], v[50:51], v[52:53]
	v_mul_f64 v[6:7], v[68:69], v[114:115]
	v_fma_f64 v[4:5], v[96:97], v[100:101], -v[4:5]
	v_add_f64 v[2:3], v[2:3], v[12:13]
	v_mul_f64 v[8:9], v[72:73], v[110:111]
	v_add_f64 v[0:1], v[0:1], v[4:5]
	v_fmac_f64_e32 v[6:7], v[70:71], v[112:113]
	v_mul_f64 v[4:5], v[118:119], v[134:135]
	v_mul_f64 v[10:11], v[76:77], v[106:107]
	v_add_f64 v[2:3], v[2:3], v[6:7]
	v_fmac_f64_e32 v[8:9], v[74:75], v[108:109]
	v_fma_f64 v[4:5], v[116:117], v[132:133], -v[4:5]
	v_mul_f64 v[12:13], v[96:97], v[102:103]
	v_add_f64 v[2:3], v[2:3], v[8:9]
	v_fmac_f64_e32 v[10:11], v[78:79], v[104:105]
	v_add_f64 v[0:1], v[0:1], v[4:5]
	v_mul_f64 v[4:5], v[122:123], v[94:95]
	v_add_f64 v[2:3], v[2:3], v[10:11]
	v_fmac_f64_e32 v[12:13], v[98:99], v[100:101]
	v_mul_f64 v[6:7], v[116:117], v[134:135]
	v_fma_f64 v[4:5], v[120:121], v[92:93], -v[4:5]
	v_add_f64 v[2:3], v[2:3], v[12:13]
	v_mul_f64 v[8:9], v[120:121], v[94:95]
	v_add_f64 v[0:1], v[0:1], v[4:5]
	v_mul_f64 v[4:5], v[126:127], v[90:91]
	v_fmac_f64_e32 v[6:7], v[118:119], v[132:133]
	v_fma_f64 v[4:5], v[124:125], v[88:89], -v[4:5]
	v_mul_f64 v[10:11], v[124:125], v[90:91]
	v_fmac_f64_e32 v[8:9], v[122:123], v[92:93]
	v_add_f64 v[2:3], v[2:3], v[6:7]
	v_add_f64 v[0:1], v[0:1], v[4:5]
	v_mul_f64 v[4:5], v[130:131], v[86:87]
	v_mul_f64 v[12:13], v[128:129], v[86:87]
	v_fmac_f64_e32 v[10:11], v[126:127], v[88:89]
	v_add_f64 v[2:3], v[2:3], v[8:9]
	v_fma_f64 v[4:5], v[128:129], v[84:85], -v[4:5]
	v_fmac_f64_e32 v[12:13], v[130:131], v[84:85]
	v_add_f64 v[2:3], v[2:3], v[10:11]
	s_add_i32 s4, s2, 1
	s_add_i32 s8, s8, s26
	;; [unrolled: 1-line block ×3, first 2 shown]
	v_add_f64 v[0:1], v[0:1], v[4:5]
	v_add_f64 v[2:3], v[2:3], v[12:13]
	v_add_u32_e32 v212, 64, v212
	v_lshl_add_u64 v[172:173], v[172:173], 0, s[10:11]
	v_lshl_add_u64 v[174:175], v[174:175], 0, s[10:11]
	;; [unrolled: 1-line block ×19, first 2 shown]
	s_cmp_ge_u32 s2, s3
	v_lshl_add_u64 v[210:211], v[210:211], 0, s[10:11]
	s_barrier
	s_cbranch_scc0 .LBB50_143
.LBB50_199:
	s_movk_i32 s0, 0x430
	v_cmp_gt_i32_e32 vcc, s16, v166
	v_mad_u32_u24 v4, v165, s0, v167
	s_or_b64 s[0:1], s[18:19], vcc
	s_and_b64 s[0:1], s[12:13], s[0:1]
	ds_write_b128 v4, v[0:3]
	s_waitcnt lgkmcnt(0)
	s_barrier
	s_and_saveexec_b64 s[2:3], s[0:1]
	s_cbranch_execz .LBB50_201
; %bb.200:
	ds_read_b128 v[0:3], v167 offset:1072
	ds_read_b128 v[4:7], v167
	ds_read_b128 v[8:11], v167 offset:2144
	ds_read_b128 v[12:15], v167 offset:3216
	v_ashrrev_i32_e32 v165, 31, v164
	s_waitcnt lgkmcnt(2)
	v_add_f64 v[0:1], v[0:1], v[4:5]
	v_add_f64 v[2:3], v[2:3], v[6:7]
	s_waitcnt lgkmcnt(1)
	v_add_f64 v[0:1], v[0:1], v[8:9]
	v_add_f64 v[2:3], v[2:3], v[10:11]
	;; [unrolled: 3-line block ×3, first 2 shown]
	v_lshl_add_u64 v[4:5], v[164:165], 4, s[6:7]
	global_store_dwordx4 v[4:5], v[0:3], off
.LBB50_201:
	s_endpgm
	.section	.rodata,"a",@progbits
	.p2align	6, 0x0
	.amdhsa_kernel _ZL26rocblas_hemvn_kernel_upperILb1ELi64ELi4ELi33ELi32ELi16EiPK19rocblas_complex_numIdEPKS3_PS1_EviT6_lT7_lT5_lS8_lS9_lS7_lT8_i
		.amdhsa_group_segment_fixed_size 19200
		.amdhsa_private_segment_fixed_size 0
		.amdhsa_kernarg_size 376
		.amdhsa_user_sgpr_count 2
		.amdhsa_user_sgpr_dispatch_ptr 0
		.amdhsa_user_sgpr_queue_ptr 0
		.amdhsa_user_sgpr_kernarg_segment_ptr 1
		.amdhsa_user_sgpr_dispatch_id 0
		.amdhsa_user_sgpr_kernarg_preload_length 0
		.amdhsa_user_sgpr_kernarg_preload_offset 0
		.amdhsa_user_sgpr_private_segment_size 0
		.amdhsa_uses_dynamic_stack 0
		.amdhsa_enable_private_segment 0
		.amdhsa_system_sgpr_workgroup_id_x 1
		.amdhsa_system_sgpr_workgroup_id_y 0
		.amdhsa_system_sgpr_workgroup_id_z 1
		.amdhsa_system_sgpr_workgroup_info 0
		.amdhsa_system_vgpr_workitem_id 1
		.amdhsa_next_free_vgpr 242
		.amdhsa_next_free_sgpr 40
		.amdhsa_accum_offset 244
		.amdhsa_reserve_vcc 1
		.amdhsa_float_round_mode_32 0
		.amdhsa_float_round_mode_16_64 0
		.amdhsa_float_denorm_mode_32 3
		.amdhsa_float_denorm_mode_16_64 3
		.amdhsa_dx10_clamp 1
		.amdhsa_ieee_mode 1
		.amdhsa_fp16_overflow 0
		.amdhsa_tg_split 0
		.amdhsa_exception_fp_ieee_invalid_op 0
		.amdhsa_exception_fp_denorm_src 0
		.amdhsa_exception_fp_ieee_div_zero 0
		.amdhsa_exception_fp_ieee_overflow 0
		.amdhsa_exception_fp_ieee_underflow 0
		.amdhsa_exception_fp_ieee_inexact 0
		.amdhsa_exception_int_div_zero 0
	.end_amdhsa_kernel
	.section	.text._ZL26rocblas_hemvn_kernel_upperILb1ELi64ELi4ELi33ELi32ELi16EiPK19rocblas_complex_numIdEPKS3_PS1_EviT6_lT7_lT5_lS8_lS9_lS7_lT8_i,"axG",@progbits,_ZL26rocblas_hemvn_kernel_upperILb1ELi64ELi4ELi33ELi32ELi16EiPK19rocblas_complex_numIdEPKS3_PS1_EviT6_lT7_lT5_lS8_lS9_lS7_lT8_i,comdat
.Lfunc_end50:
	.size	_ZL26rocblas_hemvn_kernel_upperILb1ELi64ELi4ELi33ELi32ELi16EiPK19rocblas_complex_numIdEPKS3_PS1_EviT6_lT7_lT5_lS8_lS9_lS7_lT8_i, .Lfunc_end50-_ZL26rocblas_hemvn_kernel_upperILb1ELi64ELi4ELi33ELi32ELi16EiPK19rocblas_complex_numIdEPKS3_PS1_EviT6_lT7_lT5_lS8_lS9_lS7_lT8_i
                                        ; -- End function
	.set _ZL26rocblas_hemvn_kernel_upperILb1ELi64ELi4ELi33ELi32ELi16EiPK19rocblas_complex_numIdEPKS3_PS1_EviT6_lT7_lT5_lS8_lS9_lS7_lT8_i.num_vgpr, 242
	.set _ZL26rocblas_hemvn_kernel_upperILb1ELi64ELi4ELi33ELi32ELi16EiPK19rocblas_complex_numIdEPKS3_PS1_EviT6_lT7_lT5_lS8_lS9_lS7_lT8_i.num_agpr, 0
	.set _ZL26rocblas_hemvn_kernel_upperILb1ELi64ELi4ELi33ELi32ELi16EiPK19rocblas_complex_numIdEPKS3_PS1_EviT6_lT7_lT5_lS8_lS9_lS7_lT8_i.numbered_sgpr, 40
	.set _ZL26rocblas_hemvn_kernel_upperILb1ELi64ELi4ELi33ELi32ELi16EiPK19rocblas_complex_numIdEPKS3_PS1_EviT6_lT7_lT5_lS8_lS9_lS7_lT8_i.num_named_barrier, 0
	.set _ZL26rocblas_hemvn_kernel_upperILb1ELi64ELi4ELi33ELi32ELi16EiPK19rocblas_complex_numIdEPKS3_PS1_EviT6_lT7_lT5_lS8_lS9_lS7_lT8_i.private_seg_size, 0
	.set _ZL26rocblas_hemvn_kernel_upperILb1ELi64ELi4ELi33ELi32ELi16EiPK19rocblas_complex_numIdEPKS3_PS1_EviT6_lT7_lT5_lS8_lS9_lS7_lT8_i.uses_vcc, 1
	.set _ZL26rocblas_hemvn_kernel_upperILb1ELi64ELi4ELi33ELi32ELi16EiPK19rocblas_complex_numIdEPKS3_PS1_EviT6_lT7_lT5_lS8_lS9_lS7_lT8_i.uses_flat_scratch, 0
	.set _ZL26rocblas_hemvn_kernel_upperILb1ELi64ELi4ELi33ELi32ELi16EiPK19rocblas_complex_numIdEPKS3_PS1_EviT6_lT7_lT5_lS8_lS9_lS7_lT8_i.has_dyn_sized_stack, 0
	.set _ZL26rocblas_hemvn_kernel_upperILb1ELi64ELi4ELi33ELi32ELi16EiPK19rocblas_complex_numIdEPKS3_PS1_EviT6_lT7_lT5_lS8_lS9_lS7_lT8_i.has_recursion, 0
	.set _ZL26rocblas_hemvn_kernel_upperILb1ELi64ELi4ELi33ELi32ELi16EiPK19rocblas_complex_numIdEPKS3_PS1_EviT6_lT7_lT5_lS8_lS9_lS7_lT8_i.has_indirect_call, 0
	.section	.AMDGPU.csdata,"",@progbits
; Kernel info:
; codeLenInByte = 10964
; TotalNumSgprs: 46
; NumVgprs: 242
; NumAgprs: 0
; TotalNumVgprs: 242
; ScratchSize: 0
; MemoryBound: 1
; FloatMode: 240
; IeeeMode: 1
; LDSByteSize: 19200 bytes/workgroup (compile time only)
; SGPRBlocks: 5
; VGPRBlocks: 30
; NumSGPRsForWavesPerEU: 46
; NumVGPRsForWavesPerEU: 242
; AccumOffset: 244
; Occupancy: 2
; WaveLimiterHint : 1
; COMPUTE_PGM_RSRC2:SCRATCH_EN: 0
; COMPUTE_PGM_RSRC2:USER_SGPR: 2
; COMPUTE_PGM_RSRC2:TRAP_HANDLER: 0
; COMPUTE_PGM_RSRC2:TGID_X_EN: 1
; COMPUTE_PGM_RSRC2:TGID_Y_EN: 0
; COMPUTE_PGM_RSRC2:TGID_Z_EN: 1
; COMPUTE_PGM_RSRC2:TIDIG_COMP_CNT: 1
; COMPUTE_PGM_RSRC3_GFX90A:ACCUM_OFFSET: 60
; COMPUTE_PGM_RSRC3_GFX90A:TG_SPLIT: 0
	.section	.text._ZL36rocblas_hemvn_kernel_upper_block_sumILi64EiPK19rocblas_complex_numIdEPKPS1_S1_EviT1_lS7_lT2_lT0_lPT3_i,"axG",@progbits,_ZL36rocblas_hemvn_kernel_upper_block_sumILi64EiPK19rocblas_complex_numIdEPKPS1_S1_EviT1_lS7_lT2_lT0_lPT3_i,comdat
	.globl	_ZL36rocblas_hemvn_kernel_upper_block_sumILi64EiPK19rocblas_complex_numIdEPKPS1_S1_EviT1_lS7_lT2_lT0_lPT3_i ; -- Begin function _ZL36rocblas_hemvn_kernel_upper_block_sumILi64EiPK19rocblas_complex_numIdEPKPS1_S1_EviT1_lS7_lT2_lT0_lPT3_i
	.p2align	8
	.type	_ZL36rocblas_hemvn_kernel_upper_block_sumILi64EiPK19rocblas_complex_numIdEPKPS1_S1_EviT1_lS7_lT2_lT0_lPT3_i,@function
_ZL36rocblas_hemvn_kernel_upper_block_sumILi64EiPK19rocblas_complex_numIdEPKPS1_S1_EviT1_lS7_lT2_lT0_lPT3_i: ; @_ZL36rocblas_hemvn_kernel_upper_block_sumILi64EiPK19rocblas_complex_numIdEPKPS1_S1_EviT1_lS7_lT2_lT0_lPT3_i
; %bb.0:
	s_load_dwordx8 s[4:11], s[0:1], 0x8
	s_mov_b32 s18, s3
	s_waitcnt lgkmcnt(0)
	s_mul_i32 s3, s7, s3
	s_mul_hi_u32 s7, s6, s18
	s_add_i32 s7, s7, s3
	s_mul_i32 s6, s6, s18
	s_lshl_b64 s[6:7], s[6:7], 4
	s_add_u32 s4, s4, s6
	s_addc_u32 s5, s5, s7
	s_load_dwordx4 s[12:15], s[4:5], 0x0
	s_mul_i32 s3, s11, s18
	s_mul_hi_u32 s4, s10, s18
	s_add_i32 s5, s4, s3
	s_mul_i32 s4, s10, s18
	s_lshl_b64 s[4:5], s[4:5], 4
	s_add_u32 s4, s8, s4
	s_addc_u32 s5, s9, s5
	s_load_dwordx4 s[8:11], s[4:5], 0x0
	s_waitcnt lgkmcnt(0)
	v_cmp_neq_f64_e64 s[4:5], s[12:13], 0
	v_cmp_neq_f64_e64 s[6:7], s[14:15], 0
	s_or_b64 s[4:5], s[4:5], s[6:7]
	s_mov_b64 s[6:7], -1
	s_and_b64 vcc, exec, s[4:5]
	s_cbranch_vccnz .LBB51_2
; %bb.1:
	v_cmp_neq_f64_e64 s[6:7], s[8:9], 1.0
	v_cmp_neq_f64_e64 s[16:17], s[10:11], 0
	s_or_b64 s[6:7], s[6:7], s[16:17]
.LBB51_2:
	s_andn2_b64 vcc, exec, s[6:7]
	s_cbranch_vccnz .LBB51_22
; %bb.3:
	s_load_dwordx4 s[24:27], s[0:1], 0x28
	s_mov_b32 s19, 0
	s_xor_b64 s[4:5], s[4:5], -1
	s_lshl_b64 s[6:7], s[18:19], 3
	s_load_dword s3, s[0:1], 0x38
	s_load_dword s20, s[0:1], 0x0
	s_waitcnt lgkmcnt(0)
	s_add_u32 s6, s24, s6
	s_addc_u32 s7, s25, s7
	s_load_dwordx2 s[6:7], s[6:7], 0x0
	s_lshl_b64 s[16:17], s[26:27], 4
	v_lshl_or_b32 v4, s2, 6, v0
	s_waitcnt lgkmcnt(0)
	s_add_u32 s6, s6, s16
	s_addc_u32 s7, s7, s17
	s_andn2_b64 vcc, exec, s[4:5]
	v_cmp_gt_i32_e64 s[4:5], s20, v4
	s_cbranch_vccnz .LBB51_8
; %bb.4:
	s_mov_b64 s[22:23], 0
	s_mov_b64 s[16:17], 0
                                        ; implicit-def: $vgpr2_vgpr3
                                        ; implicit-def: $vgpr6_vgpr7
	s_and_saveexec_b64 s[24:25], s[4:5]
	s_cbranch_execz .LBB51_9
; %bb.5:
	v_cmp_neq_f64_e64 s[4:5], s[8:9], 0
	v_cmp_neq_f64_e64 s[16:17], s[10:11], 0
	v_mul_lo_u32 v6, s3, v4
	s_or_b64 s[4:5], s[4:5], s[16:17]
	v_mov_b64_e32 v[2:3], 0
	v_ashrrev_i32_e32 v7, 31, v6
	s_andn2_b64 vcc, exec, s[4:5]
	v_mov_b64_e32 v[0:1], 0
	s_cbranch_vccnz .LBB51_7
; %bb.6:
	v_lshl_add_u64 v[0:1], v[6:7], 4, s[6:7]
	flat_load_dwordx4 v[8:11], v[0:1]
	s_waitcnt vmcnt(0) lgkmcnt(0)
	v_mul_f64 v[0:1], s[10:11], v[10:11]
	v_mul_f64 v[2:3], s[8:9], v[10:11]
	v_fma_f64 v[0:1], s[8:9], v[8:9], -v[0:1]
	v_fmac_f64_e32 v[2:3], s[10:11], v[8:9]
.LBB51_7:
	s_mov_b64 s[16:17], exec
	s_or_b64 exec, exec, s[24:25]
	s_and_b64 vcc, exec, s[22:23]
	s_cbranch_vccnz .LBB51_10
	s_branch .LBB51_20
.LBB51_8:
	s_mov_b64 s[16:17], 0
                                        ; implicit-def: $vgpr2_vgpr3
                                        ; implicit-def: $vgpr6_vgpr7
	s_cbranch_execnz .LBB51_10
	s_branch .LBB51_20
.LBB51_9:
	s_or_b64 exec, exec, s[24:25]
	s_and_b64 vcc, exec, s[22:23]
	s_cbranch_vccz .LBB51_20
.LBB51_10:
	v_cmp_gt_i32_e32 vcc, s20, v4
                                        ; implicit-def: $vgpr2_vgpr3
                                        ; implicit-def: $vgpr6_vgpr7
	s_and_saveexec_b64 s[4:5], vcc
	s_cbranch_execz .LBB51_19
; %bb.11:
	v_mov_b64_e32 v[0:1], 0
	s_cmp_lt_i32 s2, 0
	v_mov_b64_e32 v[8:9], 0
	s_cbranch_scc1 .LBB51_14
; %bb.12:
	s_load_dwordx2 s[22:23], s[0:1], 0x48
	s_load_dword s19, s[0:1], 0x58
	s_ashr_i32 s21, s20, 31
	s_mul_hi_u32 s0, s20, s18
	s_mul_i32 s1, s21, s18
	s_add_i32 s0, s0, s1
	s_mul_i32 s18, s20, s18
	s_waitcnt lgkmcnt(0)
	s_mul_i32 s0, s0, s19
	s_mul_hi_u32 s1, s18, s19
	s_add_i32 s1, s1, s0
	s_mul_i32 s0, s18, s19
	s_add_i32 s2, s2, 1
	s_lshl_b64 s[0:1], s[0:1], 4
	s_add_u32 s0, s22, s0
	v_mov_b32_e32 v5, 0
	s_addc_u32 s1, s23, s1
	v_lshl_add_u64 v[0:1], v[4:5], 4, s[0:1]
	v_lshl_add_u64 v[2:3], v[0:1], 0, 8
	s_lshl_b64 s[0:1], s[20:21], 4
	v_mov_b64_e32 v[0:1], 0
	v_mov_b64_e32 v[8:9], 0
.LBB51_13:                              ; =>This Inner Loop Header: Depth=1
	global_load_dwordx4 v[10:13], v[2:3], off offset:-8
	s_add_i32 s2, s2, -1
	v_lshl_add_u64 v[2:3], v[2:3], 0, s[0:1]
	s_cmp_eq_u32 s2, 0
	s_waitcnt vmcnt(0)
	v_add_f64 v[8:9], v[8:9], v[10:11]
	v_add_f64 v[0:1], v[0:1], v[12:13]
	s_cbranch_scc0 .LBB51_13
.LBB51_14:
	v_cmp_neq_f64_e64 s[18:19], s[8:9], 0
	v_cmp_neq_f64_e64 s[20:21], s[10:11], 0
	s_or_b64 s[18:19], s[18:19], s[20:21]
	v_mul_f64 v[10:11], s[14:15], v[0:1]
	v_mul_f64 v[2:3], s[12:13], v[0:1]
	v_mul_lo_u32 v6, s3, v4
	s_mov_b64 s[0:1], 0
	s_andn2_b64 vcc, exec, s[18:19]
	v_fma_f64 v[0:1], s[12:13], v[8:9], -v[10:11]
	v_fmac_f64_e32 v[2:3], s[14:15], v[8:9]
	v_ashrrev_i32_e32 v7, 31, v6
	s_cbranch_vccnz .LBB51_16
; %bb.15:
	s_mov_b64 s[0:1], -1
.LBB51_16:
	s_andn2_b64 vcc, exec, s[0:1]
	s_cbranch_vccnz .LBB51_18
; %bb.17:
	v_lshl_add_u64 v[4:5], v[6:7], 4, s[6:7]
	flat_load_dwordx4 v[8:11], v[4:5]
	s_waitcnt vmcnt(0) lgkmcnt(0)
	v_mul_f64 v[4:5], s[10:11], v[10:11]
	v_mul_f64 v[10:11], s[8:9], v[10:11]
	v_fma_f64 v[4:5], s[8:9], v[8:9], -v[4:5]
	v_fmac_f64_e32 v[10:11], s[10:11], v[8:9]
	v_add_f64 v[0:1], v[0:1], v[4:5]
	v_add_f64 v[2:3], v[2:3], v[10:11]
.LBB51_18:
	s_or_b64 s[16:17], s[16:17], exec
.LBB51_19:
	s_or_b64 exec, exec, s[4:5]
.LBB51_20:
	s_and_saveexec_b64 s[0:1], s[16:17]
	s_cbranch_execz .LBB51_22
; %bb.21:
	v_lshl_add_u64 v[4:5], v[6:7], 4, s[6:7]
	flat_store_dwordx4 v[4:5], v[0:3]
.LBB51_22:
	s_endpgm
	.section	.rodata,"a",@progbits
	.p2align	6, 0x0
	.amdhsa_kernel _ZL36rocblas_hemvn_kernel_upper_block_sumILi64EiPK19rocblas_complex_numIdEPKPS1_S1_EviT1_lS7_lT2_lT0_lPT3_i
		.amdhsa_group_segment_fixed_size 0
		.amdhsa_private_segment_fixed_size 0
		.amdhsa_kernarg_size 344
		.amdhsa_user_sgpr_count 2
		.amdhsa_user_sgpr_dispatch_ptr 0
		.amdhsa_user_sgpr_queue_ptr 0
		.amdhsa_user_sgpr_kernarg_segment_ptr 1
		.amdhsa_user_sgpr_dispatch_id 0
		.amdhsa_user_sgpr_kernarg_preload_length 0
		.amdhsa_user_sgpr_kernarg_preload_offset 0
		.amdhsa_user_sgpr_private_segment_size 0
		.amdhsa_uses_dynamic_stack 0
		.amdhsa_enable_private_segment 0
		.amdhsa_system_sgpr_workgroup_id_x 1
		.amdhsa_system_sgpr_workgroup_id_y 0
		.amdhsa_system_sgpr_workgroup_id_z 1
		.amdhsa_system_sgpr_workgroup_info 0
		.amdhsa_system_vgpr_workitem_id 0
		.amdhsa_next_free_vgpr 14
		.amdhsa_next_free_sgpr 28
		.amdhsa_accum_offset 16
		.amdhsa_reserve_vcc 1
		.amdhsa_float_round_mode_32 0
		.amdhsa_float_round_mode_16_64 0
		.amdhsa_float_denorm_mode_32 3
		.amdhsa_float_denorm_mode_16_64 3
		.amdhsa_dx10_clamp 1
		.amdhsa_ieee_mode 1
		.amdhsa_fp16_overflow 0
		.amdhsa_tg_split 0
		.amdhsa_exception_fp_ieee_invalid_op 0
		.amdhsa_exception_fp_denorm_src 0
		.amdhsa_exception_fp_ieee_div_zero 0
		.amdhsa_exception_fp_ieee_overflow 0
		.amdhsa_exception_fp_ieee_underflow 0
		.amdhsa_exception_fp_ieee_inexact 0
		.amdhsa_exception_int_div_zero 0
	.end_amdhsa_kernel
	.section	.text._ZL36rocblas_hemvn_kernel_upper_block_sumILi64EiPK19rocblas_complex_numIdEPKPS1_S1_EviT1_lS7_lT2_lT0_lPT3_i,"axG",@progbits,_ZL36rocblas_hemvn_kernel_upper_block_sumILi64EiPK19rocblas_complex_numIdEPKPS1_S1_EviT1_lS7_lT2_lT0_lPT3_i,comdat
.Lfunc_end51:
	.size	_ZL36rocblas_hemvn_kernel_upper_block_sumILi64EiPK19rocblas_complex_numIdEPKPS1_S1_EviT1_lS7_lT2_lT0_lPT3_i, .Lfunc_end51-_ZL36rocblas_hemvn_kernel_upper_block_sumILi64EiPK19rocblas_complex_numIdEPKPS1_S1_EviT1_lS7_lT2_lT0_lPT3_i
                                        ; -- End function
	.set _ZL36rocblas_hemvn_kernel_upper_block_sumILi64EiPK19rocblas_complex_numIdEPKPS1_S1_EviT1_lS7_lT2_lT0_lPT3_i.num_vgpr, 14
	.set _ZL36rocblas_hemvn_kernel_upper_block_sumILi64EiPK19rocblas_complex_numIdEPKPS1_S1_EviT1_lS7_lT2_lT0_lPT3_i.num_agpr, 0
	.set _ZL36rocblas_hemvn_kernel_upper_block_sumILi64EiPK19rocblas_complex_numIdEPKPS1_S1_EviT1_lS7_lT2_lT0_lPT3_i.numbered_sgpr, 28
	.set _ZL36rocblas_hemvn_kernel_upper_block_sumILi64EiPK19rocblas_complex_numIdEPKPS1_S1_EviT1_lS7_lT2_lT0_lPT3_i.num_named_barrier, 0
	.set _ZL36rocblas_hemvn_kernel_upper_block_sumILi64EiPK19rocblas_complex_numIdEPKPS1_S1_EviT1_lS7_lT2_lT0_lPT3_i.private_seg_size, 0
	.set _ZL36rocblas_hemvn_kernel_upper_block_sumILi64EiPK19rocblas_complex_numIdEPKPS1_S1_EviT1_lS7_lT2_lT0_lPT3_i.uses_vcc, 1
	.set _ZL36rocblas_hemvn_kernel_upper_block_sumILi64EiPK19rocblas_complex_numIdEPKPS1_S1_EviT1_lS7_lT2_lT0_lPT3_i.uses_flat_scratch, 0
	.set _ZL36rocblas_hemvn_kernel_upper_block_sumILi64EiPK19rocblas_complex_numIdEPKPS1_S1_EviT1_lS7_lT2_lT0_lPT3_i.has_dyn_sized_stack, 0
	.set _ZL36rocblas_hemvn_kernel_upper_block_sumILi64EiPK19rocblas_complex_numIdEPKPS1_S1_EviT1_lS7_lT2_lT0_lPT3_i.has_recursion, 0
	.set _ZL36rocblas_hemvn_kernel_upper_block_sumILi64EiPK19rocblas_complex_numIdEPKPS1_S1_EviT1_lS7_lT2_lT0_lPT3_i.has_indirect_call, 0
	.section	.AMDGPU.csdata,"",@progbits
; Kernel info:
; codeLenInByte = 768
; TotalNumSgprs: 34
; NumVgprs: 14
; NumAgprs: 0
; TotalNumVgprs: 14
; ScratchSize: 0
; MemoryBound: 0
; FloatMode: 240
; IeeeMode: 1
; LDSByteSize: 0 bytes/workgroup (compile time only)
; SGPRBlocks: 4
; VGPRBlocks: 1
; NumSGPRsForWavesPerEU: 34
; NumVGPRsForWavesPerEU: 14
; AccumOffset: 16
; Occupancy: 8
; WaveLimiterHint : 1
; COMPUTE_PGM_RSRC2:SCRATCH_EN: 0
; COMPUTE_PGM_RSRC2:USER_SGPR: 2
; COMPUTE_PGM_RSRC2:TRAP_HANDLER: 0
; COMPUTE_PGM_RSRC2:TGID_X_EN: 1
; COMPUTE_PGM_RSRC2:TGID_Y_EN: 0
; COMPUTE_PGM_RSRC2:TGID_Z_EN: 1
; COMPUTE_PGM_RSRC2:TIDIG_COMP_CNT: 0
; COMPUTE_PGM_RSRC3_GFX90A:ACCUM_OFFSET: 3
; COMPUTE_PGM_RSRC3_GFX90A:TG_SPLIT: 0
	.section	.text._ZL26rocblas_hemvn_kernel_upperILb1ELi64ELi4ELi33ELi32ELi16El19rocblas_complex_numIdEPKPKS1_PS1_EviT6_lT7_lT5_lS8_lS9_lS7_lT8_i,"axG",@progbits,_ZL26rocblas_hemvn_kernel_upperILb1ELi64ELi4ELi33ELi32ELi16El19rocblas_complex_numIdEPKPKS1_PS1_EviT6_lT7_lT5_lS8_lS9_lS7_lT8_i,comdat
	.globl	_ZL26rocblas_hemvn_kernel_upperILb1ELi64ELi4ELi33ELi32ELi16El19rocblas_complex_numIdEPKPKS1_PS1_EviT6_lT7_lT5_lS8_lS9_lS7_lT8_i ; -- Begin function _ZL26rocblas_hemvn_kernel_upperILb1ELi64ELi4ELi33ELi32ELi16El19rocblas_complex_numIdEPKPKS1_PS1_EviT6_lT7_lT5_lS8_lS9_lS7_lT8_i
	.p2align	8
	.type	_ZL26rocblas_hemvn_kernel_upperILb1ELi64ELi4ELi33ELi32ELi16El19rocblas_complex_numIdEPKPKS1_PS1_EviT6_lT7_lT5_lS8_lS9_lS7_lT8_i,@function
_ZL26rocblas_hemvn_kernel_upperILb1ELi64ELi4ELi33ELi32ELi16El19rocblas_complex_numIdEPKPKS1_PS1_EviT6_lT7_lT5_lS8_lS9_lS7_lT8_i: ; @_ZL26rocblas_hemvn_kernel_upperILb1ELi64ELi4ELi33ELi32ELi16El19rocblas_complex_numIdEPKPKS1_PS1_EviT6_lT7_lT5_lS8_lS9_lS7_lT8_i
; %bb.0:
	s_load_dwordx2 s[4:5], s[0:1], 0x94
	s_add_u32 s8, s0, 0x88
	s_mov_b32 s28, s3
	s_addc_u32 s9, s1, 0
	s_waitcnt lgkmcnt(0)
	s_and_b32 s3, s5, 0xffff
	s_lshr_b32 s5, s4, 16
	s_and_b32 s4, s4, 0xffff
	s_mul_i32 s4, s5, s4
	s_mul_i32 s4, s4, s3
	s_cmpk_lg_i32 s4, 0x100
	s_cbranch_scc1 .LBB52_201
; %bb.1:
	s_load_dwordx4 s[4:7], s[0:1], 0x8
	s_waitcnt lgkmcnt(0)
	v_cmp_neq_f64_e64 s[4:5], s[4:5], 0
	v_cmp_neq_f64_e64 s[6:7], s[6:7], 0
	s_or_b64 s[6:7], s[4:5], s[6:7]
	s_mov_b64 s[4:5], -1
	s_and_b64 vcc, exec, s[6:7]
	s_cbranch_vccnz .LBB52_3
; %bb.2:
	s_load_dwordx4 s[4:7], s[0:1], 0x60
	s_waitcnt lgkmcnt(0)
	v_cmp_eq_f64_e64 s[4:5], s[4:5], 1.0
	v_cmp_eq_f64_e64 s[6:7], s[6:7], 0
	s_and_b64 s[4:5], s[4:5], s[6:7]
	s_andn2_b64 vcc, exec, s[4:5]
	s_mov_b64 s[4:5], 0
.LBB52_3:
	s_andn2_b64 vcc, exec, s[4:5]
	s_cbranch_vccnz .LBB52_201
; %bb.4:
	s_load_dword s33, s[0:1], 0x0
	s_load_dwordx4 s[4:7], s[0:1], 0x20
	s_load_dwordx2 s[24:25], s[0:1], 0x30
	s_load_dwordx4 s[12:15], s[0:1], 0x40
	s_mov_b32 s29, 0
	s_lshl_b64 s[10:11], s[28:29], 3
	s_waitcnt lgkmcnt(0)
	s_add_u32 s16, s4, s10
	s_addc_u32 s17, s5, s11
	s_add_u32 s10, s12, s10
	s_addc_u32 s11, s13, s11
	s_load_dwordx2 s[12:13], s[10:11], 0x0
	s_load_dword s3, s[8:9], 0x0
	s_load_dwordx2 s[20:21], s[0:1], 0x50
	s_load_dwordx2 s[4:5], s[16:17], 0x0
	s_lshl_b64 s[8:9], s[14:15], 4
	s_waitcnt lgkmcnt(0)
	s_add_u32 s8, s12, s8
	s_addc_u32 s9, s13, s9
	s_ashr_i32 s36, s33, 31
	s_lshr_b32 s11, s36, 26
	v_and_b32_e32 v202, 0x3ff, v0
	s_lshl_b32 s26, s2, 6
	s_add_i32 s11, s33, s11
	s_andn2_b32 s11, s11, 63
	v_add_u32_e32 v164, s26, v202
	s_add_i32 s10, s3, -1
	s_sub_i32 s29, s33, s11
	v_ashrrev_i32_e32 v165, 31, v164
	v_bfe_u32 v203, v0, 10, 10
	s_cmp_eq_u32 s2, s10
	v_mul_lo_u32 v2, s20, v165
	v_mul_lo_u32 v3, s21, v164
	v_mad_u64_u32 v[0:1], s[10:11], s20, v164, 0
	v_add3_u32 v1, v1, v2, v3
	s_cselect_b32 s18, s29, 0
	v_lshl_add_u64 v[36:37], v[0:1], 4, s[8:9]
	v_cmp_eq_u32_e64 s[14:15], 0, v203
	s_and_saveexec_b64 s[8:9], s[14:15]
	s_cbranch_execz .LBB52_9
; %bb.5:
	s_cmp_lg_u32 s18, 0
	s_cselect_b64 s[10:11], -1, 0
	v_cmp_le_i32_e32 vcc, s18, v202
	v_mov_b32_e32 v0, 0x4700
	s_and_b64 s[10:11], s[10:11], vcc
	v_lshl_add_u32 v0, v202, 4, v0
	s_and_saveexec_b64 s[12:13], s[10:11]
	s_xor_b64 s[10:11], exec, s[12:13]
; %bb.6:
	v_mov_b32_e32 v2, 0
	v_mov_b32_e32 v3, v2
	;; [unrolled: 1-line block ×4, first 2 shown]
	ds_write_b128 v0, v[2:5]
                                        ; implicit-def: $vgpr0
; %bb.7:
	s_andn2_saveexec_b64 s[10:11], s[10:11]
	s_cbranch_execz .LBB52_9
; %bb.8:
	flat_load_dwordx4 v[2:5], v[36:37]
	s_waitcnt vmcnt(0) lgkmcnt(0)
	ds_write2_b64 v0, v[2:3], v[4:5] offset1:1
.LBB52_9:
	s_or_b64 exec, exec, s[8:9]
	s_lshl_b64 s[6:7], s[6:7], 4
	s_add_u32 s6, s4, s6
	s_addc_u32 s7, s5, s7
	s_ashr_i32 s27, s26, 31
	v_lshl_add_u32 v42, v203, 6, v202
	s_lshl_b64 s[4:5], s[26:27], 4
	v_and_b32_e32 v10, 31, v202
	v_lshrrev_b32_e32 v14, 5, v42
	s_add_u32 s4, s6, s4
	v_mov_b32_e32 v11, 0
	s_addc_u32 s5, s7, s5
	v_mad_u64_u32 v[38:39], s[6:7], s24, v14, v[10:11]
	v_mov_b32_e32 v0, v39
	v_mad_u64_u32 v[0:1], s[6:7], s25, v14, v[0:1]
	v_mov_b32_e32 v39, v0
	v_lshl_add_u64 v[0:1], v[38:39], 4, s[4:5]
	s_mul_hi_u32 s4, s24, s26
	s_mul_i32 s5, s24, s27
	s_add_i32 s4, s4, s5
	s_mul_i32 s5, s25, s26
	s_add_i32 s5, s4, s5
	s_cmp_eq_u32 s18, 0
	s_cselect_b64 s[22:23], -1, 0
	s_cmp_lg_u32 s18, 0
	s_mul_i32 s4, s24, s26
	s_cselect_b64 s[30:31], -1, 0
	v_lshl_add_u64 v[0:1], s[4:5], 4, v[0:1]
	s_and_b64 vcc, exec, s[30:31]
	v_cmp_gt_i32_e64 s[4:5], s18, v10
	v_lshlrev_b32_e32 v8, 4, v10
	v_lshlrev_b32_e32 v11, 4, v10
	s_cbranch_vccz .LBB52_27
; %bb.10:
	v_sub_co_u32_e32 v2, vcc, v0, v8
	s_ashr_i32 s19, s18, 31
	s_nop 0
	v_subbrev_co_u32_e32 v3, vcc, 0, v1, vcc
	v_lshl_add_u64 v[2:3], s[18:19], 4, v[2:3]
	v_lshl_add_u64 v[2:3], v[2:3], 0, -16
	s_movk_i32 s6, 0x210
	v_cndmask_b32_e64 v3, v3, v1, s[4:5]
	v_cndmask_b32_e64 v2, v2, v0, s[4:5]
	v_cmp_le_i32_e32 vcc, s18, v14
	v_mad_u32_u24 v5, v14, s6, v11
	s_and_saveexec_b64 s[6:7], vcc
	s_xor_b64 s[6:7], exec, s[6:7]
; %bb.11:
	v_mov_b32_e32 v16, 0
	v_mov_b32_e32 v17, v16
	;; [unrolled: 1-line block ×4, first 2 shown]
	ds_write_b128 v5, v[16:19]
                                        ; implicit-def: $vgpr5
; %bb.12:
	s_or_saveexec_b64 s[6:7], s[6:7]
	v_mul_u32_u24_e32 v4, 0x210, v14
	s_xor_b64 exec, exec, s[6:7]
	s_cbranch_execz .LBB52_14
; %bb.13:
	flat_load_dwordx4 v[16:19], v[2:3]
	s_waitcnt vmcnt(0) lgkmcnt(0)
	ds_write2_b64 v5, v[16:17], v[18:19] offset1:1
.LBB52_14:
	s_or_b64 exec, exec, s[6:7]
	v_add_u32_e32 v5, 8, v14
	v_cmp_le_i32_e32 vcc, s18, v5
	v_add_u32_e32 v5, v4, v11
	s_and_saveexec_b64 s[6:7], vcc
	s_xor_b64 s[6:7], exec, s[6:7]
; %bb.15:
	v_mov_b32_e32 v16, 0
	v_mov_b32_e32 v17, v16
	;; [unrolled: 1-line block ×4, first 2 shown]
	ds_write_b128 v5, v[16:19] offset:4224
; %bb.16:
	s_andn2_saveexec_b64 s[6:7], s[6:7]
	s_cbranch_execz .LBB52_18
; %bb.17:
	s_lshl_b64 s[8:9], s[24:25], 7
	v_lshl_add_u64 v[6:7], v[2:3], 0, s[8:9]
	flat_load_dwordx4 v[16:19], v[6:7]
	s_movk_i32 s8, 0x1080
	v_add3_u32 v6, v4, v11, s8
	s_waitcnt vmcnt(0) lgkmcnt(0)
	ds_write2_b64 v6, v[16:17], v[18:19] offset1:1
.LBB52_18:
	s_or_b64 exec, exec, s[6:7]
	v_add_u32_e32 v6, 16, v14
	v_cmp_le_i32_e32 vcc, s18, v6
	s_and_saveexec_b64 s[6:7], vcc
	s_xor_b64 s[6:7], exec, s[6:7]
; %bb.19:
	v_mov_b32_e32 v16, 0
	v_mov_b32_e32 v17, v16
	;; [unrolled: 1-line block ×4, first 2 shown]
	ds_write_b128 v5, v[16:19] offset:8448
; %bb.20:
	s_andn2_saveexec_b64 s[6:7], s[6:7]
	s_cbranch_execz .LBB52_22
; %bb.21:
	s_lshl_b64 s[8:9], s[24:25], 8
	v_lshl_add_u64 v[6:7], v[2:3], 0, s[8:9]
	flat_load_dwordx4 v[16:19], v[6:7]
	s_movk_i32 s8, 0x2100
	v_add3_u32 v6, v4, v11, s8
	s_waitcnt vmcnt(0) lgkmcnt(0)
	ds_write2_b64 v6, v[16:17], v[18:19] offset1:1
.LBB52_22:
	s_or_b64 exec, exec, s[6:7]
	v_add_u32_e32 v6, 24, v14
	v_cmp_le_i32_e32 vcc, s18, v6
	s_and_saveexec_b64 s[6:7], vcc
	s_xor_b64 s[6:7], exec, s[6:7]
; %bb.23:
	v_mov_b32_e32 v16, 0
	v_mov_b32_e32 v17, v16
	;; [unrolled: 1-line block ×4, first 2 shown]
	ds_write_b128 v5, v[16:19] offset:12672
                                        ; implicit-def: $vgpr4
; %bb.24:
	s_andn2_saveexec_b64 s[6:7], s[6:7]
	s_cbranch_execz .LBB52_26
; %bb.25:
	v_mov_b32_e32 v5, 0x180
	v_mad_u64_u32 v[6:7], s[8:9], s24, v5, v[2:3]
	s_mul_i32 s8, s25, 0x180
	s_nop 0
	v_add_u32_e32 v7, s8, v7
	flat_load_dwordx4 v[16:19], v[6:7]
	s_movk_i32 s8, 0x3180
	v_add3_u32 v4, v4, v11, s8
	s_waitcnt vmcnt(0) lgkmcnt(0)
	ds_write2_b64 v4, v[16:17], v[18:19] offset1:1
.LBB52_26:
	s_or_b64 exec, exec, s[6:7]
	v_mov_b32_e32 v9, 0
	v_lshl_add_u64 v[2:3], v[2:3], 0, v[8:9]
	s_lshl_b64 s[6:7], s[18:19], 4
	v_mov_b32_e32 v4, s7
	v_subrev_co_u32_e32 v2, vcc, s6, v2
	s_nop 1
	v_subb_co_u32_e32 v3, vcc, v3, v4, vcc
	v_lshl_add_u64 v[2:3], v[2:3], 0, 16
	v_cndmask_b32_e64 v5, v3, v1, s[4:5]
	v_cndmask_b32_e64 v4, v2, v0, s[4:5]
	s_branch .LBB52_29
.LBB52_27:
                                        ; implicit-def: $vgpr4_vgpr5
	s_cbranch_execz .LBB52_29
; %bb.28:
	flat_load_dwordx4 v[2:5], v[0:1]
	v_mul_u32_u24_e32 v6, 0x210, v14
	s_lshl_b64 s[4:5], s[24:25], 7
	v_lshl_add_u32 v9, v10, 4, v6
	v_lshl_add_u64 v[6:7], v[0:1], 0, s[4:5]
	v_add_u32_e32 v12, 0x1080, v9
	s_waitcnt vmcnt(0) lgkmcnt(0)
	ds_write2_b64 v9, v[2:3], v[4:5] offset1:1
	flat_load_dwordx4 v[2:5], v[6:7]
	v_lshl_add_u64 v[6:7], v[6:7], 0, s[4:5]
	s_waitcnt vmcnt(0) lgkmcnt(0)
	ds_write2_b64 v12, v[2:3], v[4:5] offset1:1
	flat_load_dwordx4 v[2:5], v[6:7]
	v_add_u32_e32 v12, 0x2100, v9
	v_lshl_add_u64 v[6:7], v[6:7], 0, s[4:5]
	s_waitcnt vmcnt(0) lgkmcnt(0)
	ds_write2_b64 v12, v[2:3], v[4:5] offset1:1
	flat_load_dwordx4 v[2:5], v[6:7]
	v_add_u32_e32 v6, 0x3180, v9
	s_waitcnt vmcnt(0) lgkmcnt(0)
	ds_write2_b64 v6, v[2:3], v[4:5] offset1:1
	v_mov_b64_e32 v[4:5], v[0:1]
.LBB52_29:
	v_lshlrev_b32_e32 v17, 2, v14
	v_mul_u32_u24_e32 v15, 0x210, v10
	v_cmp_le_u32_e64 s[6:7], v17, v10
	s_mov_b64 s[4:5], 0
	s_waitcnt lgkmcnt(0)
	s_barrier
                                        ; implicit-def: $vgpr0
	s_and_saveexec_b64 s[8:9], s[6:7]
	s_xor_b64 s[8:9], exec, s[8:9]
	s_cbranch_execz .LBB52_33
; %bb.30:
	v_cmp_eq_u32_e32 vcc, v17, v10
                                        ; implicit-def: $vgpr0
	s_and_saveexec_b64 s[10:11], vcc
	s_xor_b64 s[10:11], exec, s[10:11]
; %bb.31:
	s_mov_b64 s[4:5], exec
	v_add_u32_e32 v0, v11, v15
; %bb.32:
	s_or_b64 exec, exec, s[10:11]
	s_and_b64 s[4:5], s[4:5], exec
.LBB52_33:
	s_or_saveexec_b64 s[8:9], s[8:9]
	v_lshl_or_b32 v1, v10, 9, v11
	v_mov_b64_e32 v[2:3], 0
	v_lshl_add_u32 v6, v17, 4, v1
	s_xor_b64 exec, exec, s[8:9]
	s_cbranch_execz .LBB52_35
; %bb.34:
	s_movk_i32 s10, 0x840
	v_mad_u32_u24 v0, v14, s10, v11
	ds_read_b128 v[0:3], v0
	s_or_b64 s[4:5], s[4:5], exec
	s_waitcnt lgkmcnt(0)
	v_xor_b32_e32 v3, 0x80000000, v3
	ds_write_b64 v6, v[0:1]
	v_mov_b32_e32 v0, v6
.LBB52_35:
	s_or_b64 exec, exec, s[8:9]
	s_and_saveexec_b64 s[8:9], s[4:5]
; %bb.36:
	ds_write_b64 v0, v[2:3] offset:8
; %bb.37:
	s_or_b64 exec, exec, s[8:9]
	v_or_b32_e32 v18, 1, v17
	v_cmp_ge_u32_e64 s[8:9], v17, v10
	s_mov_b64 s[4:5], 0
                                        ; implicit-def: $vgpr2_vgpr3
                                        ; implicit-def: $vgpr7
	s_and_saveexec_b64 s[10:11], s[8:9]
	s_xor_b64 s[10:11], exec, s[10:11]
	s_cbranch_execz .LBB52_73
; %bb.38:
	s_movk_i32 s12, 0x210
	v_mad_u32_u24 v0, v18, s12, v11
	ds_read_b128 v[0:3], v0
	s_mov_b64 s[4:5], exec
	v_add_u32_e32 v7, 16, v6
	s_waitcnt lgkmcnt(0)
	v_xor_b32_e32 v3, 0x80000000, v3
	ds_write_b64 v6, v[0:1] offset:16
	s_andn2_saveexec_b64 s[10:11], s[10:11]
	s_cbranch_execnz .LBB52_74
.LBB52_39:
	s_or_b64 exec, exec, s[10:11]
	s_and_saveexec_b64 s[10:11], s[4:5]
.LBB52_40:
	ds_write_b64 v7, v[2:3] offset:8
.LBB52_41:
	s_or_b64 exec, exec, s[10:11]
	v_or_b32_e32 v19, 2, v17
	v_cmp_le_u32_e64 s[10:11], v19, v10
	s_mov_b64 s[4:5], 0
                                        ; implicit-def: $vgpr7
	s_and_saveexec_b64 s[12:13], s[10:11]
	s_xor_b64 s[12:13], exec, s[12:13]
	s_cbranch_execz .LBB52_77
; %bb.42:
	v_cmp_eq_u32_e32 vcc, v19, v10
                                        ; implicit-def: $vgpr7
	s_and_saveexec_b64 s[16:17], vcc
; %bb.43:
	s_mov_b64 s[4:5], exec
	v_add_u32_e32 v7, v11, v15
; %bb.44:
	s_or_b64 exec, exec, s[16:17]
	s_and_b64 s[4:5], s[4:5], exec
	s_or_saveexec_b64 s[12:13], s[12:13]
	v_mov_b64_e32 v[2:3], 0
	s_xor_b64 exec, exec, s[12:13]
	s_cbranch_execnz .LBB52_78
.LBB52_45:
	s_or_b64 exec, exec, s[12:13]
	s_and_saveexec_b64 s[12:13], s[4:5]
.LBB52_46:
	ds_write_b64 v7, v[2:3] offset:8
.LBB52_47:
	s_or_b64 exec, exec, s[12:13]
	v_or_b32_e32 v20, 3, v17
	v_cmp_le_u32_e64 s[12:13], v20, v10
	s_mov_b64 s[4:5], 0
                                        ; implicit-def: $vgpr7
	s_and_saveexec_b64 s[16:17], s[12:13]
	s_xor_b64 s[16:17], exec, s[16:17]
	s_cbranch_execz .LBB52_79
; %bb.48:
	v_cmp_eq_u32_e32 vcc, v20, v10
                                        ; implicit-def: $vgpr7
	s_and_saveexec_b64 s[34:35], vcc
; %bb.49:
	s_mov_b64 s[4:5], exec
	v_add_u32_e32 v7, v11, v15
; %bb.50:
	s_or_b64 exec, exec, s[34:35]
	s_and_b64 s[4:5], s[4:5], exec
                                        ; implicit-def: $vgpr6
	s_or_saveexec_b64 s[16:17], s[16:17]
	v_mov_b64_e32 v[2:3], 0
	s_xor_b64 exec, exec, s[16:17]
	s_cbranch_execnz .LBB52_80
.LBB52_51:
	s_or_b64 exec, exec, s[16:17]
	s_and_saveexec_b64 s[16:17], s[4:5]
.LBB52_52:
	ds_write_b64 v7, v[2:3] offset:8
.LBB52_53:
	s_or_b64 exec, exec, s[16:17]
	s_movk_i32 s4, 0x840
	v_lshlrev_b32_e32 v21, 4, v17
	s_waitcnt lgkmcnt(0)
	s_barrier
	v_mad_u32_u24 v6, v14, s4, v11
	ds_read_b128 v[0:3], v21 offset:18176
	ds_read_b128 v[22:25], v6
	ds_read_b128 v[26:29], v21 offset:18192
	ds_read_b128 v[30:33], v21 offset:18208
	s_movk_i32 s19, 0x210
	v_mad_u32_u24 v9, v18, s19, v11
	s_waitcnt lgkmcnt(2)
	v_mul_f64 v[6:7], v[2:3], v[24:25]
	v_mul_f64 v[12:13], v[0:1], v[24:25]
	v_fma_f64 v[6:7], v[0:1], v[22:23], -v[6:7]
	v_fmac_f64_e32 v[12:13], v[2:3], v[22:23]
	ds_read_b128 v[22:25], v21 offset:18224
	ds_read_b128 v[44:47], v9
	v_add_f64 v[2:3], v[6:7], 0
	v_add_f64 v[6:7], v[12:13], 0
	v_mov_b64_e32 v[0:1], 0
	v_cmp_gt_u32_e64 s[4:5], 32, v42
	s_waitcnt lgkmcnt(0)
	v_mul_f64 v[12:13], v[28:29], v[46:47]
	v_fma_f64 v[12:13], v[26:27], v[44:45], -v[12:13]
	v_mul_f64 v[26:27], v[26:27], v[46:47]
	ds_read_b128 v[46:49], v9 offset:528
	v_fmac_f64_e32 v[26:27], v[28:29], v[44:45]
	v_add_f64 v[6:7], v[6:7], v[26:27]
	ds_read_b128 v[26:29], v9 offset:1056
	v_add_f64 v[2:3], v[2:3], v[12:13]
	s_waitcnt lgkmcnt(1)
	v_mul_f64 v[12:13], v[32:33], v[48:49]
	v_fma_f64 v[12:13], v[30:31], v[46:47], -v[12:13]
	v_add_f64 v[2:3], v[2:3], v[12:13]
	s_waitcnt lgkmcnt(0)
	v_mul_f64 v[12:13], v[24:25], v[28:29]
	v_mul_f64 v[30:31], v[30:31], v[48:49]
	v_fma_f64 v[12:13], v[22:23], v[26:27], -v[12:13]
	v_fmac_f64_e32 v[30:31], v[32:33], v[46:47]
	v_mul_f64 v[28:29], v[22:23], v[28:29]
	v_add_f64 v[22:23], v[2:3], v[12:13]
	v_mul_u32_u24_e32 v2, 33, v10
	v_add_f64 v[6:7], v[6:7], v[30:31]
	v_fmac_f64_e32 v[28:29], v[24:25], v[26:27]
	v_lshlrev_b32_e32 v43, 4, v2
	v_add_f64 v[24:25], v[6:7], v[28:29]
	v_lshl_add_u32 v44, v14, 4, v43
	v_mov_b64_e32 v[2:3], 0
	s_barrier
	ds_write_b128 v44, v[22:25]
	s_waitcnt lgkmcnt(0)
	s_barrier
	s_and_saveexec_b64 s[16:17], s[4:5]
	s_cbranch_execz .LBB52_55
; %bb.54:
	ds_read_b128 v[0:3], v43
	ds_read_b128 v[22:25], v43 offset:16
	ds_read_b128 v[26:29], v43 offset:32
	;; [unrolled: 1-line block ×3, first 2 shown]
	s_waitcnt lgkmcnt(2)
	v_add_f64 v[0:1], v[22:23], v[0:1]
	v_add_f64 v[6:7], v[24:25], v[2:3]
	s_waitcnt lgkmcnt(1)
	v_add_f64 v[12:13], v[0:1], v[26:27]
	ds_read_b128 v[0:3], v43 offset:64
	ds_read_b128 v[22:25], v43 offset:80
	v_add_f64 v[6:7], v[6:7], v[28:29]
	s_waitcnt lgkmcnt(2)
	v_add_f64 v[12:13], v[12:13], v[30:31]
	v_add_f64 v[6:7], v[6:7], v[32:33]
	ds_read_b128 v[26:29], v43 offset:96
	s_waitcnt lgkmcnt(2)
	v_add_f64 v[12:13], v[12:13], v[0:1]
	v_add_f64 v[6:7], v[6:7], v[2:3]
	ds_read_b128 v[0:3], v43 offset:112
	s_waitcnt lgkmcnt(2)
	v_add_f64 v[12:13], v[12:13], v[22:23]
	v_add_f64 v[6:7], v[6:7], v[24:25]
	s_waitcnt lgkmcnt(1)
	v_add_f64 v[12:13], v[12:13], v[26:27]
	v_add_f64 v[6:7], v[6:7], v[28:29]
	s_waitcnt lgkmcnt(0)
	v_add_f64 v[0:1], v[12:13], v[0:1]
	v_add_f64 v[2:3], v[6:7], v[2:3]
.LBB52_55:
	s_or_b64 exec, exec, s[16:17]
	s_lshl_b64 s[16:17], s[24:25], 9
	v_lshl_add_u64 v[6:7], v[4:5], 0, s[16:17]
	s_mov_b64 s[16:17], 0x200
	v_lshl_add_u64 v[4:5], v[6:7], 0, s[16:17]
	v_mad_u32_u24 v16, v14, s19, v11
	s_and_b64 vcc, exec, s[30:31]
	s_barrier
	s_cbranch_vccz .LBB52_81
; %bb.56:
	v_sub_co_u32_e32 v12, vcc, v6, v8
	s_ashr_i32 s19, s18, 31
	s_nop 0
	v_subbrev_co_u32_e32 v13, vcc, 0, v7, vcc
	v_or_b32_e32 v9, 32, v10
	v_lshl_add_u64 v[12:13], s[18:19], 4, v[12:13]
	v_lshl_add_u64 v[12:13], v[12:13], 0, -16
	v_cmp_gt_i32_e32 vcc, s18, v9
	s_sub_i32 s34, s18, 32
	v_cmp_le_i32_e64 s[16:17], s34, v14
	v_cndmask_b32_e32 v13, v13, v5, vcc
	v_cndmask_b32_e32 v12, v12, v4, vcc
	s_and_saveexec_b64 s[38:39], s[16:17]
	s_xor_b64 s[16:17], exec, s[38:39]
; %bb.57:
	v_mov_b32_e32 v22, 0
	v_mov_b32_e32 v23, v22
	;; [unrolled: 1-line block ×4, first 2 shown]
	ds_write_b128 v16, v[22:25]
; %bb.58:
	s_andn2_saveexec_b64 s[16:17], s[16:17]
	s_cbranch_execz .LBB52_60
; %bb.59:
	flat_load_dwordx4 v[22:25], v[12:13]
	s_waitcnt vmcnt(0) lgkmcnt(0)
	ds_write2_b64 v16, v[22:23], v[24:25] offset1:1
.LBB52_60:
	s_or_b64 exec, exec, s[16:17]
	v_add_u32_e32 v9, 8, v14
	v_cmp_le_i32_e64 s[16:17], s34, v9
	s_and_saveexec_b64 s[38:39], s[16:17]
	s_xor_b64 s[16:17], exec, s[38:39]
	s_cbranch_execz .LBB52_62
; %bb.61:
	s_movk_i32 s35, 0x210
	v_mov_b32_e32 v22, 0
	v_mad_u32_u24 v9, v9, s35, v11
	v_mov_b32_e32 v23, v22
	v_mov_b32_e32 v24, v22
	;; [unrolled: 1-line block ×3, first 2 shown]
	ds_write_b128 v9, v[22:25]
                                        ; implicit-def: $vgpr9
.LBB52_62:
	s_andn2_saveexec_b64 s[16:17], s[16:17]
	s_cbranch_execz .LBB52_64
; %bb.63:
	s_lshl_b64 s[38:39], s[24:25], 7
	v_lshl_add_u64 v[22:23], v[12:13], 0, s[38:39]
	flat_load_dwordx4 v[22:25], v[22:23]
	s_movk_i32 s35, 0x210
	v_mad_u32_u24 v9, v9, s35, v11
	s_waitcnt vmcnt(0) lgkmcnt(0)
	ds_write2_b64 v9, v[22:23], v[24:25] offset1:1
.LBB52_64:
	s_or_b64 exec, exec, s[16:17]
	v_add_u32_e32 v9, 16, v14
	v_cmp_le_i32_e64 s[16:17], s34, v9
	s_and_saveexec_b64 s[38:39], s[16:17]
	s_xor_b64 s[16:17], exec, s[38:39]
	s_cbranch_execz .LBB52_66
; %bb.65:
	s_movk_i32 s35, 0x210
	v_mov_b32_e32 v22, 0
	v_mad_u32_u24 v9, v9, s35, v11
	v_mov_b32_e32 v23, v22
	v_mov_b32_e32 v24, v22
	;; [unrolled: 1-line block ×3, first 2 shown]
	ds_write_b128 v9, v[22:25]
                                        ; implicit-def: $vgpr9
.LBB52_66:
	s_andn2_saveexec_b64 s[16:17], s[16:17]
	s_cbranch_execz .LBB52_68
; %bb.67:
	s_lshl_b64 s[38:39], s[24:25], 8
	v_lshl_add_u64 v[22:23], v[12:13], 0, s[38:39]
	flat_load_dwordx4 v[22:25], v[22:23]
	s_movk_i32 s35, 0x210
	v_mad_u32_u24 v9, v9, s35, v11
	s_waitcnt vmcnt(0) lgkmcnt(0)
	ds_write2_b64 v9, v[22:23], v[24:25] offset1:1
.LBB52_68:
	s_or_b64 exec, exec, s[16:17]
	v_add_u32_e32 v9, 24, v14
	v_cmp_le_i32_e64 s[16:17], s34, v9
	s_and_saveexec_b64 s[34:35], s[16:17]
	s_xor_b64 s[16:17], exec, s[34:35]
	s_cbranch_execz .LBB52_70
; %bb.69:
	s_movk_i32 s34, 0x210
	v_mov_b32_e32 v22, 0
	v_mad_u32_u24 v9, v9, s34, v11
	v_mov_b32_e32 v23, v22
	v_mov_b32_e32 v24, v22
	;; [unrolled: 1-line block ×3, first 2 shown]
	ds_write_b128 v9, v[22:25]
                                        ; implicit-def: $vgpr9
.LBB52_70:
	s_andn2_saveexec_b64 s[16:17], s[16:17]
	s_cbranch_execz .LBB52_72
; %bb.71:
	v_mov_b32_e32 v22, 0x180
	v_mad_u64_u32 v[22:23], s[34:35], s24, v22, v[12:13]
	s_mul_i32 s34, s25, 0x180
	s_nop 0
	v_add_u32_e32 v23, s34, v23
	flat_load_dwordx4 v[22:25], v[22:23]
	s_movk_i32 s34, 0x210
	v_mad_u32_u24 v9, v9, s34, v11
	s_waitcnt vmcnt(0) lgkmcnt(0)
	ds_write2_b64 v9, v[22:23], v[24:25] offset1:1
.LBB52_72:
	s_or_b64 exec, exec, s[16:17]
	v_mov_b32_e32 v9, 0
	v_lshl_add_u64 v[12:13], v[12:13], 0, v[8:9]
	s_lshl_b64 s[16:17], s[18:19], 4
	v_mov_b32_e32 v9, s17
	v_subrev_co_u32_e64 v12, s[16:17], s16, v12
	s_nop 1
	v_subb_co_u32_e64 v13, s[16:17], v13, v9, s[16:17]
	s_mov_b64 s[16:17], 0x210
	s_nop 0
	v_lshl_add_u64 v[12:13], v[12:13], 0, s[16:17]
	v_cndmask_b32_e32 v13, v13, v5, vcc
	v_cndmask_b32_e32 v12, v12, v4, vcc
	s_branch .LBB52_83
.LBB52_73:
	s_andn2_saveexec_b64 s[10:11], s[10:11]
	s_cbranch_execz .LBB52_39
.LBB52_74:
	v_cmp_eq_u32_e32 vcc, v18, v10
	s_mov_b64 s[12:13], s[4:5]
                                        ; implicit-def: $vgpr7
	s_and_saveexec_b64 s[16:17], vcc
; %bb.75:
	v_add_u32_e32 v7, v11, v15
	s_or_b64 s[12:13], s[4:5], exec
; %bb.76:
	s_or_b64 exec, exec, s[16:17]
	s_andn2_b64 s[4:5], s[4:5], exec
	s_and_b64 s[12:13], s[12:13], exec
	v_mov_b64_e32 v[2:3], 0
	s_or_b64 s[4:5], s[4:5], s[12:13]
	s_or_b64 exec, exec, s[10:11]
	s_and_saveexec_b64 s[10:11], s[4:5]
	s_cbranch_execnz .LBB52_40
	s_branch .LBB52_41
.LBB52_77:
	s_or_saveexec_b64 s[12:13], s[12:13]
	v_mov_b64_e32 v[2:3], 0
	s_xor_b64 exec, exec, s[12:13]
	s_cbranch_execz .LBB52_45
.LBB52_78:
	s_movk_i32 s16, 0x210
	v_mad_u32_u24 v0, v19, s16, v11
	ds_read_b128 v[0:3], v0
	v_add_u32_e32 v7, 32, v6
	s_or_b64 s[4:5], s[4:5], exec
	s_waitcnt lgkmcnt(0)
	v_xor_b32_e32 v3, 0x80000000, v3
	ds_write_b64 v6, v[0:1] offset:32
	s_or_b64 exec, exec, s[12:13]
	s_and_saveexec_b64 s[12:13], s[4:5]
	s_cbranch_execnz .LBB52_46
	s_branch .LBB52_47
.LBB52_79:
	s_or_saveexec_b64 s[16:17], s[16:17]
	v_mov_b64_e32 v[2:3], 0
	s_xor_b64 exec, exec, s[16:17]
	s_cbranch_execz .LBB52_51
.LBB52_80:
	s_movk_i32 s19, 0x210
	v_mad_u32_u24 v0, v20, s19, v11
	ds_read_b128 v[0:3], v0
	v_add_u32_e32 v7, 48, v6
	s_or_b64 s[4:5], s[4:5], exec
	s_waitcnt lgkmcnt(0)
	v_xor_b32_e32 v3, 0x80000000, v3
	ds_write_b64 v6, v[0:1] offset:48
	s_or_b64 exec, exec, s[16:17]
	s_and_saveexec_b64 s[16:17], s[4:5]
	s_cbranch_execnz .LBB52_52
	s_branch .LBB52_53
.LBB52_81:
                                        ; implicit-def: $vgpr12_vgpr13
	s_cbranch_execz .LBB52_83
; %bb.82:
	flat_load_dwordx4 v[22:25], v[4:5]
	s_lshl_b64 s[16:17], s[24:25], 7
	v_lshl_add_u64 v[6:7], v[6:7], 0, s[16:17]
	v_add_u32_e32 v9, 0x1080, v16
	v_mov_b64_e32 v[12:13], v[4:5]
	s_waitcnt vmcnt(0) lgkmcnt(0)
	ds_write2_b64 v16, v[22:23], v[24:25] offset1:1
	flat_load_dwordx4 v[22:25], v[6:7] offset:512
	v_lshl_add_u64 v[6:7], v[6:7], 0, s[16:17]
	s_waitcnt vmcnt(0) lgkmcnt(0)
	ds_write2_b64 v9, v[22:23], v[24:25] offset1:1
	flat_load_dwordx4 v[22:25], v[6:7] offset:512
	v_add_u32_e32 v9, 0x2100, v16
	v_lshl_add_u64 v[6:7], v[6:7], 0, s[16:17]
	s_waitcnt vmcnt(0) lgkmcnt(0)
	ds_write2_b64 v9, v[22:23], v[24:25] offset1:1
	flat_load_dwordx4 v[22:25], v[6:7] offset:512
	v_add_u32_e32 v6, 0x3180, v16
	s_waitcnt vmcnt(0) lgkmcnt(0)
	ds_write2_b64 v6, v[22:23], v[24:25] offset1:1
.LBB52_83:
	v_mul_u32_u24_e32 v5, 0x840, v14
	s_mov_b64 s[16:17], 0
	s_waitcnt lgkmcnt(0)
	s_barrier
                                        ; implicit-def: $vgpr4
	s_and_saveexec_b64 s[34:35], s[6:7]
	s_xor_b64 s[6:7], exec, s[34:35]
	s_cbranch_execz .LBB52_87
; %bb.84:
	v_cmp_eq_u32_e32 vcc, v17, v10
                                        ; implicit-def: $vgpr4
	s_and_saveexec_b64 s[34:35], vcc
	s_xor_b64 s[34:35], exec, s[34:35]
; %bb.85:
	s_mov_b64 s[16:17], exec
	v_add_u32_e32 v4, v11, v15
; %bb.86:
	s_or_b64 exec, exec, s[34:35]
	s_and_b64 s[16:17], s[16:17], exec
.LBB52_87:
	s_or_saveexec_b64 s[6:7], s[6:7]
	v_mov_b64_e32 v[6:7], 0
	v_add_u32_e32 v32, v11, v5
	v_lshl_add_u32 v9, v17, 4, v43
	s_xor_b64 exec, exec, s[6:7]
	s_cbranch_execz .LBB52_89
; %bb.88:
	ds_read_b128 v[4:7], v32
	s_or_b64 s[16:17], s[16:17], exec
	s_waitcnt lgkmcnt(0)
	v_xor_b32_e32 v7, 0x80000000, v7
	ds_write_b64 v9, v[4:5]
	v_mov_b32_e32 v4, v9
.LBB52_89:
	s_or_b64 exec, exec, s[6:7]
	v_mul_u32_u24_e32 v5, 0x210, v18
	s_and_saveexec_b64 s[6:7], s[16:17]
; %bb.90:
	ds_write_b64 v4, v[6:7] offset:8
; %bb.91:
	s_or_b64 exec, exec, s[6:7]
	s_mov_b64 s[6:7], 0
	v_add_u32_e32 v45, v11, v5
                                        ; implicit-def: $vgpr6_vgpr7
                                        ; implicit-def: $vgpr17
	s_and_saveexec_b64 s[16:17], s[8:9]
	s_xor_b64 s[8:9], exec, s[16:17]
	s_cbranch_execz .LBB52_127
; %bb.92:
	ds_read_b128 v[4:7], v45
	s_mov_b64 s[6:7], exec
	v_add_u32_e32 v17, 16, v9
                                        ; implicit-def: $vgpr18
	s_waitcnt lgkmcnt(0)
	v_xor_b32_e32 v7, 0x80000000, v7
	ds_write_b64 v9, v[4:5] offset:16
	s_andn2_saveexec_b64 s[8:9], s[8:9]
	s_cbranch_execnz .LBB52_128
.LBB52_93:
	s_or_b64 exec, exec, s[8:9]
	s_and_saveexec_b64 s[8:9], s[6:7]
.LBB52_94:
	ds_write_b64 v17, v[6:7] offset:8
.LBB52_95:
	s_or_b64 exec, exec, s[8:9]
	s_mov_b64 s[6:7], 0
                                        ; implicit-def: $vgpr17
	s_and_saveexec_b64 s[8:9], s[10:11]
	s_xor_b64 s[8:9], exec, s[8:9]
	s_cbranch_execz .LBB52_131
; %bb.96:
	v_cmp_eq_u32_e32 vcc, v19, v10
                                        ; implicit-def: $vgpr17
	s_and_saveexec_b64 s[10:11], vcc
; %bb.97:
	s_mov_b64 s[6:7], exec
	v_add_u32_e32 v17, v11, v15
; %bb.98:
	s_or_b64 exec, exec, s[10:11]
	s_and_b64 s[6:7], s[6:7], exec
	s_or_saveexec_b64 s[8:9], s[8:9]
	v_mov_b64_e32 v[6:7], 0
	s_xor_b64 exec, exec, s[8:9]
	s_cbranch_execnz .LBB52_132
.LBB52_99:
	s_or_b64 exec, exec, s[8:9]
	s_and_saveexec_b64 s[8:9], s[6:7]
.LBB52_100:
	ds_write_b64 v17, v[6:7] offset:8
.LBB52_101:
	s_or_b64 exec, exec, s[8:9]
	s_mov_b64 s[6:7], 0
                                        ; implicit-def: $vgpr18
	s_and_saveexec_b64 s[8:9], s[12:13]
	s_xor_b64 s[8:9], exec, s[8:9]
	s_cbranch_execz .LBB52_133
; %bb.102:
	v_cmp_eq_u32_e32 vcc, v20, v10
                                        ; implicit-def: $vgpr18
	s_and_saveexec_b64 s[10:11], vcc
; %bb.103:
	s_mov_b64 s[6:7], exec
	v_add_u32_e32 v18, v11, v15
; %bb.104:
	s_or_b64 exec, exec, s[10:11]
	s_and_b64 s[6:7], s[6:7], exec
                                        ; implicit-def: $vgpr9
	s_or_saveexec_b64 s[8:9], s[8:9]
	v_mov_b64_e32 v[6:7], 0
	s_xor_b64 exec, exec, s[8:9]
	s_cbranch_execnz .LBB52_134
.LBB52_105:
	s_or_b64 exec, exec, s[8:9]
	v_add_u32_e32 v17, 0x4700, v21
	s_and_saveexec_b64 s[8:9], s[6:7]
.LBB52_106:
	ds_write_b64 v18, v[6:7] offset:8
.LBB52_107:
	s_or_b64 exec, exec, s[8:9]
	s_waitcnt lgkmcnt(0)
	s_barrier
	ds_read_b128 v[4:7], v32
	ds_read_b128 v[18:21], v17 offset:512
	ds_read_b128 v[22:25], v17 offset:528
	;; [unrolled: 1-line block ×5, first 2 shown]
	ds_read_b128 v[54:57], v45
	s_waitcnt lgkmcnt(5)
	v_mul_f64 v[30:31], v[20:21], v[6:7]
	v_mul_f64 v[6:7], v[18:19], v[6:7]
	v_fmac_f64_e32 v[6:7], v[20:21], v[4:5]
	v_fma_f64 v[30:31], v[18:19], v[4:5], -v[30:31]
	v_add_f64 v[20:21], v[6:7], 0
	ds_read_b128 v[4:7], v45 offset:528
	v_add_f64 v[18:19], v[30:31], 0
	s_waitcnt lgkmcnt(1)
	v_mul_f64 v[30:31], v[24:25], v[56:57]
	v_fma_f64 v[30:31], v[22:23], v[54:55], -v[30:31]
	v_mul_f64 v[22:23], v[22:23], v[56:57]
	v_fmac_f64_e32 v[22:23], v[24:25], v[54:55]
	v_add_f64 v[20:21], v[20:21], v[22:23]
	s_waitcnt lgkmcnt(0)
	v_mul_f64 v[22:23], v[28:29], v[6:7]
	v_mul_f64 v[6:7], v[26:27], v[6:7]
	v_add_f64 v[18:19], v[18:19], v[30:31]
	v_fma_f64 v[22:23], v[26:27], v[4:5], -v[22:23]
	v_fmac_f64_e32 v[6:7], v[28:29], v[4:5]
	v_add_f64 v[4:5], v[18:19], v[22:23]
	v_add_f64 v[6:7], v[20:21], v[6:7]
	v_mul_f64 v[18:19], v[48:49], v[52:53]
	v_mul_f64 v[20:21], v[46:47], v[52:53]
	v_fma_f64 v[18:19], v[46:47], v[50:51], -v[18:19]
	v_fmac_f64_e32 v[20:21], v[48:49], v[50:51]
	v_add_f64 v[4:5], v[4:5], v[18:19]
	v_add_f64 v[6:7], v[6:7], v[20:21]
	v_cmp_eq_u32_e64 s[6:7], 1, v14
	s_barrier
	ds_write_b128 v44, v[4:7]
	s_waitcnt lgkmcnt(0)
	s_barrier
	s_and_saveexec_b64 s[8:9], s[6:7]
	s_cbranch_execz .LBB52_109
; %bb.108:
	ds_read_b128 v[0:3], v43
	ds_read_b128 v[4:7], v43 offset:16
	ds_read_b128 v[18:21], v43 offset:32
	;; [unrolled: 1-line block ×3, first 2 shown]
	s_waitcnt lgkmcnt(2)
	v_add_f64 v[0:1], v[4:5], v[0:1]
	v_add_f64 v[4:5], v[6:7], v[2:3]
	s_waitcnt lgkmcnt(1)
	v_add_f64 v[6:7], v[0:1], v[18:19]
	ds_read_b128 v[0:3], v43 offset:64
	v_add_f64 v[4:5], v[4:5], v[20:21]
	s_waitcnt lgkmcnt(1)
	v_add_f64 v[18:19], v[6:7], v[22:23]
	v_add_f64 v[22:23], v[4:5], v[24:25]
	ds_read_b128 v[4:7], v43 offset:80
	s_waitcnt lgkmcnt(1)
	v_add_f64 v[24:25], v[18:19], v[0:1]
	ds_read_b128 v[18:21], v43 offset:96
	v_add_f64 v[22:23], v[22:23], v[2:3]
	ds_read_b128 v[0:3], v43 offset:112
	s_waitcnt lgkmcnt(2)
	v_add_f64 v[4:5], v[24:25], v[4:5]
	v_add_f64 v[6:7], v[22:23], v[6:7]
	s_waitcnt lgkmcnt(1)
	v_add_f64 v[4:5], v[4:5], v[18:19]
	v_add_f64 v[6:7], v[6:7], v[20:21]
	;; [unrolled: 3-line block ×3, first 2 shown]
.LBB52_109:
	s_or_b64 exec, exec, s[8:9]
	s_movk_i32 s8, 0xfe00
	s_mov_b32 s9, -1
	v_lshl_add_u64 v[4:5], v[12:13], 0, s[8:9]
	s_and_b64 vcc, exec, s[30:31]
	s_barrier
	s_cbranch_vccz .LBB52_135
; %bb.110:
	v_sub_co_u32_e32 v6, vcc, v4, v8
	s_ashr_i32 s19, s18, 31
	s_nop 0
	v_subbrev_co_u32_e32 v7, vcc, 0, v5, vcc
	v_lshl_add_u64 v[6:7], s[18:19], 4, v[6:7]
	v_lshl_add_u64 v[6:7], v[6:7], 0, -16
	v_cmp_gt_i32_e32 vcc, s18, v10
	s_sub_i32 s10, s18, 32
	v_cmp_le_i32_e64 s[8:9], s10, v14
	v_cndmask_b32_e32 v7, v7, v5, vcc
	v_cndmask_b32_e32 v6, v6, v4, vcc
	s_and_saveexec_b64 s[12:13], s[8:9]
	s_xor_b64 s[8:9], exec, s[12:13]
; %bb.111:
	v_mov_b32_e32 v18, 0
	v_mov_b32_e32 v19, v18
	;; [unrolled: 1-line block ×4, first 2 shown]
	ds_write_b128 v16, v[18:21]
; %bb.112:
	s_andn2_saveexec_b64 s[8:9], s[8:9]
	s_cbranch_execz .LBB52_114
; %bb.113:
	flat_load_dwordx4 v[18:21], v[6:7]
	s_waitcnt vmcnt(0) lgkmcnt(0)
	ds_write2_b64 v16, v[18:19], v[20:21] offset1:1
.LBB52_114:
	s_or_b64 exec, exec, s[8:9]
	v_add_u32_e32 v10, 8, v14
	v_cmp_le_i32_e64 s[8:9], s10, v10
	s_and_saveexec_b64 s[12:13], s[8:9]
	s_xor_b64 s[8:9], exec, s[12:13]
	s_cbranch_execz .LBB52_116
; %bb.115:
	s_movk_i32 s11, 0x210
	v_mov_b32_e32 v18, 0
	v_mad_u32_u24 v9, v10, s11, v11
	v_mov_b32_e32 v19, v18
	v_mov_b32_e32 v20, v18
	;; [unrolled: 1-line block ×3, first 2 shown]
	ds_write_b128 v9, v[18:21]
.LBB52_116:
	s_andn2_saveexec_b64 s[8:9], s[8:9]
	s_cbranch_execz .LBB52_118
; %bb.117:
	s_lshl_b64 s[12:13], s[24:25], 7
	v_lshl_add_u64 v[12:13], v[6:7], 0, s[12:13]
	flat_load_dwordx4 v[18:21], v[12:13]
	s_movk_i32 s11, 0x210
	v_mad_u32_u24 v9, v10, s11, v11
	s_waitcnt vmcnt(0) lgkmcnt(0)
	ds_write2_b64 v9, v[18:19], v[20:21] offset1:1
.LBB52_118:
	s_or_b64 exec, exec, s[8:9]
	v_add_u32_e32 v12, 16, v14
	v_cmp_le_i32_e64 s[8:9], s10, v12
	s_and_saveexec_b64 s[12:13], s[8:9]
	s_xor_b64 s[8:9], exec, s[12:13]
	s_cbranch_execz .LBB52_120
; %bb.119:
	s_movk_i32 s11, 0x210
	v_mov_b32_e32 v18, 0
	v_mad_u32_u24 v9, v12, s11, v11
	v_mov_b32_e32 v19, v18
	v_mov_b32_e32 v20, v18
	;; [unrolled: 1-line block ×3, first 2 shown]
	ds_write_b128 v9, v[18:21]
.LBB52_120:
	s_andn2_saveexec_b64 s[8:9], s[8:9]
	s_cbranch_execz .LBB52_122
; %bb.121:
	s_lshl_b64 s[12:13], s[24:25], 8
	v_lshl_add_u64 v[18:19], v[6:7], 0, s[12:13]
	flat_load_dwordx4 v[18:21], v[18:19]
	s_movk_i32 s11, 0x210
	v_mad_u32_u24 v9, v12, s11, v11
	s_waitcnt vmcnt(0) lgkmcnt(0)
	ds_write2_b64 v9, v[18:19], v[20:21] offset1:1
.LBB52_122:
	s_or_b64 exec, exec, s[8:9]
	v_add_u32_e32 v13, 24, v14
	v_cmp_le_i32_e64 s[8:9], s10, v13
	s_and_saveexec_b64 s[10:11], s[8:9]
	s_xor_b64 s[8:9], exec, s[10:11]
	s_cbranch_execz .LBB52_124
; %bb.123:
	s_movk_i32 s10, 0x210
	v_mov_b32_e32 v18, 0
	v_mad_u32_u24 v9, v13, s10, v11
	v_mov_b32_e32 v19, v18
	v_mov_b32_e32 v20, v18
	;; [unrolled: 1-line block ×3, first 2 shown]
	ds_write_b128 v9, v[18:21]
.LBB52_124:
	s_andn2_saveexec_b64 s[8:9], s[8:9]
	s_cbranch_execz .LBB52_126
; %bb.125:
	v_mov_b32_e32 v9, 0x180
	v_mad_u64_u32 v[18:19], s[10:11], s24, v9, v[6:7]
	s_mul_i32 s10, s25, 0x180
	s_nop 0
	v_add_u32_e32 v19, s10, v19
	flat_load_dwordx4 v[18:21], v[18:19]
	s_movk_i32 s10, 0x210
	v_mad_u32_u24 v9, v13, s10, v11
	s_waitcnt vmcnt(0) lgkmcnt(0)
	ds_write2_b64 v9, v[18:19], v[20:21] offset1:1
.LBB52_126:
	s_or_b64 exec, exec, s[8:9]
	v_mov_b32_e32 v9, 0
	v_lshl_add_u64 v[6:7], v[6:7], 0, v[8:9]
	s_lshl_b64 s[8:9], s[18:19], 4
	v_mov_b32_e32 v8, s9
	v_subrev_co_u32_e64 v6, s[8:9], s8, v6
	s_nop 1
	v_subb_co_u32_e64 v7, s[8:9], v7, v8, s[8:9]
	v_lshl_add_u64 v[6:7], v[6:7], 0, 16
	v_cndmask_b32_e32 v41, v7, v5, vcc
	v_cndmask_b32_e32 v40, v6, v4, vcc
	s_branch .LBB52_137
.LBB52_127:
	s_andn2_saveexec_b64 s[8:9], s[8:9]
	s_cbranch_execz .LBB52_93
.LBB52_128:
	v_cmp_eq_u32_e32 vcc, v18, v10
	s_mov_b64 s[16:17], s[6:7]
                                        ; implicit-def: $vgpr17
	s_and_saveexec_b64 s[34:35], vcc
; %bb.129:
	v_add_u32_e32 v17, v11, v15
	s_or_b64 s[16:17], s[6:7], exec
; %bb.130:
	s_or_b64 exec, exec, s[34:35]
	s_andn2_b64 s[6:7], s[6:7], exec
	s_and_b64 s[16:17], s[16:17], exec
	v_mov_b64_e32 v[6:7], 0
	s_or_b64 s[6:7], s[6:7], s[16:17]
	s_or_b64 exec, exec, s[8:9]
	s_and_saveexec_b64 s[8:9], s[6:7]
	s_cbranch_execnz .LBB52_94
	s_branch .LBB52_95
.LBB52_131:
	s_or_saveexec_b64 s[8:9], s[8:9]
	v_mov_b64_e32 v[6:7], 0
	s_xor_b64 exec, exec, s[8:9]
	s_cbranch_execz .LBB52_99
.LBB52_132:
	ds_read_b128 v[4:7], v45 offset:528
	v_add_u32_e32 v17, 32, v9
	s_or_b64 s[6:7], s[6:7], exec
	s_waitcnt lgkmcnt(0)
	v_xor_b32_e32 v7, 0x80000000, v7
	ds_write_b64 v9, v[4:5] offset:32
	s_or_b64 exec, exec, s[8:9]
	s_and_saveexec_b64 s[8:9], s[6:7]
	s_cbranch_execnz .LBB52_100
	s_branch .LBB52_101
.LBB52_133:
	s_or_saveexec_b64 s[8:9], s[8:9]
	v_mov_b64_e32 v[6:7], 0
	s_xor_b64 exec, exec, s[8:9]
	s_cbranch_execz .LBB52_105
.LBB52_134:
	ds_read_b128 v[4:7], v45 offset:1056
	v_add_u32_e32 v18, 48, v9
	s_or_b64 s[6:7], s[6:7], exec
	s_waitcnt lgkmcnt(0)
	v_xor_b32_e32 v7, 0x80000000, v7
	ds_write_b64 v9, v[4:5] offset:48
	s_or_b64 exec, exec, s[8:9]
	v_add_u32_e32 v17, 0x4700, v21
	s_and_saveexec_b64 s[8:9], s[6:7]
	s_cbranch_execnz .LBB52_106
	s_branch .LBB52_107
.LBB52_135:
                                        ; implicit-def: $vgpr40_vgpr41
                                        ; implicit-def: $vgpr10
                                        ; implicit-def: $vgpr12
                                        ; implicit-def: $vgpr13
	s_cbranch_execz .LBB52_137
; %bb.136:
	flat_load_dwordx4 v[6:9], v[4:5]
	s_lshl_b64 s[8:9], s[24:25], 7
	v_lshl_add_u64 v[12:13], v[4:5], 0, s[8:9]
	v_add_u32_e32 v10, 8, v14
	s_movk_i32 s10, 0x210
	v_mad_u32_u24 v11, v10, s10, v11
	v_add_u32_e32 v15, 0x1080, v11
	v_mov_b64_e32 v[40:41], v[4:5]
	s_waitcnt vmcnt(0) lgkmcnt(0)
	ds_write2_b64 v16, v[6:7], v[8:9] offset1:1
	flat_load_dwordx4 v[6:9], v[12:13]
	v_lshl_add_u64 v[12:13], v[12:13], 0, s[8:9]
	s_waitcnt vmcnt(0) lgkmcnt(0)
	ds_write2_b64 v11, v[6:7], v[8:9] offset1:1
	flat_load_dwordx4 v[6:9], v[12:13]
	v_lshl_add_u64 v[12:13], v[12:13], 0, s[8:9]
	v_add_u32_e32 v11, 0x2100, v11
	s_waitcnt vmcnt(0) lgkmcnt(0)
	ds_write2_b64 v15, v[6:7], v[8:9] offset1:1
	flat_load_dwordx4 v[6:9], v[12:13]
	v_add_u32_e32 v12, 16, v14
	v_add_u32_e32 v13, 24, v14
	s_waitcnt vmcnt(0) lgkmcnt(0)
	ds_write2_b64 v11, v[6:7], v[8:9] offset1:1
.LBB52_137:
	v_lshlrev_b32_e32 v8, 4, v14
	v_add_u32_e32 v4, v43, v8
	v_lshlrev_b32_e32 v14, 4, v10
	s_waitcnt lgkmcnt(0)
	s_barrier
	ds_read_b128 v[4:7], v4
	ds_read_b128 v[22:25], v8 offset:18176
	v_add_u32_e32 v8, v43, v14
	v_lshlrev_b32_e32 v12, 4, v12
	ds_read_b128 v[8:11], v8
	ds_read_b128 v[46:49], v14 offset:18176
	v_add_u32_e32 v16, v43, v12
	ds_read_b128 v[50:53], v16
	ds_read_b128 v[54:57], v12 offset:18176
	v_lshlrev_b32_e32 v12, 4, v13
	v_add_u32_e32 v13, v43, v12
	ds_read_b128 v[58:61], v13
	ds_read_b128 v[62:65], v12 offset:18176
	s_waitcnt lgkmcnt(6)
	v_mul_f64 v[14:15], v[6:7], v[24:25]
	v_fmac_f64_e32 v[14:15], v[4:5], v[22:23]
	s_waitcnt lgkmcnt(4)
	v_mul_f64 v[18:19], v[10:11], v[48:49]
	v_add_f64 v[14:15], v[14:15], 0
	v_fmac_f64_e32 v[18:19], v[8:9], v[46:47]
	s_waitcnt lgkmcnt(2)
	v_mul_f64 v[12:13], v[52:53], v[56:57]
	v_mul_f64 v[6:7], v[6:7], v[22:23]
	v_add_f64 v[14:15], v[14:15], v[18:19]
	v_fmac_f64_e32 v[12:13], v[50:51], v[54:55]
	v_mul_f64 v[10:11], v[10:11], v[46:47]
	v_add_f64 v[12:13], v[14:15], v[12:13]
	s_waitcnt lgkmcnt(0)
	v_mul_f64 v[14:15], v[60:61], v[64:65]
	v_fma_f64 v[34:35], v[4:5], v[24:25], -v[6:7]
	v_fmac_f64_e32 v[14:15], v[58:59], v[62:63]
	v_fma_f64 v[8:9], v[8:9], v[48:49], -v[10:11]
	v_add_f64 v[10:11], v[34:35], 0
	v_add_f64 v[46:47], v[12:13], v[14:15]
	ds_read_b128 v[28:31], v17 offset:512
	ds_read_b128 v[20:23], v17 offset:528
	;; [unrolled: 1-line block ×4, first 2 shown]
	ds_read_b128 v[24:27], v45
	ds_read_b128 v[16:19], v45 offset:528
	v_add_f64 v[48:49], v[10:11], v[8:9]
	ds_read_b128 v[32:35], v32
	ds_read_b128 v[8:11], v45 offset:1056
	v_mul_f64 v[52:53], v[52:53], v[54:55]
	v_mul_f64 v[54:55], v[60:61], v[62:63]
	v_fma_f64 v[50:51], v[50:51], v[56:57], -v[52:53]
	v_add_f64 v[48:49], v[48:49], v[50:51]
	v_fma_f64 v[50:51], v[58:59], v[64:65], -v[54:55]
	v_add_f64 v[48:49], v[48:49], v[50:51]
	s_waitcnt lgkmcnt(0)
	s_barrier
	ds_write_b128 v44, v[46:49]
	s_waitcnt lgkmcnt(0)
	s_barrier
	s_and_saveexec_b64 s[8:9], s[6:7]
	s_cbranch_execz .LBB52_139
; %bb.138:
	ds_read_b128 v[46:49], v43
	ds_read_b128 v[50:53], v43 offset:16
	ds_read_b128 v[54:57], v43 offset:32
	;; [unrolled: 1-line block ×3, first 2 shown]
	s_waitcnt lgkmcnt(3)
	v_add_f64 v[0:1], v[0:1], v[46:47]
	v_add_f64 v[2:3], v[2:3], v[48:49]
	s_waitcnt lgkmcnt(2)
	v_add_f64 v[0:1], v[0:1], v[50:51]
	v_add_f64 v[46:47], v[2:3], v[52:53]
	s_waitcnt lgkmcnt(1)
	v_add_f64 v[48:49], v[0:1], v[54:55]
	ds_read_b128 v[0:3], v43 offset:64
	v_add_f64 v[46:47], v[46:47], v[56:57]
	s_waitcnt lgkmcnt(1)
	v_add_f64 v[50:51], v[48:49], v[58:59]
	v_add_f64 v[54:55], v[46:47], v[60:61]
	ds_read_b128 v[46:49], v43 offset:80
	s_waitcnt lgkmcnt(1)
	v_add_f64 v[56:57], v[50:51], v[0:1]
	ds_read_b128 v[50:53], v43 offset:96
	v_add_f64 v[54:55], v[54:55], v[2:3]
	ds_read_b128 v[0:3], v43 offset:112
	s_waitcnt lgkmcnt(2)
	v_add_f64 v[46:47], v[56:57], v[46:47]
	v_add_f64 v[48:49], v[54:55], v[48:49]
	s_waitcnt lgkmcnt(1)
	v_add_f64 v[46:47], v[46:47], v[50:51]
	v_add_f64 v[48:49], v[48:49], v[52:53]
	;; [unrolled: 3-line block ×3, first 2 shown]
.LBB52_139:
	s_or_b64 exec, exec, s[8:9]
	v_mul_f64 v[46:47], v[30:31], v[34:35]
	v_fma_f64 v[46:47], v[28:29], v[32:33], -v[46:47]
	v_mul_f64 v[28:29], v[28:29], v[34:35]
	v_fmac_f64_e32 v[28:29], v[30:31], v[32:33]
	v_mul_f64 v[32:33], v[22:23], v[26:27]
	v_fma_f64 v[32:33], v[20:21], v[24:25], -v[32:33]
	v_mul_f64 v[20:21], v[20:21], v[26:27]
	v_fmac_f64_e32 v[20:21], v[22:23], v[24:25]
	v_mul_f64 v[24:25], v[14:15], v[18:19]
	v_add_f64 v[30:31], v[46:47], 0
	v_add_f64 v[28:29], v[28:29], 0
	v_fma_f64 v[24:25], v[12:13], v[16:17], -v[24:25]
	v_mul_f64 v[12:13], v[12:13], v[18:19]
	v_add_f64 v[22:23], v[30:31], v[32:33]
	v_add_f64 v[20:21], v[28:29], v[20:21]
	v_fmac_f64_e32 v[12:13], v[14:15], v[16:17]
	v_mul_f64 v[16:17], v[6:7], v[10:11]
	v_mul_f64 v[10:11], v[4:5], v[10:11]
	v_add_f64 v[14:15], v[22:23], v[24:25]
	v_add_f64 v[12:13], v[20:21], v[12:13]
	v_fma_f64 v[16:17], v[4:5], v[8:9], -v[16:17]
	v_fmac_f64_e32 v[10:11], v[6:7], v[8:9]
	v_add_f64 v[4:5], v[14:15], v[16:17]
	v_add_f64 v[6:7], v[12:13], v[10:11]
	s_barrier
	ds_write_b128 v44, v[4:7]
	s_waitcnt lgkmcnt(0)
	s_barrier
	s_and_saveexec_b64 s[6:7], s[4:5]
	s_cbranch_execz .LBB52_141
; %bb.140:
	ds_read_b128 v[4:7], v43
	ds_read_b128 v[8:11], v43 offset:16
	ds_read_b128 v[12:15], v43 offset:32
	;; [unrolled: 1-line block ×3, first 2 shown]
	s_waitcnt lgkmcnt(3)
	v_add_f64 v[0:1], v[0:1], v[4:5]
	v_add_f64 v[2:3], v[2:3], v[6:7]
	s_waitcnt lgkmcnt(2)
	v_add_f64 v[0:1], v[0:1], v[8:9]
	v_add_f64 v[4:5], v[2:3], v[10:11]
	s_waitcnt lgkmcnt(1)
	v_add_f64 v[6:7], v[0:1], v[12:13]
	ds_read_b128 v[0:3], v43 offset:64
	v_add_f64 v[4:5], v[4:5], v[14:15]
	s_waitcnt lgkmcnt(1)
	v_add_f64 v[8:9], v[6:7], v[16:17]
	v_add_f64 v[12:13], v[4:5], v[18:19]
	ds_read_b128 v[4:7], v43 offset:80
	s_waitcnt lgkmcnt(1)
	v_add_f64 v[14:15], v[8:9], v[0:1]
	ds_read_b128 v[8:11], v43 offset:96
	v_add_f64 v[12:13], v[12:13], v[2:3]
	ds_read_b128 v[0:3], v43 offset:112
	s_waitcnt lgkmcnt(2)
	v_add_f64 v[4:5], v[14:15], v[4:5]
	v_add_f64 v[6:7], v[12:13], v[6:7]
	s_waitcnt lgkmcnt(1)
	v_add_f64 v[4:5], v[4:5], v[8:9]
	v_add_f64 v[6:7], v[6:7], v[10:11]
	;; [unrolled: 3-line block ×3, first 2 shown]
.LBB52_141:
	s_or_b64 exec, exec, s[6:7]
	s_load_dwordx2 s[0:1], s[0:1], 0x78
	s_mul_hi_u32 s4, s33, s28
	s_mul_i32 s36, s36, s28
	s_add_i32 s4, s4, s36
	s_mul_i32 s6, s33, s28
	s_mul_i32 s4, s4, s3
	s_mul_hi_u32 s5, s6, s3
	s_add_i32 s5, s5, s4
	s_mul_i32 s4, s6, s3
	s_lshl_b64 s[4:5], s[4:5], 4
	s_waitcnt lgkmcnt(0)
	s_add_u32 s4, s0, s4
	s_addc_u32 s5, s1, s5
	s_mul_hi_i32 s1, s33, s2
	s_mul_i32 s0, s33, s2
	s_lshl_b64 s[0:1], s[0:1], 4
	s_add_u32 s6, s4, s0
	s_addc_u32 s7, s5, s1
	s_add_i32 s0, s2, 1
	s_cmp_ge_u32 s0, s3
	v_lshlrev_b32_e32 v166, 4, v202
	s_barrier
	s_cbranch_scc1 .LBB52_199
; %bb.142:
	s_mul_i32 s0, s20, s27
	s_mul_hi_u32 s1, s20, s26
	s_add_i32 s0, s1, s0
	s_mul_i32 s1, s21, s26
	s_add_i32 s1, s0, s1
	s_mul_i32 s0, s20, s26
	s_lshl_b64 s[0:1], s[0:1], 4
	v_mov_b32_e32 v4, s1
	v_subrev_co_u32_e32 v168, vcc, s0, v36
	v_and_b32_e32 v5, 15, v202
	s_nop 0
	v_subb_co_u32_e32 v169, vcc, v37, v4, vcc
	v_lshrrev_b32_e32 v4, 4, v42
	v_lshlrev_b32_e32 v6, 6, v4
	v_mul_i32_i24_e32 v44, 0xffffffd0, v4
	v_and_b32_e32 v4, 48, v202
	v_lshlrev_b32_e32 v43, 6, v203
	s_movk_i32 s4, 0x430
	v_lshlrev_b32_e32 v4, 4, v4
	v_mad_u32_u24 v210, v5, s4, v4
	v_or_b32_e32 v4, 0xf0, v166
	v_add_u32_e32 v7, 0x220, v43
	v_mad_u32_u24 v209, v5, s4, v6
	v_mad_u32_u24 v211, v5, s4, v4
	v_mad_u64_u32 v[4:5], s[4:5], s24, v7, 0
	v_mov_b32_e32 v6, v5
	v_lshlrev_b64 v[8:9], 4, v[38:39]
	v_mad_u64_u32 v[6:7], s[4:5], s25, v7, v[6:7]
	v_sub_co_u32_e32 v4, vcc, v4, v8
	v_add_u32_e32 v11, 0x530, v43
	s_nop 0
	v_subb_co_u32_e32 v5, vcc, v6, v9, vcc
	v_mad_u64_u32 v[6:7], s[4:5], s24, v11, 0
	v_mov_b32_e32 v10, v7
	v_mad_u64_u32 v[10:11], s[4:5], s25, v11, v[10:11]
	v_sub_co_u32_e32 v6, vcc, v6, v8
	v_add_u32_e32 v13, 0x210, v43
	s_nop 0
	v_subb_co_u32_e32 v7, vcc, v10, v9, vcc
	v_mad_u64_u32 v[10:11], s[4:5], s24, v13, 0
	v_mov_b32_e32 v12, v11
	;; [unrolled: 7-line block ×15, first 2 shown]
	v_mad_u64_u32 v[38:39], s[4:5], s25, v39, v[38:39]
	v_lshl_add_u64 v[170:171], v[40:41], 0, v[4:5]
	v_sub_co_u32_e32 v4, vcc, v36, v8
	v_lshlrev_b32_e32 v204, 2, v203
	s_movk_i32 s0, 0x10c0
	v_mov_b32_e32 v167, 0
	v_subb_co_u32_e32 v5, vcc, v38, v9, vcc
	s_add_i32 s19, s3, -2
	v_add_u32_e32 v205, 0x4300, v166
	v_add_u32_e32 v206, 0x4300, v43
	v_add_u32_e32 v207, 0x4700, v166
	v_mad_u32_u24 v208, v203, s0, v166
	v_cmp_gt_u32_e64 s[0:1], 64, v42
	v_or_b32_e32 v212, 1, v204
	v_or_b32_e32 v213, 2, v204
	;; [unrolled: 1-line block ×3, first 2 shown]
	v_add_u32_e32 v215, 16, v204
	v_add_u32_e32 v216, 17, v204
	v_add_u32_e32 v217, 18, v204
	v_add_u32_e32 v218, 19, v204
	v_add_u32_e32 v219, 32, v204
	v_add_u32_e32 v220, 33, v204
	v_add_u32_e32 v221, 34, v204
	v_add_u32_e32 v222, 35, v204
	v_add_u32_e32 v223, 48, v204
	v_add_u32_e32 v224, 49, v204
	v_add_u32_e32 v225, 50, v204
	v_add_u32_e32 v226, 51, v204
	s_add_i32 s26, s26, 64
	s_lshl_b64 s[8:9], s[24:25], 10
	v_lshl_add_u64 v[172:173], v[40:41], 0, v[6:7]
	v_lshl_add_u64 v[174:175], v[40:41], 0, v[10:11]
	;; [unrolled: 1-line block ×15, first 2 shown]
	v_add_u32_e32 v227, v209, v44
	v_mov_b32_e32 v228, v167
	v_mov_b32_e32 v229, v167
	v_mov_b32_e32 v230, v167
	v_mov_b32_e32 v231, v167
	s_cmp_eq_u32 s19, s2
	s_cselect_b32 s24, s29, 0
	s_and_saveexec_b64 s[4:5], s[14:15]
	s_cbranch_execz .LBB52_148
	s_branch .LBB52_144
.LBB52_143:                             ;   in Loop: Header=BB52_148 Depth=1
	s_mov_b32 s2, s4
	s_cmp_eq_u32 s19, s2
	s_cselect_b32 s24, s29, 0
	s_and_saveexec_b64 s[4:5], s[14:15]
	s_cbranch_execz .LBB52_148
.LBB52_144:
	s_cmp_lg_u32 s24, 0
	s_cselect_b64 s[10:11], -1, 0
	v_cmp_le_i32_e32 vcc, s24, v202
	s_and_b64 s[10:11], s[10:11], vcc
	s_and_saveexec_b64 s[12:13], s[10:11]
	s_xor_b64 s[10:11], exec, s[12:13]
; %bb.145:
	ds_write_b128 v205, v[228:231]
; %bb.146:
	s_andn2_saveexec_b64 s[10:11], s[10:11]
	s_cbranch_execz .LBB52_148
; %bb.147:
	s_ashr_i32 s10, s26, 31
	s_mul_hi_u32 s11, s20, s26
	s_mul_i32 s10, s20, s10
	s_add_i32 s10, s11, s10
	s_mul_i32 s11, s21, s26
	s_add_i32 s11, s10, s11
	s_mul_i32 s10, s20, s26
	v_lshl_add_u64 v[4:5], s[10:11], 4, v[168:169]
	flat_load_dwordx4 v[4:7], v[4:5]
	s_waitcnt vmcnt(0) lgkmcnt(0)
	ds_write2_b64 v205, v[4:5], v[6:7] offset1:1
.LBB52_148:                             ; =>This Inner Loop Header: Depth=1
	s_or_b64 exec, exec, s[4:5]
	s_cmp_eq_u32 s24, 0
	s_cselect_b64 s[10:11], -1, 0
	s_cmp_lg_u32 s24, 0
	s_cselect_b64 s[12:13], -1, 0
	v_lshl_add_u64 v[16:17], v[178:179], 0, v[166:167]
	s_and_b64 vcc, exec, s[12:13]
	s_waitcnt lgkmcnt(0)
	s_barrier
	s_cbranch_vccz .LBB52_156
; %bb.149:                              ;   in Loop: Header=BB52_148 Depth=1
	v_cmp_gt_i32_e32 vcc, s24, v204
	v_mov_b64_e32 v[8:9], 0
	v_mov_b64_e32 v[4:5], 0
	;; [unrolled: 1-line block ×3, first 2 shown]
	s_and_saveexec_b64 s[4:5], vcc
	s_cbranch_execz .LBB52_151
; %bb.150:                              ;   in Loop: Header=BB52_148 Depth=1
	flat_load_dwordx4 v[4:7], v[16:17]
.LBB52_151:                             ;   in Loop: Header=BB52_148 Depth=1
	s_or_b64 exec, exec, s[4:5]
	v_cmp_gt_i32_e32 vcc, s24, v212
	v_mov_b64_e32 v[10:11], 0
	s_and_saveexec_b64 s[4:5], vcc
	s_cbranch_execz .LBB52_153
; %bb.152:                              ;   in Loop: Header=BB52_148 Depth=1
	v_lshl_add_u64 v[8:9], v[174:175], 0, v[166:167]
	flat_load_dwordx4 v[8:11], v[8:9]
.LBB52_153:                             ;   in Loop: Header=BB52_148 Depth=1
	s_or_b64 exec, exec, s[4:5]
	v_cmp_gt_i32_e32 vcc, s24, v213
	v_mov_b64_e32 v[12:13], 0
	v_mov_b64_e32 v[14:15], 0
	s_and_saveexec_b64 s[4:5], vcc
	s_cbranch_execz .LBB52_155
; %bb.154:                              ;   in Loop: Header=BB52_148 Depth=1
	v_lshl_add_u64 v[12:13], v[170:171], 0, v[166:167]
	flat_load_dwordx4 v[12:15], v[12:13]
.LBB52_155:                             ;   in Loop: Header=BB52_148 Depth=1
	s_or_b64 exec, exec, s[4:5]
	v_cmp_gt_i32_e64 s[4:5], s24, v214
	s_branch .LBB52_158
.LBB52_156:                             ;   in Loop: Header=BB52_148 Depth=1
	s_mov_b64 s[4:5], 0
                                        ; implicit-def: $vgpr14_vgpr15
                                        ; implicit-def: $vgpr10_vgpr11
                                        ; implicit-def: $vgpr6_vgpr7
	s_cbranch_execz .LBB52_158
; %bb.157:                              ;   in Loop: Header=BB52_148 Depth=1
	s_waitcnt vmcnt(0) lgkmcnt(0)
	v_lshl_add_u64 v[8:9], v[174:175], 0, v[166:167]
	v_lshl_add_u64 v[12:13], v[170:171], 0, v[166:167]
	flat_load_dwordx4 v[4:7], v[16:17]
	s_or_b64 s[4:5], s[4:5], exec
	flat_load_dwordx4 v[8:11], v[8:9]
	s_nop 0
	flat_load_dwordx4 v[12:15], v[12:13]
.LBB52_158:                             ;   in Loop: Header=BB52_148 Depth=1
	v_mov_b64_e32 v[16:17], 0
	v_mov_b64_e32 v[18:19], 0
	s_and_saveexec_b64 s[16:17], s[4:5]
	s_cbranch_execz .LBB52_160
; %bb.159:                              ;   in Loop: Header=BB52_148 Depth=1
	v_lshl_add_u64 v[16:17], v[182:183], 0, v[166:167]
	flat_load_dwordx4 v[16:19], v[16:17]
.LBB52_160:                             ;   in Loop: Header=BB52_148 Depth=1
	s_or_b64 exec, exec, s[16:17]
	ds_read_b128 v[36:39], v207
	ds_read_b128 v[32:35], v206
	ds_read_b128 v[28:31], v206 offset:16
	ds_read_b128 v[24:27], v206 offset:32
	ds_read_b128 v[20:23], v206 offset:48
	s_waitcnt vmcnt(0) lgkmcnt(0)
	v_mul_f64 v[40:41], v[6:7], v[38:39]
	v_mul_f64 v[42:43], v[6:7], v[36:37]
	v_fmac_f64_e32 v[40:41], v[4:5], v[36:37]
	v_fma_f64 v[42:43], v[4:5], v[38:39], -v[42:43]
	ds_write_b128 v208, v[40:43]
	v_mul_f64 v[40:41], v[10:11], v[38:39]
	v_mul_f64 v[42:43], v[10:11], v[36:37]
	v_fmac_f64_e32 v[40:41], v[8:9], v[36:37]
	v_fma_f64 v[42:43], v[8:9], v[38:39], -v[42:43]
	ds_write_b128 v208, v[40:43] offset:1072
	v_mul_f64 v[40:41], v[14:15], v[38:39]
	v_mul_f64 v[42:43], v[14:15], v[36:37]
	v_fmac_f64_e32 v[40:41], v[12:13], v[36:37]
	v_fma_f64 v[42:43], v[12:13], v[38:39], -v[42:43]
	ds_write_b128 v208, v[40:43] offset:2144
	v_mul_f64 v[40:41], v[18:19], v[38:39]
	v_fmac_f64_e32 v[40:41], v[16:17], v[36:37]
	v_mul_f64 v[36:37], v[18:19], v[36:37]
	v_fma_f64 v[42:43], v[16:17], v[38:39], -v[36:37]
	ds_write_b128 v208, v[40:43] offset:3216
	s_waitcnt lgkmcnt(0)
	s_barrier
	ds_read_b128 v[92:95], v209
	ds_read_b128 v[88:91], v209 offset:16
	ds_read_b128 v[84:87], v209 offset:32
	;; [unrolled: 1-line block ×3, first 2 shown]
	v_cndmask_b32_e64 v36, 0, 1, s[12:13]
	v_cmp_ne_u32_e64 s[4:5], 1, v36
	s_andn2_b64 vcc, exec, s[12:13]
	v_lshl_add_u64 v[48:49], v[194:195], 0, v[166:167]
	s_waitcnt lgkmcnt(0)
	s_barrier
	s_cbranch_vccnz .LBB52_168
; %bb.161:                              ;   in Loop: Header=BB52_148 Depth=1
	v_cmp_gt_i32_e32 vcc, s24, v215
	v_mov_b64_e32 v[40:41], 0
	v_mov_b64_e32 v[36:37], 0
	;; [unrolled: 1-line block ×3, first 2 shown]
	s_and_saveexec_b64 s[12:13], vcc
	s_cbranch_execz .LBB52_163
; %bb.162:                              ;   in Loop: Header=BB52_148 Depth=1
	flat_load_dwordx4 v[36:39], v[48:49]
.LBB52_163:                             ;   in Loop: Header=BB52_148 Depth=1
	s_or_b64 exec, exec, s[12:13]
	v_cmp_gt_i32_e32 vcc, s24, v216
	v_mov_b64_e32 v[42:43], 0
	s_and_saveexec_b64 s[12:13], vcc
	s_cbranch_execz .LBB52_165
; %bb.164:                              ;   in Loop: Header=BB52_148 Depth=1
	v_lshl_add_u64 v[40:41], v[190:191], 0, v[166:167]
	flat_load_dwordx4 v[40:43], v[40:41]
.LBB52_165:                             ;   in Loop: Header=BB52_148 Depth=1
	s_or_b64 exec, exec, s[12:13]
	v_cmp_gt_i32_e32 vcc, s24, v217
	v_mov_b64_e32 v[44:45], 0
	v_mov_b64_e32 v[46:47], 0
	s_and_saveexec_b64 s[12:13], vcc
	s_cbranch_execz .LBB52_167
; %bb.166:                              ;   in Loop: Header=BB52_148 Depth=1
	v_lshl_add_u64 v[44:45], v[184:185], 0, v[166:167]
	flat_load_dwordx4 v[44:47], v[44:45]
.LBB52_167:                             ;   in Loop: Header=BB52_148 Depth=1
	s_or_b64 exec, exec, s[12:13]
	v_cmp_gt_i32_e64 s[12:13], s24, v218
	s_branch .LBB52_170
.LBB52_168:                             ;   in Loop: Header=BB52_148 Depth=1
	s_mov_b64 s[12:13], 0
                                        ; implicit-def: $vgpr46_vgpr47
                                        ; implicit-def: $vgpr42_vgpr43
                                        ; implicit-def: $vgpr38_vgpr39
	s_cbranch_execz .LBB52_170
; %bb.169:                              ;   in Loop: Header=BB52_148 Depth=1
	s_waitcnt vmcnt(0) lgkmcnt(0)
	v_lshl_add_u64 v[40:41], v[190:191], 0, v[166:167]
	v_lshl_add_u64 v[44:45], v[184:185], 0, v[166:167]
	flat_load_dwordx4 v[36:39], v[48:49]
	s_or_b64 s[12:13], s[12:13], exec
	flat_load_dwordx4 v[40:43], v[40:41]
	s_nop 0
	flat_load_dwordx4 v[44:47], v[44:45]
.LBB52_170:                             ;   in Loop: Header=BB52_148 Depth=1
	v_mov_b64_e32 v[48:49], 0
	v_mov_b64_e32 v[50:51], 0
	s_and_saveexec_b64 s[16:17], s[12:13]
	s_cbranch_execz .LBB52_172
; %bb.171:                              ;   in Loop: Header=BB52_148 Depth=1
	v_lshl_add_u64 v[48:49], v[198:199], 0, v[166:167]
	flat_load_dwordx4 v[48:51], v[48:49]
.LBB52_172:                             ;   in Loop: Header=BB52_148 Depth=1
	s_or_b64 exec, exec, s[16:17]
	ds_read_b128 v[68:71], v207
	ds_read_b128 v[64:67], v206 offset:256
	ds_read_b128 v[60:63], v206 offset:272
	;; [unrolled: 1-line block ×4, first 2 shown]
	s_waitcnt vmcnt(0) lgkmcnt(0)
	v_mul_f64 v[72:73], v[38:39], v[70:71]
	v_mul_f64 v[74:75], v[38:39], v[68:69]
	v_fmac_f64_e32 v[72:73], v[36:37], v[68:69]
	v_fma_f64 v[74:75], v[36:37], v[70:71], -v[74:75]
	ds_write_b128 v208, v[72:75]
	v_mul_f64 v[72:73], v[42:43], v[70:71]
	v_mul_f64 v[74:75], v[42:43], v[68:69]
	v_fmac_f64_e32 v[72:73], v[40:41], v[68:69]
	v_fma_f64 v[74:75], v[40:41], v[70:71], -v[74:75]
	ds_write_b128 v208, v[72:75] offset:1072
	v_mul_f64 v[72:73], v[46:47], v[70:71]
	v_mul_f64 v[74:75], v[46:47], v[68:69]
	v_fmac_f64_e32 v[72:73], v[44:45], v[68:69]
	v_fma_f64 v[74:75], v[44:45], v[70:71], -v[74:75]
	ds_write_b128 v208, v[72:75] offset:2144
	v_mul_f64 v[72:73], v[50:51], v[70:71]
	v_fmac_f64_e32 v[72:73], v[48:49], v[68:69]
	v_mul_f64 v[68:69], v[50:51], v[68:69]
	v_fma_f64 v[74:75], v[48:49], v[70:71], -v[68:69]
	ds_write_b128 v208, v[72:75] offset:3216
	s_waitcnt lgkmcnt(0)
	s_barrier
	ds_read_b128 v[144:147], v209
	ds_read_b128 v[140:143], v209 offset:16
	ds_read_b128 v[136:139], v209 offset:32
	;; [unrolled: 1-line block ×3, first 2 shown]
	s_and_b64 vcc, exec, s[4:5]
	v_lshl_add_u64 v[96:97], v[192:193], 0, v[166:167]
	s_waitcnt lgkmcnt(0)
	s_barrier
	s_cbranch_vccnz .LBB52_180
; %bb.173:                              ;   in Loop: Header=BB52_148 Depth=1
	v_cmp_gt_i32_e32 vcc, s24, v219
	v_mov_b64_e32 v[72:73], 0
	v_mov_b64_e32 v[68:69], 0
	;; [unrolled: 1-line block ×3, first 2 shown]
	s_and_saveexec_b64 s[12:13], vcc
	s_cbranch_execz .LBB52_175
; %bb.174:                              ;   in Loop: Header=BB52_148 Depth=1
	flat_load_dwordx4 v[68:71], v[96:97]
.LBB52_175:                             ;   in Loop: Header=BB52_148 Depth=1
	s_or_b64 exec, exec, s[12:13]
	v_cmp_gt_i32_e32 vcc, s24, v220
	v_mov_b64_e32 v[74:75], 0
	s_and_saveexec_b64 s[12:13], vcc
	s_cbranch_execz .LBB52_177
; %bb.176:                              ;   in Loop: Header=BB52_148 Depth=1
	v_lshl_add_u64 v[72:73], v[196:197], 0, v[166:167]
	flat_load_dwordx4 v[72:75], v[72:73]
.LBB52_177:                             ;   in Loop: Header=BB52_148 Depth=1
	s_or_b64 exec, exec, s[12:13]
	v_cmp_gt_i32_e32 vcc, s24, v221
	v_mov_b64_e32 v[76:77], 0
	v_mov_b64_e32 v[78:79], 0
	s_and_saveexec_b64 s[12:13], vcc
	s_cbranch_execz .LBB52_179
; %bb.178:                              ;   in Loop: Header=BB52_148 Depth=1
	v_lshl_add_u64 v[76:77], v[200:201], 0, v[166:167]
	flat_load_dwordx4 v[76:79], v[76:77]
.LBB52_179:                             ;   in Loop: Header=BB52_148 Depth=1
	s_or_b64 exec, exec, s[12:13]
	v_cmp_gt_i32_e64 s[12:13], s24, v222
	s_branch .LBB52_182
.LBB52_180:                             ;   in Loop: Header=BB52_148 Depth=1
	s_mov_b64 s[12:13], 0
                                        ; implicit-def: $vgpr78_vgpr79
                                        ; implicit-def: $vgpr74_vgpr75
                                        ; implicit-def: $vgpr70_vgpr71
	s_cbranch_execz .LBB52_182
; %bb.181:                              ;   in Loop: Header=BB52_148 Depth=1
	s_waitcnt vmcnt(0) lgkmcnt(0)
	v_lshl_add_u64 v[72:73], v[196:197], 0, v[166:167]
	v_lshl_add_u64 v[76:77], v[200:201], 0, v[166:167]
	flat_load_dwordx4 v[68:71], v[96:97]
	s_or_b64 s[12:13], s[12:13], exec
	flat_load_dwordx4 v[72:75], v[72:73]
	s_nop 0
	flat_load_dwordx4 v[76:79], v[76:77]
.LBB52_182:                             ;   in Loop: Header=BB52_148 Depth=1
	v_mov_b64_e32 v[96:97], 0
	v_mov_b64_e32 v[98:99], 0
	s_and_saveexec_b64 s[16:17], s[12:13]
	s_cbranch_execz .LBB52_184
; %bb.183:                              ;   in Loop: Header=BB52_148 Depth=1
	v_lshl_add_u64 v[96:97], v[188:189], 0, v[166:167]
	flat_load_dwordx4 v[96:99], v[96:97]
.LBB52_184:                             ;   in Loop: Header=BB52_148 Depth=1
	s_or_b64 exec, exec, s[16:17]
	ds_read_b128 v[116:119], v207
	ds_read_b128 v[112:115], v206 offset:512
	ds_read_b128 v[108:111], v206 offset:528
	;; [unrolled: 1-line block ×4, first 2 shown]
	s_waitcnt vmcnt(0) lgkmcnt(0)
	v_mul_f64 v[120:121], v[70:71], v[118:119]
	v_mul_f64 v[122:123], v[70:71], v[116:117]
	v_fmac_f64_e32 v[120:121], v[68:69], v[116:117]
	v_fma_f64 v[122:123], v[68:69], v[118:119], -v[122:123]
	ds_write_b128 v208, v[120:123]
	v_mul_f64 v[120:121], v[74:75], v[118:119]
	v_mul_f64 v[122:123], v[74:75], v[116:117]
	v_fmac_f64_e32 v[120:121], v[72:73], v[116:117]
	v_fma_f64 v[122:123], v[72:73], v[118:119], -v[122:123]
	ds_write_b128 v208, v[120:123] offset:1072
	v_mul_f64 v[120:121], v[78:79], v[118:119]
	v_mul_f64 v[122:123], v[78:79], v[116:117]
	v_fmac_f64_e32 v[120:121], v[76:77], v[116:117]
	v_fma_f64 v[122:123], v[76:77], v[118:119], -v[122:123]
	ds_write_b128 v208, v[120:123] offset:2144
	v_mul_f64 v[120:121], v[98:99], v[118:119]
	v_fmac_f64_e32 v[120:121], v[96:97], v[116:117]
	v_mul_f64 v[116:117], v[98:99], v[116:117]
	v_fma_f64 v[122:123], v[96:97], v[118:119], -v[116:117]
	ds_write_b128 v208, v[120:123] offset:3216
	s_waitcnt lgkmcnt(0)
	s_barrier
	ds_read_b128 v[160:163], v209
	ds_read_b128 v[156:159], v209 offset:16
	ds_read_b128 v[152:155], v209 offset:32
	;; [unrolled: 1-line block ×3, first 2 shown]
	s_and_b64 vcc, exec, s[4:5]
	v_lshl_add_u64 v[128:129], v[176:177], 0, v[166:167]
	s_waitcnt lgkmcnt(0)
	s_barrier
	s_cbranch_vccnz .LBB52_192
; %bb.185:                              ;   in Loop: Header=BB52_148 Depth=1
	v_cmp_gt_i32_e32 vcc, s24, v223
	v_mov_b64_e32 v[120:121], 0
	v_mov_b64_e32 v[116:117], 0
	;; [unrolled: 1-line block ×3, first 2 shown]
	s_and_saveexec_b64 s[4:5], vcc
	s_cbranch_execz .LBB52_187
; %bb.186:                              ;   in Loop: Header=BB52_148 Depth=1
	flat_load_dwordx4 v[116:119], v[128:129]
.LBB52_187:                             ;   in Loop: Header=BB52_148 Depth=1
	s_or_b64 exec, exec, s[4:5]
	v_cmp_gt_i32_e32 vcc, s24, v224
	v_mov_b64_e32 v[122:123], 0
	s_and_saveexec_b64 s[4:5], vcc
	s_cbranch_execz .LBB52_189
; %bb.188:                              ;   in Loop: Header=BB52_148 Depth=1
	v_lshl_add_u64 v[120:121], v[180:181], 0, v[166:167]
	flat_load_dwordx4 v[120:123], v[120:121]
.LBB52_189:                             ;   in Loop: Header=BB52_148 Depth=1
	s_or_b64 exec, exec, s[4:5]
	v_cmp_gt_i32_e32 vcc, s24, v225
	v_mov_b64_e32 v[124:125], 0
	v_mov_b64_e32 v[126:127], 0
	s_and_saveexec_b64 s[4:5], vcc
	s_cbranch_execz .LBB52_191
; %bb.190:                              ;   in Loop: Header=BB52_148 Depth=1
	v_lshl_add_u64 v[124:125], v[186:187], 0, v[166:167]
	flat_load_dwordx4 v[124:127], v[124:125]
.LBB52_191:                             ;   in Loop: Header=BB52_148 Depth=1
	s_or_b64 exec, exec, s[4:5]
	v_cmp_gt_i32_e64 s[4:5], s24, v226
	s_branch .LBB52_194
.LBB52_192:                             ;   in Loop: Header=BB52_148 Depth=1
	s_mov_b64 s[4:5], 0
                                        ; implicit-def: $vgpr126_vgpr127
                                        ; implicit-def: $vgpr122_vgpr123
                                        ; implicit-def: $vgpr118_vgpr119
	s_cbranch_execz .LBB52_194
; %bb.193:                              ;   in Loop: Header=BB52_148 Depth=1
	s_waitcnt vmcnt(0) lgkmcnt(0)
	v_lshl_add_u64 v[120:121], v[180:181], 0, v[166:167]
	v_lshl_add_u64 v[124:125], v[186:187], 0, v[166:167]
	flat_load_dwordx4 v[116:119], v[128:129]
	s_or_b64 s[4:5], s[4:5], exec
	flat_load_dwordx4 v[120:123], v[120:121]
	s_nop 0
	flat_load_dwordx4 v[124:127], v[124:125]
.LBB52_194:                             ;   in Loop: Header=BB52_148 Depth=1
	v_mov_b64_e32 v[128:129], 0
	v_mov_b64_e32 v[130:131], 0
	s_and_saveexec_b64 s[12:13], s[4:5]
	s_cbranch_execz .LBB52_196
; %bb.195:                              ;   in Loop: Header=BB52_148 Depth=1
	v_lshl_add_u64 v[128:129], v[172:173], 0, v[166:167]
	flat_load_dwordx4 v[128:131], v[128:129]
.LBB52_196:                             ;   in Loop: Header=BB52_148 Depth=1
	s_or_b64 exec, exec, s[12:13]
	v_add_f64 v[160:161], v[160:161], 0
	v_add_f64 v[144:145], v[144:145], 0
	;; [unrolled: 1-line block ×19, first 2 shown]
	ds_read_b128 v[140:143], v207
	ds_read_b128 v[132:135], v206 offset:768
	ds_read_b128 v[92:95], v206 offset:784
	;; [unrolled: 1-line block ×4, first 2 shown]
	s_waitcnt vmcnt(0) lgkmcnt(0)
	v_mul_f64 v[144:145], v[118:119], v[142:143]
	v_mul_f64 v[146:147], v[118:119], v[140:141]
	v_fmac_f64_e32 v[144:145], v[116:117], v[140:141]
	v_fma_f64 v[146:147], v[116:117], v[142:143], -v[146:147]
	ds_write_b128 v208, v[144:147]
	v_mul_f64 v[144:145], v[122:123], v[142:143]
	v_mul_f64 v[146:147], v[122:123], v[140:141]
	v_fmac_f64_e32 v[144:145], v[120:121], v[140:141]
	v_fma_f64 v[146:147], v[120:121], v[142:143], -v[146:147]
	ds_write_b128 v208, v[144:147] offset:1072
	v_mul_f64 v[144:145], v[126:127], v[142:143]
	v_mul_f64 v[146:147], v[126:127], v[140:141]
	v_fmac_f64_e32 v[144:145], v[124:125], v[140:141]
	v_fma_f64 v[146:147], v[124:125], v[142:143], -v[146:147]
	ds_write_b128 v208, v[144:147] offset:2144
	v_mul_f64 v[144:145], v[130:131], v[142:143]
	v_fmac_f64_e32 v[144:145], v[128:129], v[140:141]
	v_mul_f64 v[140:141], v[130:131], v[140:141]
	v_fma_f64 v[146:147], v[128:129], v[142:143], -v[140:141]
	v_add_f64 v[162:163], v[162:163], 0
	ds_write_b128 v208, v[144:147] offset:3216
	s_waitcnt lgkmcnt(0)
	s_barrier
	ds_read_b128 v[140:143], v209
	v_add_f64 v[158:159], v[162:163], v[158:159]
	v_add_f64 v[154:155], v[158:159], v[154:155]
	v_add_f64 v[150:151], v[154:155], v[150:151]
	v_add_f64 v[82:83], v[152:153], v[82:83]
	ds_read_b128 v[144:147], v209 offset:16
	ds_read_b128 v[152:155], v209 offset:32
	;; [unrolled: 1-line block ×3, first 2 shown]
	s_waitcnt lgkmcnt(3)
	v_add_f64 v[140:141], v[140:141], 0
	v_add_f64 v[142:143], v[142:143], 0
	v_cmp_gt_i32_e32 vcc, s24, v202
	s_waitcnt lgkmcnt(2)
	v_add_f64 v[140:141], v[140:141], v[144:145]
	v_add_f64 v[142:143], v[142:143], v[146:147]
	s_or_b64 s[4:5], s[10:11], vcc
	s_waitcnt lgkmcnt(1)
	v_add_f64 v[140:141], v[140:141], v[152:153]
	v_add_f64 v[142:143], v[142:143], v[154:155]
	s_and_b64 s[10:11], s[0:1], s[4:5]
	s_waitcnt lgkmcnt(0)
	v_add_f64 v[140:141], v[140:141], v[156:157]
	v_add_f64 v[142:143], v[142:143], v[158:159]
	s_barrier
	ds_write_b128 v227, v[80:83]
	ds_write_b128 v227, v[136:139] offset:256
	ds_write_b128 v227, v[148:151] offset:512
	;; [unrolled: 1-line block ×3, first 2 shown]
	s_waitcnt lgkmcnt(0)
	s_barrier
	s_and_saveexec_b64 s[4:5], s[10:11]
	s_cbranch_execz .LBB52_198
; %bb.197:                              ;   in Loop: Header=BB52_148 Depth=1
	ds_read_b128 v[80:83], v210
	ds_read_b128 v[136:139], v210 offset:16
	ds_read_b128 v[140:143], v210 offset:32
	;; [unrolled: 1-line block ×3, first 2 shown]
	s_waitcnt lgkmcnt(2)
	v_add_f64 v[80:81], v[136:137], v[80:81]
	v_add_f64 v[136:137], v[138:139], v[82:83]
	s_waitcnt lgkmcnt(1)
	v_add_f64 v[138:139], v[80:81], v[140:141]
	ds_read_b128 v[80:83], v210 offset:64
	v_add_f64 v[140:141], v[136:137], v[142:143]
	s_waitcnt lgkmcnt(1)
	v_add_f64 v[142:143], v[138:139], v[144:145]
	ds_read_b128 v[136:139], v210 offset:80
	;; [unrolled: 4-line block ×9, first 2 shown]
	v_add_f64 v[82:83], v[144:145], v[82:83]
	s_waitcnt lgkmcnt(1)
	v_add_f64 v[136:137], v[80:81], v[136:137]
	v_add_f64 v[144:145], v[82:83], v[138:139]
	ds_read_b128 v[80:83], v210 offset:208
	s_waitcnt lgkmcnt(1)
	v_add_f64 v[146:147], v[136:137], v[140:141]
	ds_read_b128 v[136:139], v210 offset:224
	v_add_f64 v[144:145], v[144:145], v[142:143]
	ds_read_b128 v[140:143], v211
	s_waitcnt lgkmcnt(2)
	v_add_f64 v[80:81], v[146:147], v[80:81]
	v_add_f64 v[82:83], v[144:145], v[82:83]
	s_waitcnt lgkmcnt(1)
	v_add_f64 v[80:81], v[80:81], v[136:137]
	v_add_u32_e32 v136, s26, v202
	v_add_f64 v[82:83], v[82:83], v[138:139]
	v_ashrrev_i32_e32 v137, 31, v136
	s_waitcnt lgkmcnt(0)
	v_add_f64 v[80:81], v[80:81], v[140:141]
	v_add_f64 v[82:83], v[82:83], v[142:143]
	v_lshl_add_u64 v[136:137], v[136:137], 4, s[6:7]
	global_store_dwordx4 v[136:137], v[80:83], off
.LBB52_198:                             ;   in Loop: Header=BB52_148 Depth=1
	s_or_b64 exec, exec, s[4:5]
	s_nop 0
	v_mul_f64 v[80:81], v[6:7], v[34:35]
	v_fma_f64 v[80:81], v[4:5], v[32:33], -v[80:81]
	v_mul_f64 v[4:5], v[4:5], v[34:35]
	v_mul_f64 v[34:35], v[10:11], v[30:31]
	v_add_f64 v[0:1], v[0:1], v[80:81]
	v_fma_f64 v[34:35], v[8:9], v[28:29], -v[34:35]
	v_mul_f64 v[8:9], v[8:9], v[30:31]
	v_mul_f64 v[30:31], v[14:15], v[26:27]
	v_add_f64 v[0:1], v[0:1], v[34:35]
	v_fma_f64 v[30:31], v[12:13], v[24:25], -v[30:31]
	v_mul_f64 v[12:13], v[12:13], v[26:27]
	v_mul_f64 v[26:27], v[18:19], v[22:23]
	v_fmac_f64_e32 v[4:5], v[6:7], v[32:33]
	v_add_f64 v[0:1], v[0:1], v[30:31]
	v_fma_f64 v[26:27], v[16:17], v[20:21], -v[26:27]
	v_add_f64 v[2:3], v[2:3], v[4:5]
	v_mul_f64 v[4:5], v[38:39], v[66:67]
	v_add_f64 v[0:1], v[0:1], v[26:27]
	v_fma_f64 v[4:5], v[36:37], v[64:65], -v[4:5]
	v_add_f64 v[0:1], v[0:1], v[4:5]
	v_mul_f64 v[4:5], v[42:43], v[62:63]
	v_fma_f64 v[4:5], v[40:41], v[60:61], -v[4:5]
	v_add_f64 v[0:1], v[0:1], v[4:5]
	v_mul_f64 v[4:5], v[46:47], v[58:59]
	;; [unrolled: 3-line block ×4, first 2 shown]
	v_fmac_f64_e32 v[8:9], v[10:11], v[28:29]
	v_fma_f64 v[4:5], v[68:69], v[112:113], -v[4:5]
	v_mul_f64 v[16:17], v[16:17], v[22:23]
	v_add_f64 v[2:3], v[2:3], v[8:9]
	v_fmac_f64_e32 v[12:13], v[14:15], v[24:25]
	v_add_f64 v[0:1], v[0:1], v[4:5]
	v_mul_f64 v[4:5], v[74:75], v[110:111]
	v_add_f64 v[2:3], v[2:3], v[12:13]
	v_fmac_f64_e32 v[16:17], v[18:19], v[20:21]
	v_mul_f64 v[6:7], v[36:37], v[66:67]
	v_fma_f64 v[4:5], v[72:73], v[108:109], -v[4:5]
	v_add_f64 v[2:3], v[2:3], v[16:17]
	v_mul_f64 v[8:9], v[40:41], v[62:63]
	v_fmac_f64_e32 v[6:7], v[38:39], v[64:65]
	v_add_f64 v[0:1], v[0:1], v[4:5]
	v_mul_f64 v[4:5], v[78:79], v[106:107]
	v_mul_f64 v[10:11], v[44:45], v[58:59]
	v_add_f64 v[2:3], v[2:3], v[6:7]
	v_fmac_f64_e32 v[8:9], v[42:43], v[60:61]
	v_fma_f64 v[4:5], v[76:77], v[104:105], -v[4:5]
	v_mul_f64 v[12:13], v[48:49], v[54:55]
	v_add_f64 v[2:3], v[2:3], v[8:9]
	v_fmac_f64_e32 v[10:11], v[46:47], v[56:57]
	v_add_f64 v[0:1], v[0:1], v[4:5]
	v_mul_f64 v[4:5], v[98:99], v[102:103]
	v_add_f64 v[2:3], v[2:3], v[10:11]
	v_fmac_f64_e32 v[12:13], v[50:51], v[52:53]
	v_mul_f64 v[6:7], v[68:69], v[114:115]
	v_fma_f64 v[4:5], v[96:97], v[100:101], -v[4:5]
	v_add_f64 v[2:3], v[2:3], v[12:13]
	v_mul_f64 v[8:9], v[72:73], v[110:111]
	v_add_f64 v[0:1], v[0:1], v[4:5]
	v_fmac_f64_e32 v[6:7], v[70:71], v[112:113]
	v_mul_f64 v[4:5], v[118:119], v[134:135]
	v_mul_f64 v[10:11], v[76:77], v[106:107]
	v_add_f64 v[2:3], v[2:3], v[6:7]
	v_fmac_f64_e32 v[8:9], v[74:75], v[108:109]
	v_fma_f64 v[4:5], v[116:117], v[132:133], -v[4:5]
	v_mul_f64 v[12:13], v[96:97], v[102:103]
	v_add_f64 v[2:3], v[2:3], v[8:9]
	v_fmac_f64_e32 v[10:11], v[78:79], v[104:105]
	v_add_f64 v[0:1], v[0:1], v[4:5]
	v_mul_f64 v[4:5], v[122:123], v[94:95]
	v_add_f64 v[2:3], v[2:3], v[10:11]
	v_fmac_f64_e32 v[12:13], v[98:99], v[100:101]
	v_mul_f64 v[6:7], v[116:117], v[134:135]
	v_fma_f64 v[4:5], v[120:121], v[92:93], -v[4:5]
	v_add_f64 v[2:3], v[2:3], v[12:13]
	v_mul_f64 v[8:9], v[120:121], v[94:95]
	v_add_f64 v[0:1], v[0:1], v[4:5]
	v_mul_f64 v[4:5], v[126:127], v[90:91]
	v_fmac_f64_e32 v[6:7], v[118:119], v[132:133]
	v_fma_f64 v[4:5], v[124:125], v[88:89], -v[4:5]
	v_mul_f64 v[10:11], v[124:125], v[90:91]
	v_fmac_f64_e32 v[8:9], v[122:123], v[92:93]
	v_add_f64 v[2:3], v[2:3], v[6:7]
	v_add_f64 v[0:1], v[0:1], v[4:5]
	v_mul_f64 v[4:5], v[130:131], v[86:87]
	v_mul_f64 v[12:13], v[128:129], v[86:87]
	v_fmac_f64_e32 v[10:11], v[126:127], v[88:89]
	v_add_f64 v[2:3], v[2:3], v[8:9]
	v_fma_f64 v[4:5], v[128:129], v[84:85], -v[4:5]
	v_fmac_f64_e32 v[12:13], v[130:131], v[84:85]
	v_add_f64 v[2:3], v[2:3], v[10:11]
	s_add_i32 s4, s2, 1
	s_add_i32 s26, s26, 64
	;; [unrolled: 1-line block ×3, first 2 shown]
	v_add_f64 v[0:1], v[0:1], v[4:5]
	v_add_f64 v[2:3], v[2:3], v[12:13]
	v_lshl_add_u64 v[170:171], v[170:171], 0, s[8:9]
	v_lshl_add_u64 v[172:173], v[172:173], 0, s[8:9]
	;; [unrolled: 1-line block ×15, first 2 shown]
	s_cmp_ge_u32 s2, s3
	v_lshl_add_u64 v[200:201], v[200:201], 0, s[8:9]
	s_barrier
	s_cbranch_scc0 .LBB52_143
.LBB52_199:
	s_movk_i32 s0, 0x430
	v_cmp_gt_i32_e32 vcc, s18, v202
	v_mad_u32_u24 v4, v203, s0, v166
	s_or_b64 s[0:1], s[22:23], vcc
	s_and_b64 s[0:1], s[14:15], s[0:1]
	ds_write_b128 v4, v[0:3]
	s_waitcnt lgkmcnt(0)
	s_barrier
	s_and_saveexec_b64 s[2:3], s[0:1]
	s_cbranch_execz .LBB52_201
; %bb.200:
	ds_read_b128 v[0:3], v166 offset:1072
	ds_read_b128 v[4:7], v166
	ds_read_b128 v[8:11], v166 offset:2144
	ds_read_b128 v[12:15], v166 offset:3216
	s_waitcnt lgkmcnt(2)
	v_add_f64 v[0:1], v[0:1], v[4:5]
	v_add_f64 v[2:3], v[2:3], v[6:7]
	s_waitcnt lgkmcnt(1)
	v_add_f64 v[0:1], v[0:1], v[8:9]
	v_add_f64 v[2:3], v[2:3], v[10:11]
	;; [unrolled: 3-line block ×3, first 2 shown]
	v_lshl_add_u64 v[4:5], v[164:165], 4, s[6:7]
	global_store_dwordx4 v[4:5], v[0:3], off
.LBB52_201:
	s_endpgm
	.section	.rodata,"a",@progbits
	.p2align	6, 0x0
	.amdhsa_kernel _ZL26rocblas_hemvn_kernel_upperILb1ELi64ELi4ELi33ELi32ELi16El19rocblas_complex_numIdEPKPKS1_PS1_EviT6_lT7_lT5_lS8_lS9_lS7_lT8_i
		.amdhsa_group_segment_fixed_size 19200
		.amdhsa_private_segment_fixed_size 0
		.amdhsa_kernarg_size 392
		.amdhsa_user_sgpr_count 2
		.amdhsa_user_sgpr_dispatch_ptr 0
		.amdhsa_user_sgpr_queue_ptr 0
		.amdhsa_user_sgpr_kernarg_segment_ptr 1
		.amdhsa_user_sgpr_dispatch_id 0
		.amdhsa_user_sgpr_kernarg_preload_length 0
		.amdhsa_user_sgpr_kernarg_preload_offset 0
		.amdhsa_user_sgpr_private_segment_size 0
		.amdhsa_uses_dynamic_stack 0
		.amdhsa_enable_private_segment 0
		.amdhsa_system_sgpr_workgroup_id_x 1
		.amdhsa_system_sgpr_workgroup_id_y 0
		.amdhsa_system_sgpr_workgroup_id_z 1
		.amdhsa_system_sgpr_workgroup_info 0
		.amdhsa_system_vgpr_workitem_id 1
		.amdhsa_next_free_vgpr 232
		.amdhsa_next_free_sgpr 40
		.amdhsa_accum_offset 232
		.amdhsa_reserve_vcc 1
		.amdhsa_float_round_mode_32 0
		.amdhsa_float_round_mode_16_64 0
		.amdhsa_float_denorm_mode_32 3
		.amdhsa_float_denorm_mode_16_64 3
		.amdhsa_dx10_clamp 1
		.amdhsa_ieee_mode 1
		.amdhsa_fp16_overflow 0
		.amdhsa_tg_split 0
		.amdhsa_exception_fp_ieee_invalid_op 0
		.amdhsa_exception_fp_denorm_src 0
		.amdhsa_exception_fp_ieee_div_zero 0
		.amdhsa_exception_fp_ieee_overflow 0
		.amdhsa_exception_fp_ieee_underflow 0
		.amdhsa_exception_fp_ieee_inexact 0
		.amdhsa_exception_int_div_zero 0
	.end_amdhsa_kernel
	.section	.text._ZL26rocblas_hemvn_kernel_upperILb1ELi64ELi4ELi33ELi32ELi16El19rocblas_complex_numIdEPKPKS1_PS1_EviT6_lT7_lT5_lS8_lS9_lS7_lT8_i,"axG",@progbits,_ZL26rocblas_hemvn_kernel_upperILb1ELi64ELi4ELi33ELi32ELi16El19rocblas_complex_numIdEPKPKS1_PS1_EviT6_lT7_lT5_lS8_lS9_lS7_lT8_i,comdat
.Lfunc_end52:
	.size	_ZL26rocblas_hemvn_kernel_upperILb1ELi64ELi4ELi33ELi32ELi16El19rocblas_complex_numIdEPKPKS1_PS1_EviT6_lT7_lT5_lS8_lS9_lS7_lT8_i, .Lfunc_end52-_ZL26rocblas_hemvn_kernel_upperILb1ELi64ELi4ELi33ELi32ELi16El19rocblas_complex_numIdEPKPKS1_PS1_EviT6_lT7_lT5_lS8_lS9_lS7_lT8_i
                                        ; -- End function
	.set _ZL26rocblas_hemvn_kernel_upperILb1ELi64ELi4ELi33ELi32ELi16El19rocblas_complex_numIdEPKPKS1_PS1_EviT6_lT7_lT5_lS8_lS9_lS7_lT8_i.num_vgpr, 232
	.set _ZL26rocblas_hemvn_kernel_upperILb1ELi64ELi4ELi33ELi32ELi16El19rocblas_complex_numIdEPKPKS1_PS1_EviT6_lT7_lT5_lS8_lS9_lS7_lT8_i.num_agpr, 0
	.set _ZL26rocblas_hemvn_kernel_upperILb1ELi64ELi4ELi33ELi32ELi16El19rocblas_complex_numIdEPKPKS1_PS1_EviT6_lT7_lT5_lS8_lS9_lS7_lT8_i.numbered_sgpr, 40
	.set _ZL26rocblas_hemvn_kernel_upperILb1ELi64ELi4ELi33ELi32ELi16El19rocblas_complex_numIdEPKPKS1_PS1_EviT6_lT7_lT5_lS8_lS9_lS7_lT8_i.num_named_barrier, 0
	.set _ZL26rocblas_hemvn_kernel_upperILb1ELi64ELi4ELi33ELi32ELi16El19rocblas_complex_numIdEPKPKS1_PS1_EviT6_lT7_lT5_lS8_lS9_lS7_lT8_i.private_seg_size, 0
	.set _ZL26rocblas_hemvn_kernel_upperILb1ELi64ELi4ELi33ELi32ELi16El19rocblas_complex_numIdEPKPKS1_PS1_EviT6_lT7_lT5_lS8_lS9_lS7_lT8_i.uses_vcc, 1
	.set _ZL26rocblas_hemvn_kernel_upperILb1ELi64ELi4ELi33ELi32ELi16El19rocblas_complex_numIdEPKPKS1_PS1_EviT6_lT7_lT5_lS8_lS9_lS7_lT8_i.uses_flat_scratch, 0
	.set _ZL26rocblas_hemvn_kernel_upperILb1ELi64ELi4ELi33ELi32ELi16El19rocblas_complex_numIdEPKPKS1_PS1_EviT6_lT7_lT5_lS8_lS9_lS7_lT8_i.has_dyn_sized_stack, 0
	.set _ZL26rocblas_hemvn_kernel_upperILb1ELi64ELi4ELi33ELi32ELi16El19rocblas_complex_numIdEPKPKS1_PS1_EviT6_lT7_lT5_lS8_lS9_lS7_lT8_i.has_recursion, 0
	.set _ZL26rocblas_hemvn_kernel_upperILb1ELi64ELi4ELi33ELi32ELi16El19rocblas_complex_numIdEPKPKS1_PS1_EviT6_lT7_lT5_lS8_lS9_lS7_lT8_i.has_indirect_call, 0
	.section	.AMDGPU.csdata,"",@progbits
; Kernel info:
; codeLenInByte = 11172
; TotalNumSgprs: 46
; NumVgprs: 232
; NumAgprs: 0
; TotalNumVgprs: 232
; ScratchSize: 0
; MemoryBound: 1
; FloatMode: 240
; IeeeMode: 1
; LDSByteSize: 19200 bytes/workgroup (compile time only)
; SGPRBlocks: 5
; VGPRBlocks: 28
; NumSGPRsForWavesPerEU: 46
; NumVGPRsForWavesPerEU: 232
; AccumOffset: 232
; Occupancy: 2
; WaveLimiterHint : 0
; COMPUTE_PGM_RSRC2:SCRATCH_EN: 0
; COMPUTE_PGM_RSRC2:USER_SGPR: 2
; COMPUTE_PGM_RSRC2:TRAP_HANDLER: 0
; COMPUTE_PGM_RSRC2:TGID_X_EN: 1
; COMPUTE_PGM_RSRC2:TGID_Y_EN: 0
; COMPUTE_PGM_RSRC2:TGID_Z_EN: 1
; COMPUTE_PGM_RSRC2:TIDIG_COMP_CNT: 1
; COMPUTE_PGM_RSRC3_GFX90A:ACCUM_OFFSET: 57
; COMPUTE_PGM_RSRC3_GFX90A:TG_SPLIT: 0
	.section	.text._ZL36rocblas_hemvn_kernel_upper_block_sumILi64El19rocblas_complex_numIdEPKPS1_S1_EviT1_lS5_lT2_lT0_lPT3_i,"axG",@progbits,_ZL36rocblas_hemvn_kernel_upper_block_sumILi64El19rocblas_complex_numIdEPKPS1_S1_EviT1_lS5_lT2_lT0_lPT3_i,comdat
	.globl	_ZL36rocblas_hemvn_kernel_upper_block_sumILi64El19rocblas_complex_numIdEPKPS1_S1_EviT1_lS5_lT2_lT0_lPT3_i ; -- Begin function _ZL36rocblas_hemvn_kernel_upper_block_sumILi64El19rocblas_complex_numIdEPKPS1_S1_EviT1_lS5_lT2_lT0_lPT3_i
	.p2align	8
	.type	_ZL36rocblas_hemvn_kernel_upper_block_sumILi64El19rocblas_complex_numIdEPKPS1_S1_EviT1_lS5_lT2_lT0_lPT3_i,@function
_ZL36rocblas_hemvn_kernel_upper_block_sumILi64El19rocblas_complex_numIdEPKPS1_S1_EviT1_lS5_lT2_lT0_lPT3_i: ; @_ZL36rocblas_hemvn_kernel_upper_block_sumILi64El19rocblas_complex_numIdEPKPS1_S1_EviT1_lS5_lT2_lT0_lPT3_i
; %bb.0:
	s_load_dwordx4 s[12:15], s[0:1], 0x8
	s_load_dwordx4 s[8:11], s[0:1], 0x20
	s_mov_b32 s20, s3
	s_waitcnt lgkmcnt(0)
	v_cmp_neq_f64_e64 s[4:5], s[12:13], 0
	v_cmp_neq_f64_e64 s[6:7], s[14:15], 0
	s_or_b64 s[4:5], s[4:5], s[6:7]
	s_mov_b64 s[6:7], -1
	s_and_b64 vcc, exec, s[4:5]
	s_cbranch_vccnz .LBB53_2
; %bb.1:
	v_cmp_neq_f64_e64 s[6:7], s[8:9], 1.0
	v_cmp_neq_f64_e64 s[16:17], s[10:11], 0
	s_or_b64 s[6:7], s[6:7], s[16:17]
.LBB53_2:
	s_andn2_b64 vcc, exec, s[6:7]
	s_cbranch_vccnz .LBB53_22
; %bb.3:
	s_xor_b64 s[18:19], s[4:5], -1
	s_load_dwordx2 s[16:17], s[0:1], 0x38
	s_load_dword s22, s[0:1], 0x0
	s_load_dwordx4 s[4:7], s[0:1], 0x40
	s_mov_b32 s21, 0
	s_lshl_b64 s[24:25], s[20:21], 3
	s_waitcnt lgkmcnt(0)
	s_add_u32 s16, s16, s24
	s_addc_u32 s17, s17, s25
	s_load_dwordx2 s[16:17], s[16:17], 0x0
	s_lshl_b64 s[4:5], s[4:5], 4
	v_lshl_or_b32 v4, s2, 6, v0
	s_waitcnt lgkmcnt(0)
	s_add_u32 s16, s16, s4
	s_addc_u32 s17, s17, s5
	s_andn2_b64 vcc, exec, s[18:19]
	v_cmp_gt_i32_e64 s[4:5], s22, v4
	s_cbranch_vccnz .LBB53_8
; %bb.4:
	s_mov_b64 s[24:25], 0
	s_mov_b64 s[18:19], 0
                                        ; implicit-def: $vgpr2_vgpr3
                                        ; implicit-def: $vgpr6_vgpr7
	s_and_saveexec_b64 s[26:27], s[4:5]
	s_cbranch_execz .LBB53_9
; %bb.5:
	v_cmp_neq_f64_e64 s[4:5], s[8:9], 0
	v_cmp_neq_f64_e64 s[18:19], s[10:11], 0
	v_ashrrev_i32_e32 v0, 31, v4
	v_mul_lo_u32 v1, s7, v4
	v_mul_lo_u32 v0, s6, v0
	v_mad_u64_u32 v[6:7], s[28:29], s6, v4, 0
	s_or_b64 s[4:5], s[4:5], s[18:19]
	v_mov_b64_e32 v[2:3], 0
	v_add3_u32 v7, v7, v0, v1
	s_andn2_b64 vcc, exec, s[4:5]
	v_mov_b64_e32 v[0:1], 0
	s_cbranch_vccnz .LBB53_7
; %bb.6:
	v_lshl_add_u64 v[0:1], v[6:7], 4, s[16:17]
	flat_load_dwordx4 v[8:11], v[0:1]
	s_waitcnt vmcnt(0) lgkmcnt(0)
	v_mul_f64 v[0:1], s[10:11], v[10:11]
	v_mul_f64 v[2:3], s[8:9], v[10:11]
	v_fma_f64 v[0:1], s[8:9], v[8:9], -v[0:1]
	v_fmac_f64_e32 v[2:3], s[10:11], v[8:9]
.LBB53_7:
	s_mov_b64 s[18:19], exec
	s_or_b64 exec, exec, s[26:27]
	s_and_b64 vcc, exec, s[24:25]
	s_cbranch_vccnz .LBB53_10
	s_branch .LBB53_20
.LBB53_8:
	s_mov_b64 s[18:19], 0
                                        ; implicit-def: $vgpr2_vgpr3
                                        ; implicit-def: $vgpr6_vgpr7
	s_cbranch_execnz .LBB53_10
	s_branch .LBB53_20
.LBB53_9:
	s_or_b64 exec, exec, s[26:27]
	s_and_b64 vcc, exec, s[24:25]
	s_cbranch_vccz .LBB53_20
.LBB53_10:
	v_cmp_gt_i32_e32 vcc, s22, v4
                                        ; implicit-def: $vgpr2_vgpr3
                                        ; implicit-def: $vgpr6_vgpr7
	s_and_saveexec_b64 s[4:5], vcc
	s_cbranch_execz .LBB53_19
; %bb.11:
	v_ashrrev_i32_e32 v5, 31, v4
	v_mov_b64_e32 v[0:1], 0
	s_cmp_lt_i32 s2, 0
	v_mov_b64_e32 v[6:7], 0
	s_cbranch_scc1 .LBB53_14
; %bb.12:
	s_load_dwordx2 s[24:25], s[0:1], 0x58
	s_load_dword s3, s[0:1], 0x68
	s_ashr_i32 s23, s22, 31
	s_mul_hi_u32 s0, s22, s20
	s_mul_i32 s1, s23, s20
	s_add_i32 s0, s0, s1
	s_mul_i32 s20, s22, s20
	s_waitcnt lgkmcnt(0)
	s_mul_i32 s0, s0, s3
	s_mul_hi_u32 s1, s20, s3
	s_add_i32 s1, s1, s0
	s_mul_i32 s0, s20, s3
	s_add_i32 s2, s2, 1
	s_lshl_b64 s[0:1], s[0:1], 4
	s_add_u32 s0, s24, s0
	s_addc_u32 s1, s25, s1
	v_lshl_add_u64 v[0:1], v[4:5], 4, s[0:1]
	v_lshl_add_u64 v[2:3], v[0:1], 0, 8
	s_lshl_b64 s[0:1], s[22:23], 4
	v_mov_b64_e32 v[0:1], 0
	v_mov_b64_e32 v[6:7], 0
.LBB53_13:                              ; =>This Inner Loop Header: Depth=1
	global_load_dwordx4 v[8:11], v[2:3], off offset:-8
	s_add_i32 s2, s2, -1
	v_lshl_add_u64 v[2:3], v[2:3], 0, s[0:1]
	s_cmp_eq_u32 s2, 0
	s_waitcnt vmcnt(0)
	v_add_f64 v[6:7], v[6:7], v[8:9]
	v_add_f64 v[0:1], v[0:1], v[10:11]
	s_cbranch_scc0 .LBB53_13
.LBB53_14:
	v_cmp_neq_f64_e64 s[2:3], s[8:9], 0
	v_cmp_neq_f64_e64 s[20:21], s[10:11], 0
	s_or_b64 s[2:3], s[2:3], s[20:21]
	v_mul_f64 v[8:9], s[14:15], v[0:1]
	v_mul_f64 v[2:3], s[12:13], v[0:1]
	s_mov_b64 s[0:1], 0
	s_andn2_b64 vcc, exec, s[2:3]
	v_fma_f64 v[0:1], s[12:13], v[6:7], -v[8:9]
	v_fmac_f64_e32 v[2:3], s[14:15], v[6:7]
	v_mul_lo_u32 v8, s7, v4
	v_mul_lo_u32 v5, s6, v5
	s_cbranch_vccz .LBB53_16
; %bb.15:
	v_mad_u64_u32 v[6:7], s[2:3], s6, v4, 0
	v_add3_u32 v7, v7, v5, v8
	s_andn2_b64 vcc, exec, s[0:1]
	s_cbranch_vccz .LBB53_17
	s_branch .LBB53_18
.LBB53_16:
                                        ; implicit-def: $vgpr6_vgpr7
.LBB53_17:
	v_mad_u64_u32 v[6:7], s[0:1], s6, v4, 0
	v_add3_u32 v7, v7, v5, v8
	v_lshl_add_u64 v[4:5], v[6:7], 4, s[16:17]
	flat_load_dwordx4 v[8:11], v[4:5]
	s_waitcnt vmcnt(0) lgkmcnt(0)
	v_mul_f64 v[4:5], s[10:11], v[10:11]
	v_mul_f64 v[10:11], s[8:9], v[10:11]
	v_fma_f64 v[4:5], s[8:9], v[8:9], -v[4:5]
	v_fmac_f64_e32 v[10:11], s[10:11], v[8:9]
	v_add_f64 v[0:1], v[0:1], v[4:5]
	v_add_f64 v[2:3], v[2:3], v[10:11]
.LBB53_18:
	s_or_b64 s[18:19], s[18:19], exec
.LBB53_19:
	s_or_b64 exec, exec, s[4:5]
.LBB53_20:
	s_and_saveexec_b64 s[0:1], s[18:19]
	s_cbranch_execz .LBB53_22
; %bb.21:
	v_lshl_add_u64 v[4:5], v[6:7], 4, s[16:17]
	flat_store_dwordx4 v[4:5], v[0:3]
.LBB53_22:
	s_endpgm
	.section	.rodata,"a",@progbits
	.p2align	6, 0x0
	.amdhsa_kernel _ZL36rocblas_hemvn_kernel_upper_block_sumILi64El19rocblas_complex_numIdEPKPS1_S1_EviT1_lS5_lT2_lT0_lPT3_i
		.amdhsa_group_segment_fixed_size 0
		.amdhsa_private_segment_fixed_size 0
		.amdhsa_kernarg_size 360
		.amdhsa_user_sgpr_count 2
		.amdhsa_user_sgpr_dispatch_ptr 0
		.amdhsa_user_sgpr_queue_ptr 0
		.amdhsa_user_sgpr_kernarg_segment_ptr 1
		.amdhsa_user_sgpr_dispatch_id 0
		.amdhsa_user_sgpr_kernarg_preload_length 0
		.amdhsa_user_sgpr_kernarg_preload_offset 0
		.amdhsa_user_sgpr_private_segment_size 0
		.amdhsa_uses_dynamic_stack 0
		.amdhsa_enable_private_segment 0
		.amdhsa_system_sgpr_workgroup_id_x 1
		.amdhsa_system_sgpr_workgroup_id_y 0
		.amdhsa_system_sgpr_workgroup_id_z 1
		.amdhsa_system_sgpr_workgroup_info 0
		.amdhsa_system_vgpr_workitem_id 0
		.amdhsa_next_free_vgpr 12
		.amdhsa_next_free_sgpr 30
		.amdhsa_accum_offset 12
		.amdhsa_reserve_vcc 1
		.amdhsa_float_round_mode_32 0
		.amdhsa_float_round_mode_16_64 0
		.amdhsa_float_denorm_mode_32 3
		.amdhsa_float_denorm_mode_16_64 3
		.amdhsa_dx10_clamp 1
		.amdhsa_ieee_mode 1
		.amdhsa_fp16_overflow 0
		.amdhsa_tg_split 0
		.amdhsa_exception_fp_ieee_invalid_op 0
		.amdhsa_exception_fp_denorm_src 0
		.amdhsa_exception_fp_ieee_div_zero 0
		.amdhsa_exception_fp_ieee_overflow 0
		.amdhsa_exception_fp_ieee_underflow 0
		.amdhsa_exception_fp_ieee_inexact 0
		.amdhsa_exception_int_div_zero 0
	.end_amdhsa_kernel
	.section	.text._ZL36rocblas_hemvn_kernel_upper_block_sumILi64El19rocblas_complex_numIdEPKPS1_S1_EviT1_lS5_lT2_lT0_lPT3_i,"axG",@progbits,_ZL36rocblas_hemvn_kernel_upper_block_sumILi64El19rocblas_complex_numIdEPKPS1_S1_EviT1_lS5_lT2_lT0_lPT3_i,comdat
.Lfunc_end53:
	.size	_ZL36rocblas_hemvn_kernel_upper_block_sumILi64El19rocblas_complex_numIdEPKPS1_S1_EviT1_lS5_lT2_lT0_lPT3_i, .Lfunc_end53-_ZL36rocblas_hemvn_kernel_upper_block_sumILi64El19rocblas_complex_numIdEPKPS1_S1_EviT1_lS5_lT2_lT0_lPT3_i
                                        ; -- End function
	.set _ZL36rocblas_hemvn_kernel_upper_block_sumILi64El19rocblas_complex_numIdEPKPS1_S1_EviT1_lS5_lT2_lT0_lPT3_i.num_vgpr, 12
	.set _ZL36rocblas_hemvn_kernel_upper_block_sumILi64El19rocblas_complex_numIdEPKPS1_S1_EviT1_lS5_lT2_lT0_lPT3_i.num_agpr, 0
	.set _ZL36rocblas_hemvn_kernel_upper_block_sumILi64El19rocblas_complex_numIdEPKPS1_S1_EviT1_lS5_lT2_lT0_lPT3_i.numbered_sgpr, 30
	.set _ZL36rocblas_hemvn_kernel_upper_block_sumILi64El19rocblas_complex_numIdEPKPS1_S1_EviT1_lS5_lT2_lT0_lPT3_i.num_named_barrier, 0
	.set _ZL36rocblas_hemvn_kernel_upper_block_sumILi64El19rocblas_complex_numIdEPKPS1_S1_EviT1_lS5_lT2_lT0_lPT3_i.private_seg_size, 0
	.set _ZL36rocblas_hemvn_kernel_upper_block_sumILi64El19rocblas_complex_numIdEPKPS1_S1_EviT1_lS5_lT2_lT0_lPT3_i.uses_vcc, 1
	.set _ZL36rocblas_hemvn_kernel_upper_block_sumILi64El19rocblas_complex_numIdEPKPS1_S1_EviT1_lS5_lT2_lT0_lPT3_i.uses_flat_scratch, 0
	.set _ZL36rocblas_hemvn_kernel_upper_block_sumILi64El19rocblas_complex_numIdEPKPS1_S1_EviT1_lS5_lT2_lT0_lPT3_i.has_dyn_sized_stack, 0
	.set _ZL36rocblas_hemvn_kernel_upper_block_sumILi64El19rocblas_complex_numIdEPKPS1_S1_EviT1_lS5_lT2_lT0_lPT3_i.has_recursion, 0
	.set _ZL36rocblas_hemvn_kernel_upper_block_sumILi64El19rocblas_complex_numIdEPKPS1_S1_EviT1_lS5_lT2_lT0_lPT3_i.has_indirect_call, 0
	.section	.AMDGPU.csdata,"",@progbits
; Kernel info:
; codeLenInByte = 760
; TotalNumSgprs: 36
; NumVgprs: 12
; NumAgprs: 0
; TotalNumVgprs: 12
; ScratchSize: 0
; MemoryBound: 0
; FloatMode: 240
; IeeeMode: 1
; LDSByteSize: 0 bytes/workgroup (compile time only)
; SGPRBlocks: 4
; VGPRBlocks: 1
; NumSGPRsForWavesPerEU: 36
; NumVGPRsForWavesPerEU: 12
; AccumOffset: 12
; Occupancy: 8
; WaveLimiterHint : 1
; COMPUTE_PGM_RSRC2:SCRATCH_EN: 0
; COMPUTE_PGM_RSRC2:USER_SGPR: 2
; COMPUTE_PGM_RSRC2:TRAP_HANDLER: 0
; COMPUTE_PGM_RSRC2:TGID_X_EN: 1
; COMPUTE_PGM_RSRC2:TGID_Y_EN: 0
; COMPUTE_PGM_RSRC2:TGID_Z_EN: 1
; COMPUTE_PGM_RSRC2:TIDIG_COMP_CNT: 0
; COMPUTE_PGM_RSRC3_GFX90A:ACCUM_OFFSET: 2
; COMPUTE_PGM_RSRC3_GFX90A:TG_SPLIT: 0
	.section	.text._ZL26rocblas_hemvn_kernel_upperILb1ELi64ELi4ELi33ELi32ELi16Ei19rocblas_complex_numIdEPKPKS1_PS1_EviT6_lT7_lT5_lS8_lS9_lS7_lT8_i,"axG",@progbits,_ZL26rocblas_hemvn_kernel_upperILb1ELi64ELi4ELi33ELi32ELi16Ei19rocblas_complex_numIdEPKPKS1_PS1_EviT6_lT7_lT5_lS8_lS9_lS7_lT8_i,comdat
	.globl	_ZL26rocblas_hemvn_kernel_upperILb1ELi64ELi4ELi33ELi32ELi16Ei19rocblas_complex_numIdEPKPKS1_PS1_EviT6_lT7_lT5_lS8_lS9_lS7_lT8_i ; -- Begin function _ZL26rocblas_hemvn_kernel_upperILb1ELi64ELi4ELi33ELi32ELi16Ei19rocblas_complex_numIdEPKPKS1_PS1_EviT6_lT7_lT5_lS8_lS9_lS7_lT8_i
	.p2align	8
	.type	_ZL26rocblas_hemvn_kernel_upperILb1ELi64ELi4ELi33ELi32ELi16Ei19rocblas_complex_numIdEPKPKS1_PS1_EviT6_lT7_lT5_lS8_lS9_lS7_lT8_i,@function
_ZL26rocblas_hemvn_kernel_upperILb1ELi64ELi4ELi33ELi32ELi16Ei19rocblas_complex_numIdEPKPKS1_PS1_EviT6_lT7_lT5_lS8_lS9_lS7_lT8_i: ; @_ZL26rocblas_hemvn_kernel_upperILb1ELi64ELi4ELi33ELi32ELi16Ei19rocblas_complex_numIdEPKPKS1_PS1_EviT6_lT7_lT5_lS8_lS9_lS7_lT8_i
; %bb.0:
	s_load_dwordx2 s[4:5], s[0:1], 0x94
	s_add_u32 s8, s0, 0x88
	s_mov_b32 s22, s3
	s_addc_u32 s9, s1, 0
	s_waitcnt lgkmcnt(0)
	s_and_b32 s3, s5, 0xffff
	s_lshr_b32 s5, s4, 16
	s_and_b32 s4, s4, 0xffff
	s_mul_i32 s4, s5, s4
	s_mul_i32 s4, s4, s3
	s_cmpk_lg_i32 s4, 0x100
	s_cbranch_scc1 .LBB54_201
; %bb.1:
	s_load_dwordx4 s[4:7], s[0:1], 0x8
	s_waitcnt lgkmcnt(0)
	v_cmp_neq_f64_e64 s[4:5], s[4:5], 0
	v_cmp_neq_f64_e64 s[6:7], s[6:7], 0
	s_or_b64 s[6:7], s[4:5], s[6:7]
	s_mov_b64 s[4:5], -1
	s_and_b64 vcc, exec, s[6:7]
	s_cbranch_vccnz .LBB54_3
; %bb.2:
	s_load_dwordx4 s[4:7], s[0:1], 0x60
	s_waitcnt lgkmcnt(0)
	v_cmp_eq_f64_e64 s[4:5], s[4:5], 1.0
	v_cmp_eq_f64_e64 s[6:7], s[6:7], 0
	s_and_b64 s[4:5], s[4:5], s[6:7]
	s_andn2_b64 vcc, exec, s[4:5]
	s_mov_b64 s[4:5], 0
.LBB54_3:
	s_andn2_b64 vcc, exec, s[4:5]
	s_cbranch_vccnz .LBB54_201
; %bb.4:
	s_load_dwordx4 s[4:7], s[0:1], 0x20
	s_load_dwordx4 s[12:15], s[0:1], 0x40
	s_load_dword s36, s[0:1], 0x50
	s_mov_b32 s23, 0
	s_lshl_b64 s[10:11], s[22:23], 3
	s_waitcnt lgkmcnt(0)
	s_add_u32 s16, s4, s10
	s_addc_u32 s17, s5, s11
	s_add_u32 s10, s12, s10
	s_addc_u32 s11, s13, s11
	s_load_dwordx2 s[12:13], s[10:11], 0x0
	s_load_dword s23, s[0:1], 0x0
	s_load_dword s3, s[8:9], 0x0
	s_load_dwordx2 s[4:5], s[16:17], 0x0
	s_lshl_b64 s[8:9], s[14:15], 4
	s_waitcnt lgkmcnt(0)
	s_add_u32 s8, s12, s8
	s_addc_u32 s9, s13, s9
	s_ashr_i32 s37, s23, 31
	s_lshr_b32 s11, s37, 26
	v_and_b32_e32 v166, 0x3ff, v0
	s_lshl_b32 s26, s2, 6
	s_add_i32 s11, s23, s11
	s_andn2_b32 s11, s11, 63
	v_add_u32_e32 v164, s26, v166
	v_bfe_u32 v165, v0, 10, 10
	s_add_i32 s10, s3, -1
	s_sub_i32 s33, s23, s11
	v_mul_lo_u32 v0, s36, v164
	s_cmp_eq_u32 s2, s10
	v_ashrrev_i32_e32 v1, 31, v0
	s_cselect_b32 s18, s33, 0
	v_lshl_add_u64 v[38:39], v[0:1], 4, s[8:9]
	v_cmp_eq_u32_e64 s[14:15], 0, v165
	s_and_saveexec_b64 s[8:9], s[14:15]
	s_cbranch_execz .LBB54_9
; %bb.5:
	s_cmp_lg_u32 s18, 0
	s_cselect_b64 s[10:11], -1, 0
	v_cmp_le_i32_e32 vcc, s18, v166
	v_mov_b32_e32 v0, 0x4700
	s_and_b64 s[10:11], s[10:11], vcc
	v_lshl_add_u32 v0, v166, 4, v0
	s_and_saveexec_b64 s[12:13], s[10:11]
	s_xor_b64 s[10:11], exec, s[12:13]
; %bb.6:
	v_mov_b32_e32 v2, 0
	v_mov_b32_e32 v3, v2
	;; [unrolled: 1-line block ×4, first 2 shown]
	ds_write_b128 v0, v[2:5]
                                        ; implicit-def: $vgpr0
; %bb.7:
	s_andn2_saveexec_b64 s[10:11], s[10:11]
	s_cbranch_execz .LBB54_9
; %bb.8:
	flat_load_dwordx4 v[2:5], v[38:39]
	s_waitcnt vmcnt(0) lgkmcnt(0)
	ds_write2_b64 v0, v[2:3], v[4:5] offset1:1
.LBB54_9:
	s_or_b64 exec, exec, s[8:9]
	s_lshl_b64 s[6:7], s[6:7], 4
	s_load_dword s24, s[0:1], 0x30
	s_add_u32 s6, s4, s6
	s_addc_u32 s7, s5, s7
	s_ashr_i32 s27, s26, 31
	v_lshl_add_u32 v42, v165, 6, v166
	s_lshl_b64 s[4:5], s[26:27], 4
	v_and_b32_e32 v10, 31, v166
	v_lshrrev_b32_e32 v11, 5, v42
	s_add_u32 s4, s6, s4
	s_addc_u32 s5, s7, s5
	s_waitcnt lgkmcnt(0)
	v_mad_u64_u32 v[36:37], s[6:7], s24, v11, v[10:11]
	v_ashrrev_i32_e32 v37, 31, v36
	v_lshl_add_u64 v[0:1], v[36:37], 4, s[4:5]
	s_mul_i32 s4, s24, s26
	s_ashr_i32 s5, s4, 31
	s_cmp_eq_u32 s18, 0
	s_cselect_b64 s[20:21], -1, 0
	s_cmp_lg_u32 s18, 0
	s_cselect_b64 s[28:29], -1, 0
	v_lshl_add_u64 v[0:1], s[4:5], 4, v[0:1]
	s_and_b64 vcc, exec, s[28:29]
	v_cmp_gt_i32_e64 s[4:5], s18, v10
	v_lshlrev_b32_e32 v8, 4, v10
	s_cbranch_vccz .LBB54_27
; %bb.10:
	v_sub_co_u32_e32 v2, vcc, v0, v8
	s_ashr_i32 s19, s18, 31
	s_nop 0
	v_subbrev_co_u32_e32 v3, vcc, 0, v1, vcc
	v_lshl_add_u64 v[2:3], s[18:19], 4, v[2:3]
	v_lshl_add_u64 v[2:3], v[2:3], 0, -16
	s_movk_i32 s6, 0x210
	v_cndmask_b32_e64 v3, v3, v1, s[4:5]
	v_cndmask_b32_e64 v2, v2, v0, s[4:5]
	v_cmp_le_i32_e32 vcc, s18, v11
	v_mad_u32_u24 v5, v11, s6, v8
	s_and_saveexec_b64 s[6:7], vcc
	s_xor_b64 s[6:7], exec, s[6:7]
; %bb.11:
	v_mov_b32_e32 v12, 0
	v_mov_b32_e32 v13, v12
	;; [unrolled: 1-line block ×4, first 2 shown]
	ds_write_b128 v5, v[12:15]
                                        ; implicit-def: $vgpr5
; %bb.12:
	s_or_saveexec_b64 s[6:7], s[6:7]
	v_mul_u32_u24_e32 v4, 0x210, v11
	s_xor_b64 exec, exec, s[6:7]
	s_cbranch_execz .LBB54_14
; %bb.13:
	flat_load_dwordx4 v[12:15], v[2:3]
	s_waitcnt vmcnt(0) lgkmcnt(0)
	ds_write2_b64 v5, v[12:13], v[14:15] offset1:1
.LBB54_14:
	s_or_b64 exec, exec, s[6:7]
	v_add_u32_e32 v5, 8, v11
	v_cmp_le_i32_e32 vcc, s18, v5
	v_add_u32_e32 v5, v4, v8
	s_and_saveexec_b64 s[6:7], vcc
	s_xor_b64 s[6:7], exec, s[6:7]
; %bb.15:
	v_mov_b32_e32 v12, 0
	v_mov_b32_e32 v13, v12
	;; [unrolled: 1-line block ×4, first 2 shown]
	ds_write_b128 v5, v[12:15] offset:4224
; %bb.16:
	s_andn2_saveexec_b64 s[6:7], s[6:7]
	s_cbranch_execz .LBB54_18
; %bb.17:
	s_lshl_b32 s8, s24, 3
	s_ashr_i32 s9, s8, 31
	v_lshl_add_u64 v[6:7], s[8:9], 4, v[2:3]
	flat_load_dwordx4 v[12:15], v[6:7]
	s_movk_i32 s8, 0x1080
	v_add3_u32 v6, v4, v8, s8
	s_waitcnt vmcnt(0) lgkmcnt(0)
	ds_write2_b64 v6, v[12:13], v[14:15] offset1:1
.LBB54_18:
	s_or_b64 exec, exec, s[6:7]
	v_add_u32_e32 v6, 16, v11
	v_cmp_le_i32_e32 vcc, s18, v6
	s_and_saveexec_b64 s[6:7], vcc
	s_xor_b64 s[6:7], exec, s[6:7]
; %bb.19:
	v_mov_b32_e32 v12, 0
	v_mov_b32_e32 v13, v12
	;; [unrolled: 1-line block ×4, first 2 shown]
	ds_write_b128 v5, v[12:15] offset:8448
; %bb.20:
	s_andn2_saveexec_b64 s[6:7], s[6:7]
	s_cbranch_execz .LBB54_22
; %bb.21:
	s_lshl_b32 s8, s24, 4
	s_ashr_i32 s9, s8, 31
	v_lshl_add_u64 v[6:7], s[8:9], 4, v[2:3]
	flat_load_dwordx4 v[12:15], v[6:7]
	s_movk_i32 s8, 0x2100
	v_add3_u32 v6, v4, v8, s8
	s_waitcnt vmcnt(0) lgkmcnt(0)
	ds_write2_b64 v6, v[12:13], v[14:15] offset1:1
.LBB54_22:
	s_or_b64 exec, exec, s[6:7]
	v_add_u32_e32 v6, 24, v11
	v_cmp_le_i32_e32 vcc, s18, v6
	s_and_saveexec_b64 s[6:7], vcc
	s_xor_b64 s[6:7], exec, s[6:7]
; %bb.23:
	v_mov_b32_e32 v12, 0
	v_mov_b32_e32 v13, v12
	;; [unrolled: 1-line block ×4, first 2 shown]
	ds_write_b128 v5, v[12:15] offset:12672
                                        ; implicit-def: $vgpr4
; %bb.24:
	s_andn2_saveexec_b64 s[6:7], s[6:7]
	s_cbranch_execz .LBB54_26
; %bb.25:
	s_mul_i32 s8, s24, 24
	s_ashr_i32 s9, s8, 31
	v_lshl_add_u64 v[6:7], s[8:9], 4, v[2:3]
	flat_load_dwordx4 v[12:15], v[6:7]
	s_movk_i32 s8, 0x3180
	v_add3_u32 v4, v4, v8, s8
	s_waitcnt vmcnt(0) lgkmcnt(0)
	ds_write2_b64 v4, v[12:13], v[14:15] offset1:1
.LBB54_26:
	s_or_b64 exec, exec, s[6:7]
	v_mov_b32_e32 v9, 0
	v_lshl_add_u64 v[2:3], v[2:3], 0, v[8:9]
	s_lshl_b64 s[6:7], s[18:19], 4
	v_mov_b32_e32 v4, s7
	v_subrev_co_u32_e32 v2, vcc, s6, v2
	s_nop 1
	v_subb_co_u32_e32 v3, vcc, v3, v4, vcc
	v_lshl_add_u64 v[2:3], v[2:3], 0, 16
	v_cndmask_b32_e64 v5, v3, v1, s[4:5]
	v_cndmask_b32_e64 v4, v2, v0, s[4:5]
	s_branch .LBB54_29
.LBB54_27:
                                        ; implicit-def: $vgpr4_vgpr5
	s_cbranch_execz .LBB54_29
; %bb.28:
	flat_load_dwordx4 v[2:5], v[0:1]
	v_mul_u32_u24_e32 v6, 0x210, v11
	s_lshl_b32 s4, s24, 3
	v_lshl_add_u32 v9, v10, 4, v6
	s_ashr_i32 s5, s4, 31
	v_lshl_add_u64 v[6:7], s[4:5], 4, v[0:1]
	s_ashr_i32 s25, s24, 31
	s_lshl_b64 s[4:5], s[24:25], 7
	v_add_u32_e32 v12, 0x1080, v9
	s_waitcnt vmcnt(0) lgkmcnt(0)
	ds_write2_b64 v9, v[2:3], v[4:5] offset1:1
	flat_load_dwordx4 v[2:5], v[6:7]
	v_lshl_add_u64 v[6:7], v[6:7], 0, s[4:5]
	s_waitcnt vmcnt(0) lgkmcnt(0)
	ds_write2_b64 v12, v[2:3], v[4:5] offset1:1
	flat_load_dwordx4 v[2:5], v[6:7]
	v_add_u32_e32 v12, 0x2100, v9
	v_lshl_add_u64 v[6:7], v[6:7], 0, s[4:5]
	s_waitcnt vmcnt(0) lgkmcnt(0)
	ds_write2_b64 v12, v[2:3], v[4:5] offset1:1
	flat_load_dwordx4 v[2:5], v[6:7]
	v_add_u32_e32 v6, 0x3180, v9
	s_waitcnt vmcnt(0) lgkmcnt(0)
	ds_write2_b64 v6, v[2:3], v[4:5] offset1:1
	v_mov_b64_e32 v[4:5], v[0:1]
.LBB54_29:
	v_lshlrev_b32_e32 v15, 2, v11
	v_mul_u32_u24_e32 v14, 0x210, v10
	v_cmp_le_u32_e64 s[6:7], v15, v10
	s_mov_b64 s[4:5], 0
	s_waitcnt lgkmcnt(0)
	s_barrier
                                        ; implicit-def: $vgpr0
	s_and_saveexec_b64 s[8:9], s[6:7]
	s_xor_b64 s[8:9], exec, s[8:9]
	s_cbranch_execz .LBB54_33
; %bb.30:
	v_cmp_eq_u32_e32 vcc, v15, v10
                                        ; implicit-def: $vgpr0
	s_and_saveexec_b64 s[10:11], vcc
	s_xor_b64 s[10:11], exec, s[10:11]
; %bb.31:
	s_mov_b64 s[4:5], exec
	v_add_u32_e32 v0, v8, v14
; %bb.32:
	s_or_b64 exec, exec, s[10:11]
	s_and_b64 s[4:5], s[4:5], exec
.LBB54_33:
	s_or_saveexec_b64 s[8:9], s[8:9]
	v_lshl_or_b32 v1, v10, 9, v8
	v_mov_b64_e32 v[2:3], 0
	v_lshl_add_u32 v6, v15, 4, v1
	s_xor_b64 exec, exec, s[8:9]
	s_cbranch_execz .LBB54_35
; %bb.34:
	s_movk_i32 s10, 0x840
	v_mad_u32_u24 v0, v11, s10, v8
	ds_read_b128 v[0:3], v0
	s_or_b64 s[4:5], s[4:5], exec
	s_waitcnt lgkmcnt(0)
	v_xor_b32_e32 v3, 0x80000000, v3
	ds_write_b64 v6, v[0:1]
	v_mov_b32_e32 v0, v6
.LBB54_35:
	s_or_b64 exec, exec, s[8:9]
	s_and_saveexec_b64 s[8:9], s[4:5]
; %bb.36:
	ds_write_b64 v0, v[2:3] offset:8
; %bb.37:
	s_or_b64 exec, exec, s[8:9]
	v_or_b32_e32 v16, 1, v15
	v_cmp_ge_u32_e64 s[8:9], v15, v10
	s_mov_b64 s[4:5], 0
                                        ; implicit-def: $vgpr2_vgpr3
                                        ; implicit-def: $vgpr7
	s_and_saveexec_b64 s[10:11], s[8:9]
	s_xor_b64 s[10:11], exec, s[10:11]
	s_cbranch_execz .LBB54_73
; %bb.38:
	s_movk_i32 s12, 0x210
	v_mad_u32_u24 v0, v16, s12, v8
	ds_read_b128 v[0:3], v0
	s_mov_b64 s[4:5], exec
	v_add_u32_e32 v7, 16, v6
	s_waitcnt lgkmcnt(0)
	v_xor_b32_e32 v3, 0x80000000, v3
	ds_write_b64 v6, v[0:1] offset:16
	s_andn2_saveexec_b64 s[10:11], s[10:11]
	s_cbranch_execnz .LBB54_74
.LBB54_39:
	s_or_b64 exec, exec, s[10:11]
	s_and_saveexec_b64 s[10:11], s[4:5]
.LBB54_40:
	ds_write_b64 v7, v[2:3] offset:8
.LBB54_41:
	s_or_b64 exec, exec, s[10:11]
	v_or_b32_e32 v17, 2, v15
	v_cmp_le_u32_e64 s[10:11], v17, v10
	s_mov_b64 s[4:5], 0
                                        ; implicit-def: $vgpr7
	s_and_saveexec_b64 s[12:13], s[10:11]
	s_xor_b64 s[12:13], exec, s[12:13]
	s_cbranch_execz .LBB54_77
; %bb.42:
	v_cmp_eq_u32_e32 vcc, v17, v10
                                        ; implicit-def: $vgpr7
	s_and_saveexec_b64 s[16:17], vcc
; %bb.43:
	s_mov_b64 s[4:5], exec
	v_add_u32_e32 v7, v8, v14
; %bb.44:
	s_or_b64 exec, exec, s[16:17]
	s_and_b64 s[4:5], s[4:5], exec
	s_or_saveexec_b64 s[12:13], s[12:13]
	v_mov_b64_e32 v[2:3], 0
	s_xor_b64 exec, exec, s[12:13]
	s_cbranch_execnz .LBB54_78
.LBB54_45:
	s_or_b64 exec, exec, s[12:13]
	s_and_saveexec_b64 s[12:13], s[4:5]
.LBB54_46:
	ds_write_b64 v7, v[2:3] offset:8
.LBB54_47:
	s_or_b64 exec, exec, s[12:13]
	v_or_b32_e32 v18, 3, v15
	v_cmp_le_u32_e64 s[12:13], v18, v10
	s_mov_b64 s[4:5], 0
                                        ; implicit-def: $vgpr7
	s_and_saveexec_b64 s[16:17], s[12:13]
	s_xor_b64 s[16:17], exec, s[16:17]
	s_cbranch_execz .LBB54_79
; %bb.48:
	v_cmp_eq_u32_e32 vcc, v18, v10
                                        ; implicit-def: $vgpr7
	s_and_saveexec_b64 s[30:31], vcc
; %bb.49:
	s_mov_b64 s[4:5], exec
	v_add_u32_e32 v7, v8, v14
; %bb.50:
	s_or_b64 exec, exec, s[30:31]
	s_and_b64 s[4:5], s[4:5], exec
                                        ; implicit-def: $vgpr6
	s_or_saveexec_b64 s[16:17], s[16:17]
	v_mov_b64_e32 v[2:3], 0
	s_xor_b64 exec, exec, s[16:17]
	s_cbranch_execnz .LBB54_80
.LBB54_51:
	s_or_b64 exec, exec, s[16:17]
	s_and_saveexec_b64 s[16:17], s[4:5]
.LBB54_52:
	ds_write_b64 v7, v[2:3] offset:8
.LBB54_53:
	s_or_b64 exec, exec, s[16:17]
	s_movk_i32 s4, 0x840
	v_lshlrev_b32_e32 v19, 4, v15
	s_waitcnt lgkmcnt(0)
	s_barrier
	v_mad_u32_u24 v6, v11, s4, v8
	ds_read_b128 v[0:3], v19 offset:18176
	ds_read_b128 v[20:23], v6
	ds_read_b128 v[24:27], v19 offset:18192
	ds_read_b128 v[28:31], v19 offset:18208
	s_movk_i32 s4, 0x210
	v_mad_u32_u24 v9, v16, s4, v8
	s_waitcnt lgkmcnt(2)
	v_mul_f64 v[6:7], v[2:3], v[22:23]
	v_mul_f64 v[12:13], v[0:1], v[22:23]
	v_fma_f64 v[6:7], v[0:1], v[20:21], -v[6:7]
	v_fmac_f64_e32 v[12:13], v[2:3], v[20:21]
	ds_read_b128 v[20:23], v19 offset:18224
	ds_read_b128 v[32:35], v9
	v_add_f64 v[2:3], v[6:7], 0
	v_add_f64 v[6:7], v[12:13], 0
	ds_read_b128 v[44:47], v9 offset:528
	v_mov_b64_e32 v[0:1], 0
	s_waitcnt lgkmcnt(1)
	v_mul_f64 v[12:13], v[26:27], v[34:35]
	v_fma_f64 v[12:13], v[24:25], v[32:33], -v[12:13]
	v_mul_f64 v[24:25], v[24:25], v[34:35]
	v_fmac_f64_e32 v[24:25], v[26:27], v[32:33]
	v_add_f64 v[6:7], v[6:7], v[24:25]
	ds_read_b128 v[24:27], v9 offset:1056
	v_add_f64 v[2:3], v[2:3], v[12:13]
	s_waitcnt lgkmcnt(1)
	v_mul_f64 v[12:13], v[30:31], v[46:47]
	v_fma_f64 v[12:13], v[28:29], v[44:45], -v[12:13]
	v_add_f64 v[2:3], v[2:3], v[12:13]
	s_waitcnt lgkmcnt(0)
	v_mul_f64 v[12:13], v[22:23], v[26:27]
	v_mul_f64 v[28:29], v[28:29], v[46:47]
	v_fma_f64 v[12:13], v[20:21], v[24:25], -v[12:13]
	v_fmac_f64_e32 v[28:29], v[30:31], v[44:45]
	v_mul_f64 v[26:27], v[20:21], v[26:27]
	v_add_f64 v[20:21], v[2:3], v[12:13]
	v_mul_u32_u24_e32 v2, 33, v10
	v_add_f64 v[6:7], v[6:7], v[28:29]
	v_fmac_f64_e32 v[26:27], v[22:23], v[24:25]
	v_lshlrev_b32_e32 v43, 4, v2
	v_add_f64 v[22:23], v[6:7], v[26:27]
	v_lshl_add_u32 v44, v11, 4, v43
	v_cmp_gt_u32_e64 s[4:5], 32, v42
	v_mov_b64_e32 v[2:3], 0
	s_barrier
	ds_write_b128 v44, v[20:23]
	s_waitcnt lgkmcnt(0)
	s_barrier
	s_and_saveexec_b64 s[16:17], s[4:5]
	s_cbranch_execz .LBB54_55
; %bb.54:
	ds_read_b128 v[0:3], v43
	ds_read_b128 v[20:23], v43 offset:16
	ds_read_b128 v[24:27], v43 offset:32
	;; [unrolled: 1-line block ×3, first 2 shown]
	s_waitcnt lgkmcnt(2)
	v_add_f64 v[0:1], v[20:21], v[0:1]
	v_add_f64 v[6:7], v[22:23], v[2:3]
	s_waitcnt lgkmcnt(1)
	v_add_f64 v[12:13], v[0:1], v[24:25]
	ds_read_b128 v[0:3], v43 offset:64
	ds_read_b128 v[20:23], v43 offset:80
	v_add_f64 v[6:7], v[6:7], v[26:27]
	s_waitcnt lgkmcnt(2)
	v_add_f64 v[12:13], v[12:13], v[28:29]
	v_add_f64 v[6:7], v[6:7], v[30:31]
	ds_read_b128 v[24:27], v43 offset:96
	s_waitcnt lgkmcnt(2)
	v_add_f64 v[12:13], v[12:13], v[0:1]
	v_add_f64 v[6:7], v[6:7], v[2:3]
	ds_read_b128 v[0:3], v43 offset:112
	s_waitcnt lgkmcnt(2)
	v_add_f64 v[12:13], v[12:13], v[20:21]
	v_add_f64 v[6:7], v[6:7], v[22:23]
	s_waitcnt lgkmcnt(1)
	v_add_f64 v[12:13], v[12:13], v[24:25]
	v_add_f64 v[6:7], v[6:7], v[26:27]
	;; [unrolled: 3-line block ×3, first 2 shown]
.LBB54_55:
	s_or_b64 exec, exec, s[16:17]
	s_lshl_b32 s30, s24, 5
	s_ashr_i32 s31, s30, 31
	v_lshl_add_u64 v[6:7], s[30:31], 4, v[4:5]
	s_mov_b64 s[16:17], 0x200
	v_lshl_add_u64 v[4:5], v[6:7], 0, s[16:17]
	s_and_b64 vcc, exec, s[28:29]
	s_barrier
	s_cbranch_vccz .LBB54_81
; %bb.56:
	v_sub_co_u32_e32 v12, vcc, v6, v8
	s_ashr_i32 s19, s18, 31
	s_nop 0
	v_subbrev_co_u32_e32 v13, vcc, 0, v7, vcc
	v_or_b32_e32 v9, 32, v10
	v_lshl_add_u64 v[12:13], s[18:19], 4, v[12:13]
	v_lshl_add_u64 v[12:13], v[12:13], 0, -16
	v_cmp_gt_i32_e32 vcc, s18, v9
	s_sub_i32 s25, s18, 32
	s_movk_i32 s27, 0x210
	v_cndmask_b32_e32 v13, v13, v5, vcc
	v_cndmask_b32_e32 v12, v12, v4, vcc
	v_cmp_le_i32_e64 s[16:17], s25, v11
	v_mad_u32_u24 v20, v11, s27, v8
	s_and_saveexec_b64 s[34:35], s[16:17]
	s_xor_b64 s[16:17], exec, s[34:35]
; %bb.57:
	v_mov_b32_e32 v22, 0
	v_mov_b32_e32 v23, v22
	;; [unrolled: 1-line block ×4, first 2 shown]
	ds_write_b128 v20, v[22:25]
                                        ; implicit-def: $vgpr20
; %bb.58:
	s_or_saveexec_b64 s[16:17], s[16:17]
	v_mul_u32_u24_e32 v9, 0x210, v11
	s_xor_b64 exec, exec, s[16:17]
	s_cbranch_execz .LBB54_60
; %bb.59:
	flat_load_dwordx4 v[22:25], v[12:13]
	s_waitcnt vmcnt(0) lgkmcnt(0)
	ds_write2_b64 v20, v[22:23], v[24:25] offset1:1
.LBB54_60:
	s_or_b64 exec, exec, s[16:17]
	v_add_u32_e32 v20, 8, v11
	v_cmp_le_i32_e64 s[16:17], s25, v20
	v_add_u32_e32 v20, v9, v8
	s_and_saveexec_b64 s[34:35], s[16:17]
	s_xor_b64 s[16:17], exec, s[34:35]
; %bb.61:
	v_mov_b32_e32 v22, 0
	v_mov_b32_e32 v23, v22
	v_mov_b32_e32 v24, v22
	v_mov_b32_e32 v25, v22
	ds_write_b128 v20, v[22:25] offset:4224
; %bb.62:
	s_andn2_saveexec_b64 s[16:17], s[16:17]
	s_cbranch_execz .LBB54_64
; %bb.63:
	s_lshl_b32 s34, s24, 3
	s_ashr_i32 s35, s34, 31
	v_lshl_add_u64 v[22:23], s[34:35], 4, v[12:13]
	flat_load_dwordx4 v[22:25], v[22:23]
	s_movk_i32 s27, 0x1080
	v_add3_u32 v21, v9, v8, s27
	s_waitcnt vmcnt(0) lgkmcnt(0)
	ds_write2_b64 v21, v[22:23], v[24:25] offset1:1
.LBB54_64:
	s_or_b64 exec, exec, s[16:17]
	v_add_u32_e32 v21, 16, v11
	v_cmp_le_i32_e64 s[16:17], s25, v21
	s_and_saveexec_b64 s[34:35], s[16:17]
	s_xor_b64 s[16:17], exec, s[34:35]
; %bb.65:
	v_mov_b32_e32 v22, 0
	v_mov_b32_e32 v23, v22
	;; [unrolled: 1-line block ×4, first 2 shown]
	ds_write_b128 v20, v[22:25] offset:8448
; %bb.66:
	s_andn2_saveexec_b64 s[16:17], s[16:17]
	s_cbranch_execz .LBB54_68
; %bb.67:
	s_lshl_b32 s34, s24, 4
	s_ashr_i32 s35, s34, 31
	v_lshl_add_u64 v[22:23], s[34:35], 4, v[12:13]
	flat_load_dwordx4 v[22:25], v[22:23]
	s_movk_i32 s27, 0x2100
	v_add3_u32 v21, v9, v8, s27
	s_waitcnt vmcnt(0) lgkmcnt(0)
	ds_write2_b64 v21, v[22:23], v[24:25] offset1:1
.LBB54_68:
	s_or_b64 exec, exec, s[16:17]
	v_add_u32_e32 v21, 24, v11
	v_cmp_le_i32_e64 s[16:17], s25, v21
	s_and_saveexec_b64 s[34:35], s[16:17]
	s_xor_b64 s[16:17], exec, s[34:35]
; %bb.69:
	v_mov_b32_e32 v22, 0
	v_mov_b32_e32 v23, v22
	;; [unrolled: 1-line block ×4, first 2 shown]
	ds_write_b128 v20, v[22:25] offset:12672
                                        ; implicit-def: $vgpr9
; %bb.70:
	s_andn2_saveexec_b64 s[16:17], s[16:17]
	s_cbranch_execz .LBB54_72
; %bb.71:
	s_mul_i32 s34, s24, 24
	s_ashr_i32 s35, s34, 31
	v_lshl_add_u64 v[20:21], s[34:35], 4, v[12:13]
	flat_load_dwordx4 v[20:23], v[20:21]
	s_movk_i32 s25, 0x3180
	v_add3_u32 v9, v9, v8, s25
	s_waitcnt vmcnt(0) lgkmcnt(0)
	ds_write2_b64 v9, v[20:21], v[22:23] offset1:1
.LBB54_72:
	s_or_b64 exec, exec, s[16:17]
	v_mov_b32_e32 v9, 0
	v_lshl_add_u64 v[12:13], v[12:13], 0, v[8:9]
	s_lshl_b64 s[16:17], s[18:19], 4
	v_mov_b32_e32 v9, s17
	v_subrev_co_u32_e64 v12, s[16:17], s16, v12
	s_nop 1
	v_subb_co_u32_e64 v13, s[16:17], v13, v9, s[16:17]
	s_mov_b64 s[16:17], 0x210
	s_nop 0
	v_lshl_add_u64 v[12:13], v[12:13], 0, s[16:17]
	v_cndmask_b32_e32 v13, v13, v5, vcc
	v_cndmask_b32_e32 v12, v12, v4, vcc
	s_branch .LBB54_83
.LBB54_73:
	s_andn2_saveexec_b64 s[10:11], s[10:11]
	s_cbranch_execz .LBB54_39
.LBB54_74:
	v_cmp_eq_u32_e32 vcc, v16, v10
	s_mov_b64 s[12:13], s[4:5]
                                        ; implicit-def: $vgpr7
	s_and_saveexec_b64 s[16:17], vcc
; %bb.75:
	v_add_u32_e32 v7, v8, v14
	s_or_b64 s[12:13], s[4:5], exec
; %bb.76:
	s_or_b64 exec, exec, s[16:17]
	s_andn2_b64 s[4:5], s[4:5], exec
	s_and_b64 s[12:13], s[12:13], exec
	v_mov_b64_e32 v[2:3], 0
	s_or_b64 s[4:5], s[4:5], s[12:13]
	s_or_b64 exec, exec, s[10:11]
	s_and_saveexec_b64 s[10:11], s[4:5]
	s_cbranch_execnz .LBB54_40
	s_branch .LBB54_41
.LBB54_77:
	s_or_saveexec_b64 s[12:13], s[12:13]
	v_mov_b64_e32 v[2:3], 0
	s_xor_b64 exec, exec, s[12:13]
	s_cbranch_execz .LBB54_45
.LBB54_78:
	s_movk_i32 s16, 0x210
	v_mad_u32_u24 v0, v17, s16, v8
	ds_read_b128 v[0:3], v0
	v_add_u32_e32 v7, 32, v6
	s_or_b64 s[4:5], s[4:5], exec
	s_waitcnt lgkmcnt(0)
	v_xor_b32_e32 v3, 0x80000000, v3
	ds_write_b64 v6, v[0:1] offset:32
	s_or_b64 exec, exec, s[12:13]
	s_and_saveexec_b64 s[12:13], s[4:5]
	s_cbranch_execnz .LBB54_46
	s_branch .LBB54_47
.LBB54_79:
	s_or_saveexec_b64 s[16:17], s[16:17]
	v_mov_b64_e32 v[2:3], 0
	s_xor_b64 exec, exec, s[16:17]
	s_cbranch_execz .LBB54_51
.LBB54_80:
	s_movk_i32 s19, 0x210
	v_mad_u32_u24 v0, v18, s19, v8
	ds_read_b128 v[0:3], v0
	v_add_u32_e32 v7, 48, v6
	s_or_b64 s[4:5], s[4:5], exec
	s_waitcnt lgkmcnt(0)
	v_xor_b32_e32 v3, 0x80000000, v3
	ds_write_b64 v6, v[0:1] offset:48
	s_or_b64 exec, exec, s[16:17]
	s_and_saveexec_b64 s[16:17], s[4:5]
	s_cbranch_execnz .LBB54_52
	s_branch .LBB54_53
.LBB54_81:
                                        ; implicit-def: $vgpr12_vgpr13
	s_cbranch_execz .LBB54_83
; %bb.82:
	flat_load_dwordx4 v[20:23], v[4:5]
	s_movk_i32 s17, 0x210
	s_lshl_b32 s16, s24, 3
	v_mad_u32_u24 v9, v11, s17, v8
	s_ashr_i32 s17, s16, 31
	v_lshl_add_u64 v[6:7], s[16:17], 4, v[6:7]
	s_ashr_i32 s25, s24, 31
	s_lshl_b64 s[16:17], s[24:25], 7
	v_add_u32_e32 v12, 0x1080, v9
	s_waitcnt vmcnt(0) lgkmcnt(0)
	ds_write2_b64 v9, v[20:21], v[22:23] offset1:1
	flat_load_dwordx4 v[20:23], v[6:7] offset:512
	v_lshl_add_u64 v[6:7], v[6:7], 0, s[16:17]
	s_waitcnt vmcnt(0) lgkmcnt(0)
	ds_write2_b64 v12, v[20:21], v[22:23] offset1:1
	flat_load_dwordx4 v[20:23], v[6:7] offset:512
	v_add_u32_e32 v12, 0x2100, v9
	v_lshl_add_u64 v[6:7], v[6:7], 0, s[16:17]
	s_waitcnt vmcnt(0) lgkmcnt(0)
	ds_write2_b64 v12, v[20:21], v[22:23] offset1:1
	flat_load_dwordx4 v[20:23], v[6:7] offset:512
	v_add_u32_e32 v6, 0x3180, v9
	v_mov_b64_e32 v[12:13], v[4:5]
	s_waitcnt vmcnt(0) lgkmcnt(0)
	ds_write2_b64 v6, v[20:21], v[22:23] offset1:1
.LBB54_83:
	v_mul_u32_u24_e32 v5, 0x840, v11
	s_mov_b64 s[16:17], 0
	s_waitcnt lgkmcnt(0)
	s_barrier
                                        ; implicit-def: $vgpr4
	s_and_saveexec_b64 s[34:35], s[6:7]
	s_xor_b64 s[6:7], exec, s[34:35]
	s_cbranch_execz .LBB54_87
; %bb.84:
	v_cmp_eq_u32_e32 vcc, v15, v10
                                        ; implicit-def: $vgpr4
	s_and_saveexec_b64 s[34:35], vcc
	s_xor_b64 s[34:35], exec, s[34:35]
; %bb.85:
	s_mov_b64 s[16:17], exec
	v_add_u32_e32 v4, v8, v14
; %bb.86:
	s_or_b64 exec, exec, s[34:35]
	s_and_b64 s[16:17], s[16:17], exec
.LBB54_87:
	s_or_saveexec_b64 s[6:7], s[6:7]
	v_mov_b64_e32 v[6:7], 0
	v_add_u32_e32 v32, v8, v5
	v_lshl_add_u32 v9, v15, 4, v43
	s_xor_b64 exec, exec, s[6:7]
	s_cbranch_execz .LBB54_89
; %bb.88:
	ds_read_b128 v[4:7], v32
	s_or_b64 s[16:17], s[16:17], exec
	s_waitcnt lgkmcnt(0)
	v_xor_b32_e32 v7, 0x80000000, v7
	ds_write_b64 v9, v[4:5]
	v_mov_b32_e32 v4, v9
.LBB54_89:
	s_or_b64 exec, exec, s[6:7]
	v_mul_u32_u24_e32 v5, 0x210, v16
	s_and_saveexec_b64 s[6:7], s[16:17]
; %bb.90:
	ds_write_b64 v4, v[6:7] offset:8
; %bb.91:
	s_or_b64 exec, exec, s[6:7]
	s_mov_b64 s[6:7], 0
	v_add_u32_e32 v45, v8, v5
                                        ; implicit-def: $vgpr6_vgpr7
                                        ; implicit-def: $vgpr15
	s_and_saveexec_b64 s[16:17], s[8:9]
	s_xor_b64 s[8:9], exec, s[16:17]
	s_cbranch_execz .LBB54_127
; %bb.92:
	ds_read_b128 v[4:7], v45
	s_mov_b64 s[6:7], exec
	v_add_u32_e32 v15, 16, v9
                                        ; implicit-def: $vgpr16
	s_waitcnt lgkmcnt(0)
	v_xor_b32_e32 v7, 0x80000000, v7
	ds_write_b64 v9, v[4:5] offset:16
	s_andn2_saveexec_b64 s[8:9], s[8:9]
	s_cbranch_execnz .LBB54_128
.LBB54_93:
	s_or_b64 exec, exec, s[8:9]
	s_and_saveexec_b64 s[8:9], s[6:7]
.LBB54_94:
	ds_write_b64 v15, v[6:7] offset:8
.LBB54_95:
	s_or_b64 exec, exec, s[8:9]
	s_mov_b64 s[6:7], 0
                                        ; implicit-def: $vgpr15
	s_and_saveexec_b64 s[8:9], s[10:11]
	s_xor_b64 s[8:9], exec, s[8:9]
	s_cbranch_execz .LBB54_131
; %bb.96:
	v_cmp_eq_u32_e32 vcc, v17, v10
                                        ; implicit-def: $vgpr15
	s_and_saveexec_b64 s[10:11], vcc
; %bb.97:
	s_mov_b64 s[6:7], exec
	v_add_u32_e32 v15, v8, v14
; %bb.98:
	s_or_b64 exec, exec, s[10:11]
	s_and_b64 s[6:7], s[6:7], exec
	s_or_saveexec_b64 s[8:9], s[8:9]
	v_mov_b64_e32 v[6:7], 0
	s_xor_b64 exec, exec, s[8:9]
	s_cbranch_execnz .LBB54_132
.LBB54_99:
	s_or_b64 exec, exec, s[8:9]
	s_and_saveexec_b64 s[8:9], s[6:7]
.LBB54_100:
	ds_write_b64 v15, v[6:7] offset:8
.LBB54_101:
	s_or_b64 exec, exec, s[8:9]
	s_mov_b64 s[6:7], 0
                                        ; implicit-def: $vgpr15
	s_and_saveexec_b64 s[8:9], s[12:13]
	s_xor_b64 s[8:9], exec, s[8:9]
	s_cbranch_execz .LBB54_133
; %bb.102:
	v_cmp_eq_u32_e32 vcc, v18, v10
                                        ; implicit-def: $vgpr15
	s_and_saveexec_b64 s[10:11], vcc
; %bb.103:
	s_mov_b64 s[6:7], exec
	v_add_u32_e32 v15, v8, v14
; %bb.104:
	s_or_b64 exec, exec, s[10:11]
	s_and_b64 s[6:7], s[6:7], exec
                                        ; implicit-def: $vgpr9
	s_or_saveexec_b64 s[8:9], s[8:9]
	v_mov_b64_e32 v[6:7], 0
	s_xor_b64 exec, exec, s[8:9]
	s_cbranch_execnz .LBB54_134
.LBB54_105:
	s_or_b64 exec, exec, s[8:9]
	v_add_u32_e32 v16, 0x4700, v19
	s_and_saveexec_b64 s[8:9], s[6:7]
.LBB54_106:
	ds_write_b64 v15, v[6:7] offset:8
.LBB54_107:
	s_or_b64 exec, exec, s[8:9]
	s_waitcnt lgkmcnt(0)
	s_barrier
	ds_read_b128 v[4:7], v32
	ds_read_b128 v[18:21], v16 offset:512
	ds_read_b128 v[22:25], v16 offset:528
	;; [unrolled: 1-line block ×5, first 2 shown]
	s_waitcnt lgkmcnt(4)
	v_mul_f64 v[14:15], v[20:21], v[6:7]
	v_mul_f64 v[6:7], v[18:19], v[6:7]
	ds_read_b128 v[54:57], v45
	v_fmac_f64_e32 v[6:7], v[20:21], v[4:5]
	v_fma_f64 v[14:15], v[18:19], v[4:5], -v[14:15]
	v_add_f64 v[18:19], v[6:7], 0
	ds_read_b128 v[4:7], v45 offset:528
	s_waitcnt lgkmcnt(1)
	v_mul_f64 v[20:21], v[24:25], v[56:57]
	v_add_f64 v[14:15], v[14:15], 0
	v_fma_f64 v[20:21], v[22:23], v[54:55], -v[20:21]
	v_mul_f64 v[22:23], v[22:23], v[56:57]
	v_fmac_f64_e32 v[22:23], v[24:25], v[54:55]
	v_add_f64 v[14:15], v[14:15], v[20:21]
	s_waitcnt lgkmcnt(0)
	v_mul_f64 v[20:21], v[28:29], v[6:7]
	v_mul_f64 v[6:7], v[26:27], v[6:7]
	v_add_f64 v[18:19], v[18:19], v[22:23]
	v_fma_f64 v[20:21], v[26:27], v[4:5], -v[20:21]
	v_fmac_f64_e32 v[6:7], v[28:29], v[4:5]
	v_add_f64 v[4:5], v[14:15], v[20:21]
	v_add_f64 v[6:7], v[18:19], v[6:7]
	v_mul_f64 v[14:15], v[48:49], v[52:53]
	v_mul_f64 v[18:19], v[46:47], v[52:53]
	v_fma_f64 v[14:15], v[46:47], v[50:51], -v[14:15]
	v_fmac_f64_e32 v[18:19], v[48:49], v[50:51]
	v_add_f64 v[4:5], v[4:5], v[14:15]
	v_add_f64 v[6:7], v[6:7], v[18:19]
	v_cmp_eq_u32_e64 s[6:7], 1, v11
	s_barrier
	ds_write_b128 v44, v[4:7]
	s_waitcnt lgkmcnt(0)
	s_barrier
	s_and_saveexec_b64 s[8:9], s[6:7]
	s_cbranch_execz .LBB54_109
; %bb.108:
	ds_read_b128 v[0:3], v43
	ds_read_b128 v[4:7], v43 offset:16
	ds_read_b128 v[18:21], v43 offset:32
	;; [unrolled: 1-line block ×3, first 2 shown]
	s_waitcnt lgkmcnt(2)
	v_add_f64 v[0:1], v[4:5], v[0:1]
	v_add_f64 v[4:5], v[6:7], v[2:3]
	s_waitcnt lgkmcnt(1)
	v_add_f64 v[6:7], v[0:1], v[18:19]
	ds_read_b128 v[0:3], v43 offset:64
	v_add_f64 v[4:5], v[4:5], v[20:21]
	s_waitcnt lgkmcnt(1)
	v_add_f64 v[14:15], v[6:7], v[22:23]
	v_add_f64 v[22:23], v[4:5], v[24:25]
	ds_read_b128 v[4:7], v43 offset:80
	ds_read_b128 v[18:21], v43 offset:96
	s_waitcnt lgkmcnt(2)
	v_add_f64 v[14:15], v[14:15], v[0:1]
	v_add_f64 v[22:23], v[22:23], v[2:3]
	ds_read_b128 v[0:3], v43 offset:112
	s_waitcnt lgkmcnt(2)
	v_add_f64 v[4:5], v[14:15], v[4:5]
	v_add_f64 v[6:7], v[22:23], v[6:7]
	s_waitcnt lgkmcnt(1)
	v_add_f64 v[4:5], v[4:5], v[18:19]
	v_add_f64 v[6:7], v[6:7], v[20:21]
	;; [unrolled: 3-line block ×3, first 2 shown]
.LBB54_109:
	s_or_b64 exec, exec, s[8:9]
	s_movk_i32 s8, 0xfe00
	s_mov_b32 s9, -1
	v_lshl_add_u64 v[4:5], v[12:13], 0, s[8:9]
	s_and_b64 vcc, exec, s[28:29]
	s_barrier
	s_cbranch_vccz .LBB54_135
; %bb.110:
	v_sub_co_u32_e32 v6, vcc, v4, v8
	s_ashr_i32 s19, s18, 31
	s_nop 0
	v_subbrev_co_u32_e32 v7, vcc, 0, v5, vcc
	v_lshl_add_u64 v[6:7], s[18:19], 4, v[6:7]
	v_lshl_add_u64 v[6:7], v[6:7], 0, -16
	v_cmp_gt_i32_e32 vcc, s18, v10
	s_sub_i32 s10, s18, 32
	s_movk_i32 s11, 0x210
	v_cndmask_b32_e32 v7, v7, v5, vcc
	v_cndmask_b32_e32 v6, v6, v4, vcc
	v_cmp_le_i32_e64 s[8:9], s10, v11
	v_mad_u32_u24 v10, v11, s11, v8
	s_and_saveexec_b64 s[12:13], s[8:9]
	s_xor_b64 s[8:9], exec, s[12:13]
; %bb.111:
	v_mov_b32_e32 v12, 0
	v_mov_b32_e32 v13, v12
	;; [unrolled: 1-line block ×4, first 2 shown]
	ds_write_b128 v10, v[12:15]
                                        ; implicit-def: $vgpr10
; %bb.112:
	s_or_saveexec_b64 s[8:9], s[8:9]
	v_mul_u32_u24_e32 v9, 0x210, v11
	s_xor_b64 exec, exec, s[8:9]
	s_cbranch_execz .LBB54_114
; %bb.113:
	flat_load_dwordx4 v[12:15], v[6:7]
	s_waitcnt vmcnt(0) lgkmcnt(0)
	ds_write2_b64 v10, v[12:13], v[14:15] offset1:1
.LBB54_114:
	s_or_b64 exec, exec, s[8:9]
	v_add_u32_e32 v10, 8, v11
	v_cmp_le_i32_e64 s[8:9], s10, v10
	v_add_u32_e32 v14, v9, v8
	s_and_saveexec_b64 s[12:13], s[8:9]
	s_xor_b64 s[8:9], exec, s[12:13]
; %bb.115:
	v_mov_b32_e32 v18, 0
	v_mov_b32_e32 v19, v18
	v_mov_b32_e32 v20, v18
	v_mov_b32_e32 v21, v18
	ds_write_b128 v14, v[18:21] offset:4224
; %bb.116:
	s_andn2_saveexec_b64 s[8:9], s[8:9]
	s_cbranch_execz .LBB54_118
; %bb.117:
	s_lshl_b32 s12, s24, 3
	s_ashr_i32 s13, s12, 31
	v_lshl_add_u64 v[12:13], s[12:13], 4, v[6:7]
	flat_load_dwordx4 v[18:21], v[12:13]
	s_movk_i32 s11, 0x1080
	v_add3_u32 v12, v9, v8, s11
	s_waitcnt vmcnt(0) lgkmcnt(0)
	ds_write2_b64 v12, v[18:19], v[20:21] offset1:1
.LBB54_118:
	s_or_b64 exec, exec, s[8:9]
	v_add_u32_e32 v12, 16, v11
	v_cmp_le_i32_e64 s[8:9], s10, v12
	s_and_saveexec_b64 s[12:13], s[8:9]
	s_xor_b64 s[8:9], exec, s[12:13]
; %bb.119:
	v_mov_b32_e32 v18, 0
	v_mov_b32_e32 v19, v18
	;; [unrolled: 1-line block ×4, first 2 shown]
	ds_write_b128 v14, v[18:21] offset:8448
; %bb.120:
	s_andn2_saveexec_b64 s[8:9], s[8:9]
	s_cbranch_execz .LBB54_122
; %bb.121:
	s_lshl_b32 s12, s24, 4
	s_ashr_i32 s13, s12, 31
	v_lshl_add_u64 v[18:19], s[12:13], 4, v[6:7]
	flat_load_dwordx4 v[18:21], v[18:19]
	s_movk_i32 s11, 0x2100
	v_add3_u32 v13, v9, v8, s11
	s_waitcnt vmcnt(0) lgkmcnt(0)
	ds_write2_b64 v13, v[18:19], v[20:21] offset1:1
.LBB54_122:
	s_or_b64 exec, exec, s[8:9]
	v_add_u32_e32 v13, 24, v11
	v_cmp_le_i32_e64 s[8:9], s10, v13
	s_and_saveexec_b64 s[10:11], s[8:9]
	s_xor_b64 s[8:9], exec, s[10:11]
; %bb.123:
	v_mov_b32_e32 v18, 0
	v_mov_b32_e32 v19, v18
	;; [unrolled: 1-line block ×4, first 2 shown]
	ds_write_b128 v14, v[18:21] offset:12672
                                        ; implicit-def: $vgpr9
; %bb.124:
	s_andn2_saveexec_b64 s[8:9], s[8:9]
	s_cbranch_execz .LBB54_126
; %bb.125:
	s_mul_i32 s10, s24, 24
	s_ashr_i32 s11, s10, 31
	v_lshl_add_u64 v[14:15], s[10:11], 4, v[6:7]
	flat_load_dwordx4 v[18:21], v[14:15]
	s_movk_i32 s10, 0x3180
	v_add3_u32 v9, v9, v8, s10
	s_waitcnt vmcnt(0) lgkmcnt(0)
	ds_write2_b64 v9, v[18:19], v[20:21] offset1:1
.LBB54_126:
	s_or_b64 exec, exec, s[8:9]
	v_mov_b32_e32 v9, 0
	v_lshl_add_u64 v[6:7], v[6:7], 0, v[8:9]
	s_lshl_b64 s[8:9], s[18:19], 4
	v_mov_b32_e32 v9, s9
	v_subrev_co_u32_e64 v6, s[8:9], s8, v6
	s_nop 1
	v_subb_co_u32_e64 v7, s[8:9], v7, v9, s[8:9]
	v_lshl_add_u64 v[6:7], v[6:7], 0, 16
	v_cndmask_b32_e32 v41, v7, v5, vcc
	v_cndmask_b32_e32 v40, v6, v4, vcc
	s_branch .LBB54_137
.LBB54_127:
	s_andn2_saveexec_b64 s[8:9], s[8:9]
	s_cbranch_execz .LBB54_93
.LBB54_128:
	v_cmp_eq_u32_e32 vcc, v16, v10
	s_mov_b64 s[16:17], s[6:7]
                                        ; implicit-def: $vgpr15
	s_and_saveexec_b64 s[34:35], vcc
; %bb.129:
	v_add_u32_e32 v15, v8, v14
	s_or_b64 s[16:17], s[6:7], exec
; %bb.130:
	s_or_b64 exec, exec, s[34:35]
	s_andn2_b64 s[6:7], s[6:7], exec
	s_and_b64 s[16:17], s[16:17], exec
	v_mov_b64_e32 v[6:7], 0
	s_or_b64 s[6:7], s[6:7], s[16:17]
	s_or_b64 exec, exec, s[8:9]
	s_and_saveexec_b64 s[8:9], s[6:7]
	s_cbranch_execnz .LBB54_94
	s_branch .LBB54_95
.LBB54_131:
	s_or_saveexec_b64 s[8:9], s[8:9]
	v_mov_b64_e32 v[6:7], 0
	s_xor_b64 exec, exec, s[8:9]
	s_cbranch_execz .LBB54_99
.LBB54_132:
	ds_read_b128 v[4:7], v45 offset:528
	v_add_u32_e32 v15, 32, v9
	s_or_b64 s[6:7], s[6:7], exec
	s_waitcnt lgkmcnt(0)
	v_xor_b32_e32 v7, 0x80000000, v7
	ds_write_b64 v9, v[4:5] offset:32
	s_or_b64 exec, exec, s[8:9]
	s_and_saveexec_b64 s[8:9], s[6:7]
	s_cbranch_execnz .LBB54_100
	s_branch .LBB54_101
.LBB54_133:
	s_or_saveexec_b64 s[8:9], s[8:9]
	v_mov_b64_e32 v[6:7], 0
	s_xor_b64 exec, exec, s[8:9]
	s_cbranch_execz .LBB54_105
.LBB54_134:
	ds_read_b128 v[4:7], v45 offset:1056
	v_add_u32_e32 v15, 48, v9
	s_or_b64 s[6:7], s[6:7], exec
	s_waitcnt lgkmcnt(0)
	v_xor_b32_e32 v7, 0x80000000, v7
	ds_write_b64 v9, v[4:5] offset:48
	s_or_b64 exec, exec, s[8:9]
	v_add_u32_e32 v16, 0x4700, v19
	s_and_saveexec_b64 s[8:9], s[6:7]
	s_cbranch_execnz .LBB54_106
	s_branch .LBB54_107
.LBB54_135:
                                        ; implicit-def: $vgpr40_vgpr41
                                        ; implicit-def: $vgpr10
                                        ; implicit-def: $vgpr12
                                        ; implicit-def: $vgpr13
	s_cbranch_execz .LBB54_137
; %bb.136:
	flat_load_dwordx4 v[12:15], v[4:5]
	s_movk_i32 s9, 0x210
	s_lshl_b32 s8, s24, 3
	v_mad_u32_u24 v17, v11, s9, v8
	s_ashr_i32 s9, s8, 31
	v_lshl_add_u64 v[18:19], s[8:9], 4, v[4:5]
	s_ashr_i32 s25, s24, 31
	s_lshl_b64 s[8:9], s[24:25], 7
	v_add_u32_e32 v10, 0x1080, v17
	v_mov_b64_e32 v[40:41], v[4:5]
	s_waitcnt vmcnt(0) lgkmcnt(0)
	ds_write2_b64 v17, v[12:13], v[14:15] offset1:1
	flat_load_dwordx4 v[6:9], v[18:19]
	v_lshl_add_u64 v[12:13], v[18:19], 0, s[8:9]
	v_add_u32_e32 v14, 0x3180, v17
	s_waitcnt vmcnt(0) lgkmcnt(0)
	ds_write2_b64 v10, v[6:7], v[8:9] offset1:1
	flat_load_dwordx4 v[6:9], v[12:13]
	v_add_u32_e32 v10, 0x2100, v17
	v_lshl_add_u64 v[12:13], v[12:13], 0, s[8:9]
	s_waitcnt vmcnt(0) lgkmcnt(0)
	ds_write2_b64 v10, v[6:7], v[8:9] offset1:1
	flat_load_dwordx4 v[6:9], v[12:13]
	v_add_u32_e32 v10, 8, v11
	v_add_u32_e32 v12, 16, v11
	;; [unrolled: 1-line block ×3, first 2 shown]
	s_waitcnt vmcnt(0) lgkmcnt(0)
	ds_write2_b64 v14, v[6:7], v[8:9] offset1:1
.LBB54_137:
	v_lshlrev_b32_e32 v8, 4, v11
	v_add_u32_e32 v4, v43, v8
	v_lshlrev_b32_e32 v14, 4, v10
	s_waitcnt lgkmcnt(0)
	s_barrier
	ds_read_b128 v[4:7], v4
	ds_read_b128 v[22:25], v8 offset:18176
	v_add_u32_e32 v8, v43, v14
	v_lshlrev_b32_e32 v12, 4, v12
	ds_read_b128 v[8:11], v8
	ds_read_b128 v[46:49], v14 offset:18176
	v_add_u32_e32 v17, v43, v12
	ds_read_b128 v[50:53], v17
	ds_read_b128 v[54:57], v12 offset:18176
	v_lshlrev_b32_e32 v12, 4, v13
	v_add_u32_e32 v13, v43, v12
	ds_read_b128 v[58:61], v13
	ds_read_b128 v[62:65], v12 offset:18176
	s_waitcnt lgkmcnt(6)
	v_mul_f64 v[14:15], v[6:7], v[24:25]
	v_fmac_f64_e32 v[14:15], v[4:5], v[22:23]
	s_waitcnt lgkmcnt(4)
	v_mul_f64 v[18:19], v[10:11], v[48:49]
	v_add_f64 v[14:15], v[14:15], 0
	v_fmac_f64_e32 v[18:19], v[8:9], v[46:47]
	s_waitcnt lgkmcnt(2)
	v_mul_f64 v[12:13], v[52:53], v[56:57]
	v_mul_f64 v[6:7], v[6:7], v[22:23]
	v_add_f64 v[14:15], v[14:15], v[18:19]
	v_fmac_f64_e32 v[12:13], v[50:51], v[54:55]
	v_mul_f64 v[10:11], v[10:11], v[46:47]
	v_add_f64 v[12:13], v[14:15], v[12:13]
	s_waitcnt lgkmcnt(0)
	v_mul_f64 v[14:15], v[60:61], v[64:65]
	v_fma_f64 v[34:35], v[4:5], v[24:25], -v[6:7]
	v_fmac_f64_e32 v[14:15], v[58:59], v[62:63]
	v_fma_f64 v[8:9], v[8:9], v[48:49], -v[10:11]
	v_add_f64 v[10:11], v[34:35], 0
	v_add_f64 v[46:47], v[12:13], v[14:15]
	ds_read_b128 v[28:31], v16 offset:512
	ds_read_b128 v[20:23], v16 offset:528
	;; [unrolled: 1-line block ×4, first 2 shown]
	ds_read_b128 v[24:27], v45
	ds_read_b128 v[16:19], v45 offset:528
	v_add_f64 v[48:49], v[10:11], v[8:9]
	ds_read_b128 v[32:35], v32
	ds_read_b128 v[8:11], v45 offset:1056
	v_mul_f64 v[52:53], v[52:53], v[54:55]
	v_mul_f64 v[54:55], v[60:61], v[62:63]
	v_fma_f64 v[50:51], v[50:51], v[56:57], -v[52:53]
	v_add_f64 v[48:49], v[48:49], v[50:51]
	v_fma_f64 v[50:51], v[58:59], v[64:65], -v[54:55]
	v_add_f64 v[48:49], v[48:49], v[50:51]
	s_waitcnt lgkmcnt(0)
	s_barrier
	ds_write_b128 v44, v[46:49]
	s_waitcnt lgkmcnt(0)
	s_barrier
	s_and_saveexec_b64 s[8:9], s[6:7]
	s_cbranch_execz .LBB54_139
; %bb.138:
	ds_read_b128 v[46:49], v43
	ds_read_b128 v[50:53], v43 offset:16
	ds_read_b128 v[54:57], v43 offset:32
	;; [unrolled: 1-line block ×3, first 2 shown]
	s_waitcnt lgkmcnt(3)
	v_add_f64 v[0:1], v[0:1], v[46:47]
	v_add_f64 v[2:3], v[2:3], v[48:49]
	s_waitcnt lgkmcnt(2)
	v_add_f64 v[0:1], v[0:1], v[50:51]
	v_add_f64 v[46:47], v[2:3], v[52:53]
	s_waitcnt lgkmcnt(1)
	v_add_f64 v[48:49], v[0:1], v[54:55]
	ds_read_b128 v[0:3], v43 offset:64
	v_add_f64 v[46:47], v[46:47], v[56:57]
	s_waitcnt lgkmcnt(1)
	v_add_f64 v[50:51], v[48:49], v[58:59]
	v_add_f64 v[54:55], v[46:47], v[60:61]
	ds_read_b128 v[46:49], v43 offset:80
	s_waitcnt lgkmcnt(1)
	v_add_f64 v[56:57], v[50:51], v[0:1]
	ds_read_b128 v[50:53], v43 offset:96
	v_add_f64 v[54:55], v[54:55], v[2:3]
	ds_read_b128 v[0:3], v43 offset:112
	s_waitcnt lgkmcnt(2)
	v_add_f64 v[46:47], v[56:57], v[46:47]
	v_add_f64 v[48:49], v[54:55], v[48:49]
	s_waitcnt lgkmcnt(1)
	v_add_f64 v[46:47], v[46:47], v[50:51]
	v_add_f64 v[48:49], v[48:49], v[52:53]
	;; [unrolled: 3-line block ×3, first 2 shown]
.LBB54_139:
	s_or_b64 exec, exec, s[8:9]
	v_mul_f64 v[46:47], v[30:31], v[34:35]
	v_fma_f64 v[46:47], v[28:29], v[32:33], -v[46:47]
	v_mul_f64 v[28:29], v[28:29], v[34:35]
	v_fmac_f64_e32 v[28:29], v[30:31], v[32:33]
	v_mul_f64 v[32:33], v[22:23], v[26:27]
	v_fma_f64 v[32:33], v[20:21], v[24:25], -v[32:33]
	v_mul_f64 v[20:21], v[20:21], v[26:27]
	v_fmac_f64_e32 v[20:21], v[22:23], v[24:25]
	v_mul_f64 v[24:25], v[14:15], v[18:19]
	v_add_f64 v[30:31], v[46:47], 0
	v_add_f64 v[28:29], v[28:29], 0
	v_fma_f64 v[24:25], v[12:13], v[16:17], -v[24:25]
	v_mul_f64 v[12:13], v[12:13], v[18:19]
	v_add_f64 v[22:23], v[30:31], v[32:33]
	v_add_f64 v[20:21], v[28:29], v[20:21]
	v_fmac_f64_e32 v[12:13], v[14:15], v[16:17]
	v_mul_f64 v[16:17], v[6:7], v[10:11]
	v_mul_f64 v[10:11], v[4:5], v[10:11]
	v_add_f64 v[14:15], v[22:23], v[24:25]
	v_add_f64 v[12:13], v[20:21], v[12:13]
	v_fma_f64 v[16:17], v[4:5], v[8:9], -v[16:17]
	v_fmac_f64_e32 v[10:11], v[6:7], v[8:9]
	v_add_f64 v[4:5], v[14:15], v[16:17]
	v_add_f64 v[6:7], v[12:13], v[10:11]
	s_barrier
	ds_write_b128 v44, v[4:7]
	s_waitcnt lgkmcnt(0)
	s_barrier
	s_and_saveexec_b64 s[6:7], s[4:5]
	s_cbranch_execz .LBB54_141
; %bb.140:
	ds_read_b128 v[4:7], v43
	ds_read_b128 v[8:11], v43 offset:16
	ds_read_b128 v[12:15], v43 offset:32
	ds_read_b128 v[16:19], v43 offset:48
	s_waitcnt lgkmcnt(3)
	v_add_f64 v[0:1], v[0:1], v[4:5]
	v_add_f64 v[2:3], v[2:3], v[6:7]
	s_waitcnt lgkmcnt(2)
	v_add_f64 v[0:1], v[0:1], v[8:9]
	v_add_f64 v[4:5], v[2:3], v[10:11]
	s_waitcnt lgkmcnt(1)
	v_add_f64 v[6:7], v[0:1], v[12:13]
	ds_read_b128 v[0:3], v43 offset:64
	v_add_f64 v[4:5], v[4:5], v[14:15]
	s_waitcnt lgkmcnt(1)
	v_add_f64 v[8:9], v[6:7], v[16:17]
	v_add_f64 v[12:13], v[4:5], v[18:19]
	ds_read_b128 v[4:7], v43 offset:80
	s_waitcnt lgkmcnt(1)
	v_add_f64 v[14:15], v[8:9], v[0:1]
	ds_read_b128 v[8:11], v43 offset:96
	v_add_f64 v[12:13], v[12:13], v[2:3]
	ds_read_b128 v[0:3], v43 offset:112
	s_waitcnt lgkmcnt(2)
	v_add_f64 v[4:5], v[14:15], v[4:5]
	v_add_f64 v[6:7], v[12:13], v[6:7]
	s_waitcnt lgkmcnt(1)
	v_add_f64 v[4:5], v[4:5], v[8:9]
	v_add_f64 v[6:7], v[6:7], v[10:11]
	;; [unrolled: 3-line block ×3, first 2 shown]
.LBB54_141:
	s_or_b64 exec, exec, s[6:7]
	s_load_dwordx2 s[0:1], s[0:1], 0x78
	s_mul_hi_u32 s4, s23, s22
	s_mul_i32 s37, s37, s22
	s_add_i32 s4, s4, s37
	s_mul_i32 s6, s23, s22
	s_mul_i32 s4, s4, s3
	s_mul_hi_u32 s5, s6, s3
	s_add_i32 s5, s5, s4
	s_mul_i32 s4, s6, s3
	s_lshl_b64 s[4:5], s[4:5], 4
	s_waitcnt lgkmcnt(0)
	s_add_u32 s4, s0, s4
	s_addc_u32 s5, s1, s5
	s_mul_hi_i32 s1, s23, s2
	s_mul_i32 s0, s23, s2
	s_lshl_b64 s[0:1], s[0:1], 4
	s_add_u32 s6, s4, s0
	s_addc_u32 s7, s5, s1
	s_add_i32 s4, s2, 1
	s_cmp_ge_u32 s4, s3
	v_lshlrev_b32_e32 v167, 4, v166
	s_barrier
	s_cbranch_scc1 .LBB54_199
; %bb.142:
	s_mul_i32 s0, s36, s26
	v_lshrrev_b32_e32 v6, 4, v42
	v_mov_b32_e32 v8, 0x4300
	s_ashr_i32 s1, s0, 31
	v_lshl_add_u32 v216, v165, 6, v8
	v_lshlrev_b32_e32 v8, 6, v6
	v_mul_i32_i24_e32 v12, 0xffffffd0, v6
	v_and_b32_e32 v6, 48, v166
	s_lshl_b64 s[0:1], s[0:1], 4
	v_and_b32_e32 v7, 15, v166
	s_movk_i32 s5, 0x430
	v_lshlrev_b32_e32 v6, 4, v6
	v_lshlrev_b32_e32 v214, 2, v165
	v_mov_b32_e32 v4, s1
	v_subrev_co_u32_e32 v168, vcc, s0, v38
	s_lshl_b32 s26, s36, 6
	s_lshl_b32 s16, s24, 4
	v_mad_u32_u24 v220, v7, s5, v6
	v_or_b32_e32 v6, 0xf0, v167
	s_ashr_i32 s25, s24, 31
	s_lshl_b32 s22, s24, 1
	s_mul_i32 s28, s24, 3
	s_mul_i32 s36, s36, s4
	v_subb_co_u32_e32 v169, vcc, v39, v4, vcc
	v_mad_u64_u32 v[4:5], s[0:1], s24, v214, v[166:167]
	s_add_i32 s19, s3, -2
	v_mad_u32_u24 v219, v7, s5, v8
	s_ashr_i32 s17, s16, 31
	v_mad_u32_u24 v221, v7, s5, v6
	s_ashr_i32 s23, s22, 31
	s_ashr_i32 s29, s28, 31
	s_lshl_b64 s[12:13], s[24:25], 4
	s_lshl_b32 s8, s36, 6
	v_lshlrev_b64 v[6:7], 4, v[36:37]
	s_lshl_b64 s[34:35], s[24:25], 5
	s_lshl_b64 s[36:37], s[30:31], 4
	v_ashrrev_i32_e32 v5, 31, v4
	v_sub_co_u32_e32 v170, vcc, 0, v6
	s_add_u32 s4, s34, s36
	s_nop 0
	v_subb_co_u32_e32 v171, vcc, 0, v7, vcc
	s_addc_u32 s5, s35, s37
	v_lshlrev_b64 v[6:7], 4, v[4:5]
	v_lshl_add_u64 v[4:5], s[30:31], 0, v[4:5]
	v_lshl_add_u64 v[8:9], s[4:5], 0, v[6:7]
	v_lshlrev_b64 v[4:5], 4, v[4:5]
	v_lshl_add_u64 v[172:173], v[40:41], 0, v[8:9]
	s_mul_i32 s9, s24, 0x300
	v_mad_i64_i32 v[8:9], s[24:25], s16, 48, v[4:5]
	s_lshl_b64 s[10:11], s[16:17], 6
	s_lshl_b64 s[24:25], s[28:29], 4
	s_add_u32 s28, s12, s36
	v_lshl_add_u64 v[10:11], v[8:9], 0, s[24:25]
	s_addc_u32 s29, s13, s37
	v_lshl_add_u64 v[174:175], v[40:41], 0, v[10:11]
	v_lshl_add_u64 v[10:11], s[28:29], 0, v[6:7]
	s_lshl_b64 s[22:23], s[22:23], 4
	v_lshl_add_u64 v[176:177], v[40:41], 0, v[10:11]
	v_lshl_add_u64 v[10:11], v[8:9], 0, s[22:23]
	s_add_u32 s30, s36, s22
	v_lshl_add_u64 v[178:179], v[40:41], 0, v[10:11]
	v_lshl_add_u64 v[10:11], s[36:37], 0, v[6:7]
	s_addc_u32 s31, s37, s23
	v_lshl_add_u64 v[180:181], v[40:41], 0, v[10:11]
	v_lshl_add_u64 v[10:11], s[30:31], 0, v[6:7]
	s_add_u32 s30, s36, s24
	v_lshl_add_u64 v[182:183], v[40:41], 0, v[8:9]
	v_lshl_add_u64 v[8:9], v[8:9], 0, s[12:13]
	s_addc_u32 s31, s37, s25
	v_lshl_add_u64 v[186:187], v[40:41], 0, v[8:9]
	v_lshl_add_u64 v[8:9], s[30:31], 0, v[6:7]
	s_lshl_b64 s[30:31], s[16:17], 4
	s_add_u32 s38, s4, s30
	s_addc_u32 s39, s5, s31
	s_mul_hi_i32 s27, s16, 48
	s_add_u32 s34, s9, s34
	s_addc_u32 s35, s27, s35
	s_lshl_b64 s[16:17], s[16:17], 5
	v_lshl_add_u64 v[4:5], s[34:35], 0, v[4:5]
	s_add_u32 s34, s16, s36
	s_addc_u32 s35, s17, s37
	v_lshl_add_u64 v[188:189], v[40:41], 0, v[8:9]
	v_lshl_add_u64 v[8:9], s[38:39], 0, v[6:7]
	s_add_u32 s38, s34, s24
	s_addc_u32 s39, s35, s25
	s_add_u32 s28, s28, s30
	v_lshl_add_u64 v[192:193], v[40:41], 0, v[4:5]
	v_lshl_add_u64 v[4:5], s[38:39], 0, v[6:7]
	s_addc_u32 s29, s29, s31
	v_lshl_add_u64 v[194:195], v[40:41], 0, v[4:5]
	v_lshl_add_u64 v[4:5], s[28:29], 0, v[6:7]
	s_add_u32 s28, s34, s22
	s_addc_u32 s29, s35, s23
	v_lshl_add_u64 v[196:197], v[40:41], 0, v[4:5]
	v_lshl_add_u64 v[4:5], s[28:29], 0, v[6:7]
	s_add_u32 s28, s36, s30
	s_addc_u32 s29, s37, s31
	s_add_u32 s22, s28, s22
	v_lshl_add_u64 v[198:199], v[40:41], 0, v[4:5]
	v_lshl_add_u64 v[4:5], s[28:29], 0, v[6:7]
	s_addc_u32 s23, s29, s23
	v_lshl_add_u64 v[200:201], v[40:41], 0, v[4:5]
	v_lshl_add_u64 v[4:5], s[34:35], 0, v[6:7]
	s_add_u32 s12, s34, s12
	v_lshl_add_u64 v[202:203], v[40:41], 0, v[4:5]
	v_lshl_add_u64 v[4:5], s[22:23], 0, v[6:7]
	s_addc_u32 s13, s35, s13
	v_lshl_add_u64 v[204:205], v[40:41], 0, v[4:5]
	v_lshl_add_u64 v[4:5], s[12:13], 0, v[6:7]
	s_add_u32 s12, s28, s24
	s_addc_u32 s13, s29, s25
	s_add_u32 s4, s4, s16
	v_lshl_add_u64 v[206:207], v[40:41], 0, v[4:5]
	v_lshl_add_u64 v[4:5], s[12:13], 0, v[6:7]
	s_addc_u32 s5, s5, s17
	s_movk_i32 s0, 0x10c0
	v_lshl_add_u64 v[208:209], v[40:41], 0, v[4:5]
	v_lshl_add_u64 v[4:5], s[4:5], 0, v[6:7]
	v_mov_b32_e32 v238, 0
	v_add_u32_e32 v215, 0x4300, v167
	v_add_u32_e32 v217, 0x4700, v167
	v_mad_u32_u24 v218, v165, s0, v167
	v_cmp_gt_u32_e64 s[0:1], 64, v42
	v_or_b32_e32 v222, 1, v214
	v_or_b32_e32 v223, 2, v214
	;; [unrolled: 1-line block ×3, first 2 shown]
	v_add_u32_e32 v225, 16, v214
	v_add_u32_e32 v226, 17, v214
	;; [unrolled: 1-line block ×4, first 2 shown]
	v_lshl_add_u64 v[184:185], v[40:41], 0, v[10:11]
	v_lshl_add_u64 v[190:191], v[40:41], 0, v[8:9]
	v_lshl_add_u64 v[210:211], v[40:41], 0, v[4:5]
	v_add_u32_e32 v229, 32, v214
	v_add_u32_e32 v230, 33, v214
	;; [unrolled: 1-line block ×3, first 2 shown]
	v_mov_b32_e32 v239, v238
	v_mov_b32_e32 v240, v238
	;; [unrolled: 1-line block ×3, first 2 shown]
	v_add_u32_e32 v232, 34, v214
	v_add_u32_e32 v233, 35, v214
	;; [unrolled: 1-line block ×7, first 2 shown]
	s_cmp_eq_u32 s19, s2
	s_cselect_b32 s24, s33, 0
	s_and_saveexec_b64 s[4:5], s[14:15]
	s_cbranch_execz .LBB54_148
	s_branch .LBB54_144
.LBB54_143:                             ;   in Loop: Header=BB54_148 Depth=1
	s_mov_b32 s2, s4
	s_cmp_eq_u32 s19, s2
	s_cselect_b32 s24, s33, 0
	s_and_saveexec_b64 s[4:5], s[14:15]
	s_cbranch_execz .LBB54_148
.LBB54_144:
	s_cmp_lg_u32 s24, 0
	s_cselect_b64 s[12:13], -1, 0
	v_cmp_le_i32_e32 vcc, s24, v166
	s_and_b64 s[12:13], s[12:13], vcc
	s_and_saveexec_b64 s[16:17], s[12:13]
	s_xor_b64 s[12:13], exec, s[16:17]
; %bb.145:
	ds_write_b128 v215, v[238:241]
; %bb.146:
	s_andn2_saveexec_b64 s[12:13], s[12:13]
	s_cbranch_execz .LBB54_148
; %bb.147:
	s_ashr_i32 s9, s8, 31
	v_lshl_add_u64 v[4:5], s[8:9], 4, v[168:169]
	flat_load_dwordx4 v[4:7], v[4:5]
	s_waitcnt vmcnt(0) lgkmcnt(0)
	ds_write2_b64 v215, v[4:5], v[6:7] offset1:1
.LBB54_148:                             ; =>This Inner Loop Header: Depth=1
	s_or_b64 exec, exec, s[4:5]
	s_cmp_eq_u32 s24, 0
	s_cselect_b64 s[12:13], -1, 0
	s_cmp_lg_u32 s24, 0
	s_cselect_b64 s[16:17], -1, 0
	v_lshl_add_u64 v[16:17], v[180:181], 0, v[170:171]
	s_and_b64 vcc, exec, s[16:17]
	s_waitcnt lgkmcnt(0)
	s_barrier
	s_cbranch_vccz .LBB54_156
; %bb.149:                              ;   in Loop: Header=BB54_148 Depth=1
	v_cmp_gt_i32_e32 vcc, s24, v214
	v_mov_b64_e32 v[8:9], 0
	v_mov_b64_e32 v[4:5], 0
	;; [unrolled: 1-line block ×3, first 2 shown]
	s_and_saveexec_b64 s[4:5], vcc
	s_cbranch_execz .LBB54_151
; %bb.150:                              ;   in Loop: Header=BB54_148 Depth=1
	flat_load_dwordx4 v[4:7], v[16:17]
.LBB54_151:                             ;   in Loop: Header=BB54_148 Depth=1
	s_or_b64 exec, exec, s[4:5]
	v_cmp_gt_i32_e32 vcc, s24, v222
	v_mov_b64_e32 v[10:11], 0
	s_and_saveexec_b64 s[4:5], vcc
	s_cbranch_execz .LBB54_153
; %bb.152:                              ;   in Loop: Header=BB54_148 Depth=1
	v_lshl_add_u64 v[8:9], v[176:177], 0, v[170:171]
	flat_load_dwordx4 v[8:11], v[8:9]
.LBB54_153:                             ;   in Loop: Header=BB54_148 Depth=1
	s_or_b64 exec, exec, s[4:5]
	v_cmp_gt_i32_e32 vcc, s24, v223
	v_mov_b64_e32 v[12:13], 0
	v_mov_b64_e32 v[14:15], 0
	s_and_saveexec_b64 s[4:5], vcc
	s_cbranch_execz .LBB54_155
; %bb.154:                              ;   in Loop: Header=BB54_148 Depth=1
	v_lshl_add_u64 v[12:13], v[184:185], 0, v[170:171]
	flat_load_dwordx4 v[12:15], v[12:13]
.LBB54_155:                             ;   in Loop: Header=BB54_148 Depth=1
	s_or_b64 exec, exec, s[4:5]
	v_cmp_gt_i32_e64 s[4:5], s24, v224
	s_branch .LBB54_158
.LBB54_156:                             ;   in Loop: Header=BB54_148 Depth=1
	s_mov_b64 s[4:5], 0
                                        ; implicit-def: $vgpr14_vgpr15
                                        ; implicit-def: $vgpr10_vgpr11
                                        ; implicit-def: $vgpr6_vgpr7
	s_cbranch_execz .LBB54_158
; %bb.157:                              ;   in Loop: Header=BB54_148 Depth=1
	s_waitcnt vmcnt(0) lgkmcnt(0)
	v_lshl_add_u64 v[8:9], v[176:177], 0, v[170:171]
	v_lshl_add_u64 v[12:13], v[172:173], 0, v[170:171]
	flat_load_dwordx4 v[4:7], v[16:17]
	s_or_b64 s[4:5], s[4:5], exec
	flat_load_dwordx4 v[8:11], v[8:9]
	s_nop 0
	flat_load_dwordx4 v[12:15], v[12:13]
.LBB54_158:                             ;   in Loop: Header=BB54_148 Depth=1
	v_mov_b64_e32 v[16:17], 0
	v_mov_b64_e32 v[18:19], 0
	s_and_saveexec_b64 s[22:23], s[4:5]
	s_cbranch_execz .LBB54_160
; %bb.159:                              ;   in Loop: Header=BB54_148 Depth=1
	v_lshl_add_u64 v[16:17], v[188:189], 0, v[170:171]
	flat_load_dwordx4 v[16:19], v[16:17]
.LBB54_160:                             ;   in Loop: Header=BB54_148 Depth=1
	s_or_b64 exec, exec, s[22:23]
	ds_read_b128 v[36:39], v217
	ds_read_b128 v[32:35], v216
	ds_read_b128 v[28:31], v216 offset:16
	ds_read_b128 v[24:27], v216 offset:32
	;; [unrolled: 1-line block ×3, first 2 shown]
	s_waitcnt vmcnt(0) lgkmcnt(0)
	v_mul_f64 v[40:41], v[6:7], v[38:39]
	v_mul_f64 v[42:43], v[6:7], v[36:37]
	v_fmac_f64_e32 v[40:41], v[4:5], v[36:37]
	v_fma_f64 v[42:43], v[4:5], v[38:39], -v[42:43]
	ds_write_b128 v218, v[40:43]
	v_mul_f64 v[40:41], v[10:11], v[38:39]
	v_mul_f64 v[42:43], v[10:11], v[36:37]
	v_fmac_f64_e32 v[40:41], v[8:9], v[36:37]
	v_fma_f64 v[42:43], v[8:9], v[38:39], -v[42:43]
	ds_write_b128 v218, v[40:43] offset:1072
	v_mul_f64 v[40:41], v[14:15], v[38:39]
	v_mul_f64 v[42:43], v[14:15], v[36:37]
	v_fmac_f64_e32 v[40:41], v[12:13], v[36:37]
	v_fma_f64 v[42:43], v[12:13], v[38:39], -v[42:43]
	ds_write_b128 v218, v[40:43] offset:2144
	v_mul_f64 v[40:41], v[18:19], v[38:39]
	v_fmac_f64_e32 v[40:41], v[16:17], v[36:37]
	v_mul_f64 v[36:37], v[18:19], v[36:37]
	v_fma_f64 v[42:43], v[16:17], v[38:39], -v[36:37]
	ds_write_b128 v218, v[40:43] offset:3216
	s_waitcnt lgkmcnt(0)
	s_barrier
	ds_read_b128 v[92:95], v219
	ds_read_b128 v[88:91], v219 offset:16
	ds_read_b128 v[84:87], v219 offset:32
	ds_read_b128 v[80:83], v219 offset:48
	v_cndmask_b32_e64 v36, 0, 1, s[16:17]
	v_cmp_ne_u32_e64 s[4:5], 1, v36
	s_andn2_b64 vcc, exec, s[16:17]
	v_lshl_add_u64 v[48:49], v[200:201], 0, v[170:171]
	s_waitcnt lgkmcnt(0)
	s_barrier
	s_cbranch_vccnz .LBB54_168
; %bb.161:                              ;   in Loop: Header=BB54_148 Depth=1
	v_cmp_gt_i32_e32 vcc, s24, v225
	v_mov_b64_e32 v[40:41], 0
	v_mov_b64_e32 v[36:37], 0
	;; [unrolled: 1-line block ×3, first 2 shown]
	s_and_saveexec_b64 s[16:17], vcc
	s_cbranch_execz .LBB54_163
; %bb.162:                              ;   in Loop: Header=BB54_148 Depth=1
	flat_load_dwordx4 v[36:39], v[48:49]
.LBB54_163:                             ;   in Loop: Header=BB54_148 Depth=1
	s_or_b64 exec, exec, s[16:17]
	v_cmp_gt_i32_e32 vcc, s24, v226
	v_mov_b64_e32 v[42:43], 0
	s_and_saveexec_b64 s[16:17], vcc
	s_cbranch_execz .LBB54_165
; %bb.164:                              ;   in Loop: Header=BB54_148 Depth=1
	v_lshl_add_u64 v[40:41], v[196:197], 0, v[170:171]
	flat_load_dwordx4 v[40:43], v[40:41]
.LBB54_165:                             ;   in Loop: Header=BB54_148 Depth=1
	s_or_b64 exec, exec, s[16:17]
	v_cmp_gt_i32_e32 vcc, s24, v227
	v_mov_b64_e32 v[44:45], 0
	v_mov_b64_e32 v[46:47], 0
	s_and_saveexec_b64 s[16:17], vcc
	s_cbranch_execz .LBB54_167
; %bb.166:                              ;   in Loop: Header=BB54_148 Depth=1
	v_lshl_add_u64 v[44:45], v[204:205], 0, v[170:171]
	flat_load_dwordx4 v[44:47], v[44:45]
.LBB54_167:                             ;   in Loop: Header=BB54_148 Depth=1
	s_or_b64 exec, exec, s[16:17]
	v_cmp_gt_i32_e64 s[16:17], s24, v228
	s_branch .LBB54_170
.LBB54_168:                             ;   in Loop: Header=BB54_148 Depth=1
	s_mov_b64 s[16:17], 0
                                        ; implicit-def: $vgpr46_vgpr47
                                        ; implicit-def: $vgpr42_vgpr43
                                        ; implicit-def: $vgpr38_vgpr39
	s_cbranch_execz .LBB54_170
; %bb.169:                              ;   in Loop: Header=BB54_148 Depth=1
	s_waitcnt vmcnt(0) lgkmcnt(0)
	v_lshl_add_u64 v[40:41], v[196:197], 0, v[170:171]
	v_lshl_add_u64 v[44:45], v[190:191], 0, v[170:171]
	flat_load_dwordx4 v[36:39], v[48:49]
	s_or_b64 s[16:17], s[16:17], exec
	flat_load_dwordx4 v[40:43], v[40:41]
	s_nop 0
	flat_load_dwordx4 v[44:47], v[44:45]
.LBB54_170:                             ;   in Loop: Header=BB54_148 Depth=1
	v_mov_b64_e32 v[48:49], 0
	v_mov_b64_e32 v[50:51], 0
	s_and_saveexec_b64 s[22:23], s[16:17]
	s_cbranch_execz .LBB54_172
; %bb.171:                              ;   in Loop: Header=BB54_148 Depth=1
	v_lshl_add_u64 v[48:49], v[208:209], 0, v[170:171]
	flat_load_dwordx4 v[48:51], v[48:49]
.LBB54_172:                             ;   in Loop: Header=BB54_148 Depth=1
	s_or_b64 exec, exec, s[22:23]
	ds_read_b128 v[68:71], v217
	ds_read_b128 v[64:67], v216 offset:256
	ds_read_b128 v[60:63], v216 offset:272
	;; [unrolled: 1-line block ×4, first 2 shown]
	s_waitcnt vmcnt(0) lgkmcnt(0)
	v_mul_f64 v[72:73], v[38:39], v[70:71]
	v_mul_f64 v[74:75], v[38:39], v[68:69]
	v_fmac_f64_e32 v[72:73], v[36:37], v[68:69]
	v_fma_f64 v[74:75], v[36:37], v[70:71], -v[74:75]
	ds_write_b128 v218, v[72:75]
	v_mul_f64 v[72:73], v[42:43], v[70:71]
	v_mul_f64 v[74:75], v[42:43], v[68:69]
	v_fmac_f64_e32 v[72:73], v[40:41], v[68:69]
	v_fma_f64 v[74:75], v[40:41], v[70:71], -v[74:75]
	ds_write_b128 v218, v[72:75] offset:1072
	v_mul_f64 v[72:73], v[46:47], v[70:71]
	v_mul_f64 v[74:75], v[46:47], v[68:69]
	v_fmac_f64_e32 v[72:73], v[44:45], v[68:69]
	v_fma_f64 v[74:75], v[44:45], v[70:71], -v[74:75]
	ds_write_b128 v218, v[72:75] offset:2144
	v_mul_f64 v[72:73], v[50:51], v[70:71]
	v_fmac_f64_e32 v[72:73], v[48:49], v[68:69]
	v_mul_f64 v[68:69], v[50:51], v[68:69]
	v_fma_f64 v[74:75], v[48:49], v[70:71], -v[68:69]
	ds_write_b128 v218, v[72:75] offset:3216
	s_waitcnt lgkmcnt(0)
	s_barrier
	ds_read_b128 v[144:147], v219
	ds_read_b128 v[140:143], v219 offset:16
	ds_read_b128 v[136:139], v219 offset:32
	;; [unrolled: 1-line block ×3, first 2 shown]
	s_and_b64 vcc, exec, s[4:5]
	v_lshl_add_u64 v[96:97], v[202:203], 0, v[170:171]
	s_waitcnt lgkmcnt(0)
	s_barrier
	s_cbranch_vccnz .LBB54_180
; %bb.173:                              ;   in Loop: Header=BB54_148 Depth=1
	v_cmp_gt_i32_e32 vcc, s24, v229
	v_mov_b64_e32 v[72:73], 0
	v_mov_b64_e32 v[68:69], 0
	;; [unrolled: 1-line block ×3, first 2 shown]
	s_and_saveexec_b64 s[16:17], vcc
	s_cbranch_execz .LBB54_175
; %bb.174:                              ;   in Loop: Header=BB54_148 Depth=1
	flat_load_dwordx4 v[68:71], v[96:97]
.LBB54_175:                             ;   in Loop: Header=BB54_148 Depth=1
	s_or_b64 exec, exec, s[16:17]
	v_cmp_gt_i32_e32 vcc, s24, v230
	v_mov_b64_e32 v[74:75], 0
	s_and_saveexec_b64 s[16:17], vcc
	s_cbranch_execz .LBB54_177
; %bb.176:                              ;   in Loop: Header=BB54_148 Depth=1
	v_lshl_add_u64 v[72:73], v[206:207], 0, v[170:171]
	flat_load_dwordx4 v[72:75], v[72:73]
.LBB54_177:                             ;   in Loop: Header=BB54_148 Depth=1
	s_or_b64 exec, exec, s[16:17]
	v_cmp_gt_i32_e32 vcc, s24, v232
	v_mov_b64_e32 v[76:77], 0
	v_mov_b64_e32 v[78:79], 0
	s_and_saveexec_b64 s[16:17], vcc
	s_cbranch_execz .LBB54_179
; %bb.178:                              ;   in Loop: Header=BB54_148 Depth=1
	v_lshl_add_u64 v[76:77], v[198:199], 0, v[170:171]
	flat_load_dwordx4 v[76:79], v[76:77]
.LBB54_179:                             ;   in Loop: Header=BB54_148 Depth=1
	s_or_b64 exec, exec, s[16:17]
	v_cmp_gt_i32_e64 s[16:17], s24, v233
	s_branch .LBB54_182
.LBB54_180:                             ;   in Loop: Header=BB54_148 Depth=1
	s_mov_b64 s[16:17], 0
                                        ; implicit-def: $vgpr78_vgpr79
                                        ; implicit-def: $vgpr74_vgpr75
                                        ; implicit-def: $vgpr70_vgpr71
	s_cbranch_execz .LBB54_182
; %bb.181:                              ;   in Loop: Header=BB54_148 Depth=1
	s_waitcnt vmcnt(0) lgkmcnt(0)
	v_lshl_add_u64 v[72:73], v[206:207], 0, v[170:171]
	v_lshl_add_u64 v[76:77], v[210:211], 0, v[170:171]
	flat_load_dwordx4 v[68:71], v[96:97]
	s_or_b64 s[16:17], s[16:17], exec
	flat_load_dwordx4 v[72:75], v[72:73]
	s_nop 0
	flat_load_dwordx4 v[76:79], v[76:77]
.LBB54_182:                             ;   in Loop: Header=BB54_148 Depth=1
	v_mov_b64_e32 v[96:97], 0
	v_mov_b64_e32 v[98:99], 0
	s_and_saveexec_b64 s[22:23], s[16:17]
	s_cbranch_execz .LBB54_184
; %bb.183:                              ;   in Loop: Header=BB54_148 Depth=1
	v_lshl_add_u64 v[96:97], v[194:195], 0, v[170:171]
	flat_load_dwordx4 v[96:99], v[96:97]
.LBB54_184:                             ;   in Loop: Header=BB54_148 Depth=1
	s_or_b64 exec, exec, s[22:23]
	ds_read_b128 v[116:119], v217
	ds_read_b128 v[112:115], v216 offset:512
	ds_read_b128 v[108:111], v216 offset:528
	;; [unrolled: 1-line block ×4, first 2 shown]
	s_waitcnt vmcnt(0) lgkmcnt(0)
	v_mul_f64 v[120:121], v[70:71], v[118:119]
	v_mul_f64 v[122:123], v[70:71], v[116:117]
	v_fmac_f64_e32 v[120:121], v[68:69], v[116:117]
	v_fma_f64 v[122:123], v[68:69], v[118:119], -v[122:123]
	ds_write_b128 v218, v[120:123]
	v_mul_f64 v[120:121], v[74:75], v[118:119]
	v_mul_f64 v[122:123], v[74:75], v[116:117]
	v_fmac_f64_e32 v[120:121], v[72:73], v[116:117]
	v_fma_f64 v[122:123], v[72:73], v[118:119], -v[122:123]
	ds_write_b128 v218, v[120:123] offset:1072
	v_mul_f64 v[120:121], v[78:79], v[118:119]
	v_mul_f64 v[122:123], v[78:79], v[116:117]
	v_fmac_f64_e32 v[120:121], v[76:77], v[116:117]
	v_fma_f64 v[122:123], v[76:77], v[118:119], -v[122:123]
	ds_write_b128 v218, v[120:123] offset:2144
	v_mul_f64 v[120:121], v[98:99], v[118:119]
	v_fmac_f64_e32 v[120:121], v[96:97], v[116:117]
	v_mul_f64 v[116:117], v[98:99], v[116:117]
	v_fma_f64 v[122:123], v[96:97], v[118:119], -v[116:117]
	ds_write_b128 v218, v[120:123] offset:3216
	s_waitcnt lgkmcnt(0)
	s_barrier
	ds_read_b128 v[160:163], v219
	ds_read_b128 v[156:159], v219 offset:16
	ds_read_b128 v[152:155], v219 offset:32
	;; [unrolled: 1-line block ×3, first 2 shown]
	s_and_b64 vcc, exec, s[4:5]
	v_lshl_add_u64 v[128:129], v[182:183], 0, v[170:171]
	s_waitcnt lgkmcnt(0)
	s_barrier
	s_cbranch_vccnz .LBB54_192
; %bb.185:                              ;   in Loop: Header=BB54_148 Depth=1
	v_cmp_gt_i32_e32 vcc, s24, v234
	v_mov_b64_e32 v[120:121], 0
	v_mov_b64_e32 v[116:117], 0
	;; [unrolled: 1-line block ×3, first 2 shown]
	s_and_saveexec_b64 s[4:5], vcc
	s_cbranch_execz .LBB54_187
; %bb.186:                              ;   in Loop: Header=BB54_148 Depth=1
	flat_load_dwordx4 v[116:119], v[128:129]
.LBB54_187:                             ;   in Loop: Header=BB54_148 Depth=1
	s_or_b64 exec, exec, s[4:5]
	v_cmp_gt_i32_e32 vcc, s24, v235
	v_mov_b64_e32 v[122:123], 0
	s_and_saveexec_b64 s[4:5], vcc
	s_cbranch_execz .LBB54_189
; %bb.188:                              ;   in Loop: Header=BB54_148 Depth=1
	v_lshl_add_u64 v[120:121], v[186:187], 0, v[170:171]
	flat_load_dwordx4 v[120:123], v[120:121]
.LBB54_189:                             ;   in Loop: Header=BB54_148 Depth=1
	s_or_b64 exec, exec, s[4:5]
	v_cmp_gt_i32_e32 vcc, s24, v236
	v_mov_b64_e32 v[124:125], 0
	v_mov_b64_e32 v[126:127], 0
	s_and_saveexec_b64 s[4:5], vcc
	s_cbranch_execz .LBB54_191
; %bb.190:                              ;   in Loop: Header=BB54_148 Depth=1
	v_lshl_add_u64 v[124:125], v[178:179], 0, v[170:171]
	flat_load_dwordx4 v[124:127], v[124:125]
.LBB54_191:                             ;   in Loop: Header=BB54_148 Depth=1
	s_or_b64 exec, exec, s[4:5]
	v_cmp_gt_i32_e64 s[4:5], s24, v237
	s_branch .LBB54_194
.LBB54_192:                             ;   in Loop: Header=BB54_148 Depth=1
	s_mov_b64 s[4:5], 0
                                        ; implicit-def: $vgpr126_vgpr127
                                        ; implicit-def: $vgpr122_vgpr123
                                        ; implicit-def: $vgpr118_vgpr119
	s_cbranch_execz .LBB54_194
; %bb.193:                              ;   in Loop: Header=BB54_148 Depth=1
	s_waitcnt vmcnt(0) lgkmcnt(0)
	v_lshl_add_u64 v[120:121], v[186:187], 0, v[170:171]
	v_lshl_add_u64 v[124:125], v[192:193], 0, v[170:171]
	flat_load_dwordx4 v[116:119], v[128:129]
	s_or_b64 s[4:5], s[4:5], exec
	flat_load_dwordx4 v[120:123], v[120:121]
	s_nop 0
	flat_load_dwordx4 v[124:127], v[124:125]
.LBB54_194:                             ;   in Loop: Header=BB54_148 Depth=1
	v_mov_b64_e32 v[128:129], 0
	v_mov_b64_e32 v[130:131], 0
	s_and_saveexec_b64 s[16:17], s[4:5]
	s_cbranch_execz .LBB54_196
; %bb.195:                              ;   in Loop: Header=BB54_148 Depth=1
	v_lshl_add_u64 v[128:129], v[174:175], 0, v[170:171]
	flat_load_dwordx4 v[128:131], v[128:129]
.LBB54_196:                             ;   in Loop: Header=BB54_148 Depth=1
	s_or_b64 exec, exec, s[16:17]
	v_add_f64 v[160:161], v[160:161], 0
	v_add_f64 v[144:145], v[144:145], 0
	;; [unrolled: 1-line block ×19, first 2 shown]
	ds_read_b128 v[140:143], v217
	ds_read_b128 v[132:135], v216 offset:768
	ds_read_b128 v[92:95], v216 offset:784
	;; [unrolled: 1-line block ×4, first 2 shown]
	s_waitcnt vmcnt(0) lgkmcnt(0)
	v_mul_f64 v[144:145], v[118:119], v[142:143]
	v_mul_f64 v[146:147], v[118:119], v[140:141]
	v_fmac_f64_e32 v[144:145], v[116:117], v[140:141]
	v_fma_f64 v[146:147], v[116:117], v[142:143], -v[146:147]
	ds_write_b128 v218, v[144:147]
	v_mul_f64 v[144:145], v[122:123], v[142:143]
	v_mul_f64 v[146:147], v[122:123], v[140:141]
	v_fmac_f64_e32 v[144:145], v[120:121], v[140:141]
	v_fma_f64 v[146:147], v[120:121], v[142:143], -v[146:147]
	ds_write_b128 v218, v[144:147] offset:1072
	v_mul_f64 v[144:145], v[126:127], v[142:143]
	v_mul_f64 v[146:147], v[126:127], v[140:141]
	v_fmac_f64_e32 v[144:145], v[124:125], v[140:141]
	v_fma_f64 v[146:147], v[124:125], v[142:143], -v[146:147]
	ds_write_b128 v218, v[144:147] offset:2144
	v_mul_f64 v[144:145], v[130:131], v[142:143]
	v_fmac_f64_e32 v[144:145], v[128:129], v[140:141]
	v_mul_f64 v[140:141], v[130:131], v[140:141]
	v_fma_f64 v[146:147], v[128:129], v[142:143], -v[140:141]
	v_add_f64 v[162:163], v[162:163], 0
	ds_write_b128 v218, v[144:147] offset:3216
	s_waitcnt lgkmcnt(0)
	s_barrier
	ds_read_b128 v[140:143], v219
	v_add_f64 v[158:159], v[162:163], v[158:159]
	v_add_f64 v[154:155], v[158:159], v[154:155]
	;; [unrolled: 1-line block ×4, first 2 shown]
	ds_read_b128 v[144:147], v219 offset:16
	ds_read_b128 v[152:155], v219 offset:32
	;; [unrolled: 1-line block ×3, first 2 shown]
	s_waitcnt lgkmcnt(3)
	v_add_f64 v[140:141], v[140:141], 0
	v_add_f64 v[142:143], v[142:143], 0
	v_cmp_gt_i32_e32 vcc, s24, v166
	s_waitcnt lgkmcnt(2)
	v_add_f64 v[140:141], v[140:141], v[144:145]
	v_add_f64 v[142:143], v[142:143], v[146:147]
	s_or_b64 s[4:5], s[12:13], vcc
	s_waitcnt lgkmcnt(1)
	v_add_f64 v[140:141], v[140:141], v[152:153]
	v_add_f64 v[142:143], v[142:143], v[154:155]
	s_and_b64 s[12:13], s[0:1], s[4:5]
	s_waitcnt lgkmcnt(0)
	v_add_f64 v[140:141], v[140:141], v[156:157]
	v_add_f64 v[142:143], v[142:143], v[158:159]
	s_barrier
	ds_write_b128 v231, v[80:83]
	ds_write_b128 v231, v[136:139] offset:256
	ds_write_b128 v231, v[148:151] offset:512
	;; [unrolled: 1-line block ×3, first 2 shown]
	s_waitcnt lgkmcnt(0)
	s_barrier
	s_and_saveexec_b64 s[4:5], s[12:13]
	s_cbranch_execz .LBB54_198
; %bb.197:                              ;   in Loop: Header=BB54_148 Depth=1
	ds_read_b128 v[80:83], v220
	ds_read_b128 v[136:139], v220 offset:16
	ds_read_b128 v[140:143], v220 offset:32
	;; [unrolled: 1-line block ×3, first 2 shown]
	v_ashrrev_i32_e32 v213, 31, v212
	s_waitcnt lgkmcnt(2)
	v_add_f64 v[80:81], v[136:137], v[80:81]
	v_add_f64 v[136:137], v[138:139], v[82:83]
	s_waitcnt lgkmcnt(1)
	v_add_f64 v[138:139], v[80:81], v[140:141]
	ds_read_b128 v[80:83], v220 offset:64
	v_add_f64 v[140:141], v[136:137], v[142:143]
	s_waitcnt lgkmcnt(1)
	v_add_f64 v[142:143], v[138:139], v[144:145]
	ds_read_b128 v[136:139], v220 offset:80
	;; [unrolled: 4-line block ×9, first 2 shown]
	v_add_f64 v[82:83], v[144:145], v[82:83]
	s_waitcnt lgkmcnt(1)
	v_add_f64 v[136:137], v[80:81], v[136:137]
	v_add_f64 v[144:145], v[82:83], v[138:139]
	ds_read_b128 v[80:83], v220 offset:208
	s_waitcnt lgkmcnt(1)
	v_add_f64 v[146:147], v[136:137], v[140:141]
	ds_read_b128 v[136:139], v220 offset:224
	v_add_f64 v[144:145], v[144:145], v[142:143]
	ds_read_b128 v[140:143], v221
	s_waitcnt lgkmcnt(2)
	v_add_f64 v[80:81], v[146:147], v[80:81]
	v_add_f64 v[82:83], v[144:145], v[82:83]
	s_waitcnt lgkmcnt(1)
	v_add_f64 v[80:81], v[80:81], v[136:137]
	v_add_f64 v[82:83], v[82:83], v[138:139]
	;; [unrolled: 3-line block ×3, first 2 shown]
	v_lshl_add_u64 v[136:137], v[212:213], 4, s[6:7]
	global_store_dwordx4 v[136:137], v[80:83], off
.LBB54_198:                             ;   in Loop: Header=BB54_148 Depth=1
	s_or_b64 exec, exec, s[4:5]
	s_nop 0
	v_mul_f64 v[80:81], v[6:7], v[34:35]
	v_fma_f64 v[80:81], v[4:5], v[32:33], -v[80:81]
	v_mul_f64 v[4:5], v[4:5], v[34:35]
	v_mul_f64 v[34:35], v[10:11], v[30:31]
	v_add_f64 v[0:1], v[0:1], v[80:81]
	v_fma_f64 v[34:35], v[8:9], v[28:29], -v[34:35]
	v_mul_f64 v[8:9], v[8:9], v[30:31]
	v_mul_f64 v[30:31], v[14:15], v[26:27]
	v_add_f64 v[0:1], v[0:1], v[34:35]
	v_fma_f64 v[30:31], v[12:13], v[24:25], -v[30:31]
	v_mul_f64 v[12:13], v[12:13], v[26:27]
	v_mul_f64 v[26:27], v[18:19], v[22:23]
	v_fmac_f64_e32 v[4:5], v[6:7], v[32:33]
	v_add_f64 v[0:1], v[0:1], v[30:31]
	v_fma_f64 v[26:27], v[16:17], v[20:21], -v[26:27]
	v_add_f64 v[2:3], v[2:3], v[4:5]
	v_mul_f64 v[4:5], v[38:39], v[66:67]
	v_add_f64 v[0:1], v[0:1], v[26:27]
	v_fma_f64 v[4:5], v[36:37], v[64:65], -v[4:5]
	v_add_f64 v[0:1], v[0:1], v[4:5]
	v_mul_f64 v[4:5], v[42:43], v[62:63]
	v_fma_f64 v[4:5], v[40:41], v[60:61], -v[4:5]
	v_add_f64 v[0:1], v[0:1], v[4:5]
	v_mul_f64 v[4:5], v[46:47], v[58:59]
	;; [unrolled: 3-line block ×4, first 2 shown]
	v_fmac_f64_e32 v[8:9], v[10:11], v[28:29]
	v_fma_f64 v[4:5], v[68:69], v[112:113], -v[4:5]
	v_mul_f64 v[16:17], v[16:17], v[22:23]
	v_add_f64 v[2:3], v[2:3], v[8:9]
	v_fmac_f64_e32 v[12:13], v[14:15], v[24:25]
	v_add_f64 v[0:1], v[0:1], v[4:5]
	v_mul_f64 v[4:5], v[74:75], v[110:111]
	v_add_f64 v[2:3], v[2:3], v[12:13]
	v_fmac_f64_e32 v[16:17], v[18:19], v[20:21]
	v_mul_f64 v[6:7], v[36:37], v[66:67]
	v_fma_f64 v[4:5], v[72:73], v[108:109], -v[4:5]
	v_add_f64 v[2:3], v[2:3], v[16:17]
	v_mul_f64 v[8:9], v[40:41], v[62:63]
	v_fmac_f64_e32 v[6:7], v[38:39], v[64:65]
	v_add_f64 v[0:1], v[0:1], v[4:5]
	v_mul_f64 v[4:5], v[78:79], v[106:107]
	v_mul_f64 v[10:11], v[44:45], v[58:59]
	v_add_f64 v[2:3], v[2:3], v[6:7]
	v_fmac_f64_e32 v[8:9], v[42:43], v[60:61]
	v_fma_f64 v[4:5], v[76:77], v[104:105], -v[4:5]
	v_mul_f64 v[12:13], v[48:49], v[54:55]
	v_add_f64 v[2:3], v[2:3], v[8:9]
	v_fmac_f64_e32 v[10:11], v[46:47], v[56:57]
	v_add_f64 v[0:1], v[0:1], v[4:5]
	v_mul_f64 v[4:5], v[98:99], v[102:103]
	v_add_f64 v[2:3], v[2:3], v[10:11]
	v_fmac_f64_e32 v[12:13], v[50:51], v[52:53]
	v_mul_f64 v[6:7], v[68:69], v[114:115]
	v_fma_f64 v[4:5], v[96:97], v[100:101], -v[4:5]
	v_add_f64 v[2:3], v[2:3], v[12:13]
	v_mul_f64 v[8:9], v[72:73], v[110:111]
	v_add_f64 v[0:1], v[0:1], v[4:5]
	v_fmac_f64_e32 v[6:7], v[70:71], v[112:113]
	v_mul_f64 v[4:5], v[118:119], v[134:135]
	v_mul_f64 v[10:11], v[76:77], v[106:107]
	v_add_f64 v[2:3], v[2:3], v[6:7]
	v_fmac_f64_e32 v[8:9], v[74:75], v[108:109]
	v_fma_f64 v[4:5], v[116:117], v[132:133], -v[4:5]
	v_mul_f64 v[12:13], v[96:97], v[102:103]
	v_add_f64 v[2:3], v[2:3], v[8:9]
	v_fmac_f64_e32 v[10:11], v[78:79], v[104:105]
	v_add_f64 v[0:1], v[0:1], v[4:5]
	v_mul_f64 v[4:5], v[122:123], v[94:95]
	v_add_f64 v[2:3], v[2:3], v[10:11]
	v_fmac_f64_e32 v[12:13], v[98:99], v[100:101]
	v_mul_f64 v[6:7], v[116:117], v[134:135]
	v_fma_f64 v[4:5], v[120:121], v[92:93], -v[4:5]
	v_add_f64 v[2:3], v[2:3], v[12:13]
	v_mul_f64 v[8:9], v[120:121], v[94:95]
	v_add_f64 v[0:1], v[0:1], v[4:5]
	v_mul_f64 v[4:5], v[126:127], v[90:91]
	v_fmac_f64_e32 v[6:7], v[118:119], v[132:133]
	v_fma_f64 v[4:5], v[124:125], v[88:89], -v[4:5]
	v_mul_f64 v[10:11], v[124:125], v[90:91]
	v_fmac_f64_e32 v[8:9], v[122:123], v[92:93]
	v_add_f64 v[2:3], v[2:3], v[6:7]
	v_add_f64 v[0:1], v[0:1], v[4:5]
	v_mul_f64 v[4:5], v[130:131], v[86:87]
	v_mul_f64 v[12:13], v[128:129], v[86:87]
	v_fmac_f64_e32 v[10:11], v[126:127], v[88:89]
	v_add_f64 v[2:3], v[2:3], v[8:9]
	v_fma_f64 v[4:5], v[128:129], v[84:85], -v[4:5]
	v_fmac_f64_e32 v[12:13], v[130:131], v[84:85]
	v_add_f64 v[2:3], v[2:3], v[10:11]
	s_add_i32 s4, s2, 1
	s_add_i32 s8, s8, s26
	;; [unrolled: 1-line block ×3, first 2 shown]
	v_add_f64 v[0:1], v[0:1], v[4:5]
	v_add_f64 v[2:3], v[2:3], v[12:13]
	v_add_u32_e32 v212, 64, v212
	v_lshl_add_u64 v[172:173], v[172:173], 0, s[10:11]
	v_lshl_add_u64 v[174:175], v[174:175], 0, s[10:11]
	v_lshl_add_u64 v[176:177], v[176:177], 0, s[10:11]
	v_lshl_add_u64 v[178:179], v[178:179], 0, s[10:11]
	v_lshl_add_u64 v[180:181], v[180:181], 0, s[10:11]
	v_lshl_add_u64 v[182:183], v[182:183], 0, s[10:11]
	v_lshl_add_u64 v[184:185], v[184:185], 0, s[10:11]
	v_lshl_add_u64 v[186:187], v[186:187], 0, s[10:11]
	v_lshl_add_u64 v[188:189], v[188:189], 0, s[10:11]
	v_lshl_add_u64 v[190:191], v[190:191], 0, s[10:11]
	v_lshl_add_u64 v[192:193], v[192:193], 0, s[10:11]
	v_lshl_add_u64 v[194:195], v[194:195], 0, s[10:11]
	v_lshl_add_u64 v[196:197], v[196:197], 0, s[10:11]
	v_lshl_add_u64 v[198:199], v[198:199], 0, s[10:11]
	v_lshl_add_u64 v[200:201], v[200:201], 0, s[10:11]
	v_lshl_add_u64 v[202:203], v[202:203], 0, s[10:11]
	v_lshl_add_u64 v[204:205], v[204:205], 0, s[10:11]
	v_lshl_add_u64 v[206:207], v[206:207], 0, s[10:11]
	v_lshl_add_u64 v[208:209], v[208:209], 0, s[10:11]
	s_cmp_ge_u32 s2, s3
	v_lshl_add_u64 v[210:211], v[210:211], 0, s[10:11]
	s_barrier
	s_cbranch_scc0 .LBB54_143
.LBB54_199:
	s_movk_i32 s0, 0x430
	v_cmp_gt_i32_e32 vcc, s18, v166
	v_mad_u32_u24 v4, v165, s0, v167
	s_or_b64 s[0:1], s[20:21], vcc
	s_and_b64 s[0:1], s[14:15], s[0:1]
	ds_write_b128 v4, v[0:3]
	s_waitcnt lgkmcnt(0)
	s_barrier
	s_and_saveexec_b64 s[2:3], s[0:1]
	s_cbranch_execz .LBB54_201
; %bb.200:
	ds_read_b128 v[0:3], v167 offset:1072
	ds_read_b128 v[4:7], v167
	ds_read_b128 v[8:11], v167 offset:2144
	ds_read_b128 v[12:15], v167 offset:3216
	v_ashrrev_i32_e32 v165, 31, v164
	s_waitcnt lgkmcnt(2)
	v_add_f64 v[0:1], v[0:1], v[4:5]
	v_add_f64 v[2:3], v[2:3], v[6:7]
	s_waitcnt lgkmcnt(1)
	v_add_f64 v[0:1], v[0:1], v[8:9]
	v_add_f64 v[2:3], v[2:3], v[10:11]
	;; [unrolled: 3-line block ×3, first 2 shown]
	v_lshl_add_u64 v[4:5], v[164:165], 4, s[6:7]
	global_store_dwordx4 v[4:5], v[0:3], off
.LBB54_201:
	s_endpgm
	.section	.rodata,"a",@progbits
	.p2align	6, 0x0
	.amdhsa_kernel _ZL26rocblas_hemvn_kernel_upperILb1ELi64ELi4ELi33ELi32ELi16Ei19rocblas_complex_numIdEPKPKS1_PS1_EviT6_lT7_lT5_lS8_lS9_lS7_lT8_i
		.amdhsa_group_segment_fixed_size 19200
		.amdhsa_private_segment_fixed_size 0
		.amdhsa_kernarg_size 392
		.amdhsa_user_sgpr_count 2
		.amdhsa_user_sgpr_dispatch_ptr 0
		.amdhsa_user_sgpr_queue_ptr 0
		.amdhsa_user_sgpr_kernarg_segment_ptr 1
		.amdhsa_user_sgpr_dispatch_id 0
		.amdhsa_user_sgpr_kernarg_preload_length 0
		.amdhsa_user_sgpr_kernarg_preload_offset 0
		.amdhsa_user_sgpr_private_segment_size 0
		.amdhsa_uses_dynamic_stack 0
		.amdhsa_enable_private_segment 0
		.amdhsa_system_sgpr_workgroup_id_x 1
		.amdhsa_system_sgpr_workgroup_id_y 0
		.amdhsa_system_sgpr_workgroup_id_z 1
		.amdhsa_system_sgpr_workgroup_info 0
		.amdhsa_system_vgpr_workitem_id 1
		.amdhsa_next_free_vgpr 242
		.amdhsa_next_free_sgpr 40
		.amdhsa_accum_offset 244
		.amdhsa_reserve_vcc 1
		.amdhsa_float_round_mode_32 0
		.amdhsa_float_round_mode_16_64 0
		.amdhsa_float_denorm_mode_32 3
		.amdhsa_float_denorm_mode_16_64 3
		.amdhsa_dx10_clamp 1
		.amdhsa_ieee_mode 1
		.amdhsa_fp16_overflow 0
		.amdhsa_tg_split 0
		.amdhsa_exception_fp_ieee_invalid_op 0
		.amdhsa_exception_fp_denorm_src 0
		.amdhsa_exception_fp_ieee_div_zero 0
		.amdhsa_exception_fp_ieee_overflow 0
		.amdhsa_exception_fp_ieee_underflow 0
		.amdhsa_exception_fp_ieee_inexact 0
		.amdhsa_exception_int_div_zero 0
	.end_amdhsa_kernel
	.section	.text._ZL26rocblas_hemvn_kernel_upperILb1ELi64ELi4ELi33ELi32ELi16Ei19rocblas_complex_numIdEPKPKS1_PS1_EviT6_lT7_lT5_lS8_lS9_lS7_lT8_i,"axG",@progbits,_ZL26rocblas_hemvn_kernel_upperILb1ELi64ELi4ELi33ELi32ELi16Ei19rocblas_complex_numIdEPKPKS1_PS1_EviT6_lT7_lT5_lS8_lS9_lS7_lT8_i,comdat
.Lfunc_end54:
	.size	_ZL26rocblas_hemvn_kernel_upperILb1ELi64ELi4ELi33ELi32ELi16Ei19rocblas_complex_numIdEPKPKS1_PS1_EviT6_lT7_lT5_lS8_lS9_lS7_lT8_i, .Lfunc_end54-_ZL26rocblas_hemvn_kernel_upperILb1ELi64ELi4ELi33ELi32ELi16Ei19rocblas_complex_numIdEPKPKS1_PS1_EviT6_lT7_lT5_lS8_lS9_lS7_lT8_i
                                        ; -- End function
	.set _ZL26rocblas_hemvn_kernel_upperILb1ELi64ELi4ELi33ELi32ELi16Ei19rocblas_complex_numIdEPKPKS1_PS1_EviT6_lT7_lT5_lS8_lS9_lS7_lT8_i.num_vgpr, 242
	.set _ZL26rocblas_hemvn_kernel_upperILb1ELi64ELi4ELi33ELi32ELi16Ei19rocblas_complex_numIdEPKPKS1_PS1_EviT6_lT7_lT5_lS8_lS9_lS7_lT8_i.num_agpr, 0
	.set _ZL26rocblas_hemvn_kernel_upperILb1ELi64ELi4ELi33ELi32ELi16Ei19rocblas_complex_numIdEPKPKS1_PS1_EviT6_lT7_lT5_lS8_lS9_lS7_lT8_i.numbered_sgpr, 40
	.set _ZL26rocblas_hemvn_kernel_upperILb1ELi64ELi4ELi33ELi32ELi16Ei19rocblas_complex_numIdEPKPKS1_PS1_EviT6_lT7_lT5_lS8_lS9_lS7_lT8_i.num_named_barrier, 0
	.set _ZL26rocblas_hemvn_kernel_upperILb1ELi64ELi4ELi33ELi32ELi16Ei19rocblas_complex_numIdEPKPKS1_PS1_EviT6_lT7_lT5_lS8_lS9_lS7_lT8_i.private_seg_size, 0
	.set _ZL26rocblas_hemvn_kernel_upperILb1ELi64ELi4ELi33ELi32ELi16Ei19rocblas_complex_numIdEPKPKS1_PS1_EviT6_lT7_lT5_lS8_lS9_lS7_lT8_i.uses_vcc, 1
	.set _ZL26rocblas_hemvn_kernel_upperILb1ELi64ELi4ELi33ELi32ELi16Ei19rocblas_complex_numIdEPKPKS1_PS1_EviT6_lT7_lT5_lS8_lS9_lS7_lT8_i.uses_flat_scratch, 0
	.set _ZL26rocblas_hemvn_kernel_upperILb1ELi64ELi4ELi33ELi32ELi16Ei19rocblas_complex_numIdEPKPKS1_PS1_EviT6_lT7_lT5_lS8_lS9_lS7_lT8_i.has_dyn_sized_stack, 0
	.set _ZL26rocblas_hemvn_kernel_upperILb1ELi64ELi4ELi33ELi32ELi16Ei19rocblas_complex_numIdEPKPKS1_PS1_EviT6_lT7_lT5_lS8_lS9_lS7_lT8_i.has_recursion, 0
	.set _ZL26rocblas_hemvn_kernel_upperILb1ELi64ELi4ELi33ELi32ELi16Ei19rocblas_complex_numIdEPKPKS1_PS1_EviT6_lT7_lT5_lS8_lS9_lS7_lT8_i.has_indirect_call, 0
	.section	.AMDGPU.csdata,"",@progbits
; Kernel info:
; codeLenInByte = 10900
; TotalNumSgprs: 46
; NumVgprs: 242
; NumAgprs: 0
; TotalNumVgprs: 242
; ScratchSize: 0
; MemoryBound: 1
; FloatMode: 240
; IeeeMode: 1
; LDSByteSize: 19200 bytes/workgroup (compile time only)
; SGPRBlocks: 5
; VGPRBlocks: 30
; NumSGPRsForWavesPerEU: 46
; NumVGPRsForWavesPerEU: 242
; AccumOffset: 244
; Occupancy: 2
; WaveLimiterHint : 0
; COMPUTE_PGM_RSRC2:SCRATCH_EN: 0
; COMPUTE_PGM_RSRC2:USER_SGPR: 2
; COMPUTE_PGM_RSRC2:TRAP_HANDLER: 0
; COMPUTE_PGM_RSRC2:TGID_X_EN: 1
; COMPUTE_PGM_RSRC2:TGID_Y_EN: 0
; COMPUTE_PGM_RSRC2:TGID_Z_EN: 1
; COMPUTE_PGM_RSRC2:TIDIG_COMP_CNT: 1
; COMPUTE_PGM_RSRC3_GFX90A:ACCUM_OFFSET: 60
; COMPUTE_PGM_RSRC3_GFX90A:TG_SPLIT: 0
	.section	.text._ZL36rocblas_hemvn_kernel_upper_block_sumILi64Ei19rocblas_complex_numIdEPKPS1_S1_EviT1_lS5_lT2_lT0_lPT3_i,"axG",@progbits,_ZL36rocblas_hemvn_kernel_upper_block_sumILi64Ei19rocblas_complex_numIdEPKPS1_S1_EviT1_lS5_lT2_lT0_lPT3_i,comdat
	.globl	_ZL36rocblas_hemvn_kernel_upper_block_sumILi64Ei19rocblas_complex_numIdEPKPS1_S1_EviT1_lS5_lT2_lT0_lPT3_i ; -- Begin function _ZL36rocblas_hemvn_kernel_upper_block_sumILi64Ei19rocblas_complex_numIdEPKPS1_S1_EviT1_lS5_lT2_lT0_lPT3_i
	.p2align	8
	.type	_ZL36rocblas_hemvn_kernel_upper_block_sumILi64Ei19rocblas_complex_numIdEPKPS1_S1_EviT1_lS5_lT2_lT0_lPT3_i,@function
_ZL36rocblas_hemvn_kernel_upper_block_sumILi64Ei19rocblas_complex_numIdEPKPS1_S1_EviT1_lS5_lT2_lT0_lPT3_i: ; @_ZL36rocblas_hemvn_kernel_upper_block_sumILi64Ei19rocblas_complex_numIdEPKPS1_S1_EviT1_lS5_lT2_lT0_lPT3_i
; %bb.0:
	s_load_dwordx4 s[12:15], s[0:1], 0x8
	s_load_dwordx4 s[8:11], s[0:1], 0x20
	s_mov_b32 s18, s3
	s_waitcnt lgkmcnt(0)
	v_cmp_neq_f64_e64 s[4:5], s[12:13], 0
	v_cmp_neq_f64_e64 s[6:7], s[14:15], 0
	s_or_b64 s[4:5], s[4:5], s[6:7]
	s_mov_b64 s[6:7], -1
	s_and_b64 vcc, exec, s[4:5]
	s_cbranch_vccnz .LBB55_2
; %bb.1:
	v_cmp_neq_f64_e64 s[6:7], s[8:9], 1.0
	v_cmp_neq_f64_e64 s[16:17], s[10:11], 0
	s_or_b64 s[6:7], s[6:7], s[16:17]
.LBB55_2:
	s_andn2_b64 vcc, exec, s[6:7]
	s_cbranch_vccnz .LBB55_22
; %bb.3:
	s_xor_b64 s[16:17], s[4:5], -1
	s_load_dwordx4 s[4:7], s[0:1], 0x38
	s_load_dword s3, s[0:1], 0x48
	s_load_dword s20, s[0:1], 0x0
	s_mov_b32 s19, 0
	s_lshl_b64 s[22:23], s[18:19], 3
	s_waitcnt lgkmcnt(0)
	s_add_u32 s4, s4, s22
	s_addc_u32 s5, s5, s23
	s_load_dwordx2 s[4:5], s[4:5], 0x0
	s_lshl_b64 s[6:7], s[6:7], 4
	v_lshl_or_b32 v4, s2, 6, v0
	s_waitcnt lgkmcnt(0)
	s_add_u32 s6, s4, s6
	s_addc_u32 s7, s5, s7
	s_andn2_b64 vcc, exec, s[16:17]
	v_cmp_gt_i32_e64 s[4:5], s20, v4
	s_cbranch_vccnz .LBB55_8
; %bb.4:
	s_mov_b64 s[22:23], 0
	s_mov_b64 s[16:17], 0
                                        ; implicit-def: $vgpr2_vgpr3
                                        ; implicit-def: $vgpr6_vgpr7
	s_and_saveexec_b64 s[24:25], s[4:5]
	s_cbranch_execz .LBB55_9
; %bb.5:
	v_cmp_neq_f64_e64 s[4:5], s[8:9], 0
	v_cmp_neq_f64_e64 s[16:17], s[10:11], 0
	v_mul_lo_u32 v6, s3, v4
	s_or_b64 s[4:5], s[4:5], s[16:17]
	v_mov_b64_e32 v[2:3], 0
	v_ashrrev_i32_e32 v7, 31, v6
	s_andn2_b64 vcc, exec, s[4:5]
	v_mov_b64_e32 v[0:1], 0
	s_cbranch_vccnz .LBB55_7
; %bb.6:
	v_lshl_add_u64 v[0:1], v[6:7], 4, s[6:7]
	flat_load_dwordx4 v[8:11], v[0:1]
	s_waitcnt vmcnt(0) lgkmcnt(0)
	v_mul_f64 v[0:1], s[10:11], v[10:11]
	v_mul_f64 v[2:3], s[8:9], v[10:11]
	v_fma_f64 v[0:1], s[8:9], v[8:9], -v[0:1]
	v_fmac_f64_e32 v[2:3], s[10:11], v[8:9]
.LBB55_7:
	s_mov_b64 s[16:17], exec
	s_or_b64 exec, exec, s[24:25]
	s_and_b64 vcc, exec, s[22:23]
	s_cbranch_vccnz .LBB55_10
	s_branch .LBB55_20
.LBB55_8:
	s_mov_b64 s[16:17], 0
                                        ; implicit-def: $vgpr2_vgpr3
                                        ; implicit-def: $vgpr6_vgpr7
	s_cbranch_execnz .LBB55_10
	s_branch .LBB55_20
.LBB55_9:
	s_or_b64 exec, exec, s[24:25]
	s_and_b64 vcc, exec, s[22:23]
	s_cbranch_vccz .LBB55_20
.LBB55_10:
	v_cmp_gt_i32_e32 vcc, s20, v4
                                        ; implicit-def: $vgpr2_vgpr3
                                        ; implicit-def: $vgpr6_vgpr7
	s_and_saveexec_b64 s[4:5], vcc
	s_cbranch_execz .LBB55_19
; %bb.11:
	v_mov_b64_e32 v[0:1], 0
	s_cmp_lt_i32 s2, 0
	v_mov_b64_e32 v[8:9], 0
	s_cbranch_scc1 .LBB55_14
; %bb.12:
	s_load_dwordx2 s[22:23], s[0:1], 0x58
	s_load_dword s19, s[0:1], 0x68
	s_ashr_i32 s21, s20, 31
	s_mul_hi_u32 s0, s20, s18
	s_mul_i32 s1, s21, s18
	s_add_i32 s0, s0, s1
	s_mul_i32 s18, s20, s18
	s_waitcnt lgkmcnt(0)
	s_mul_i32 s0, s0, s19
	s_mul_hi_u32 s1, s18, s19
	s_add_i32 s1, s1, s0
	s_mul_i32 s0, s18, s19
	s_add_i32 s2, s2, 1
	s_lshl_b64 s[0:1], s[0:1], 4
	s_add_u32 s0, s22, s0
	v_mov_b32_e32 v5, 0
	s_addc_u32 s1, s23, s1
	v_lshl_add_u64 v[0:1], v[4:5], 4, s[0:1]
	v_lshl_add_u64 v[2:3], v[0:1], 0, 8
	s_lshl_b64 s[0:1], s[20:21], 4
	v_mov_b64_e32 v[0:1], 0
	v_mov_b64_e32 v[8:9], 0
.LBB55_13:                              ; =>This Inner Loop Header: Depth=1
	global_load_dwordx4 v[10:13], v[2:3], off offset:-8
	s_add_i32 s2, s2, -1
	v_lshl_add_u64 v[2:3], v[2:3], 0, s[0:1]
	s_cmp_eq_u32 s2, 0
	s_waitcnt vmcnt(0)
	v_add_f64 v[8:9], v[8:9], v[10:11]
	v_add_f64 v[0:1], v[0:1], v[12:13]
	s_cbranch_scc0 .LBB55_13
.LBB55_14:
	v_cmp_neq_f64_e64 s[18:19], s[8:9], 0
	v_cmp_neq_f64_e64 s[20:21], s[10:11], 0
	s_or_b64 s[18:19], s[18:19], s[20:21]
	v_mul_f64 v[10:11], s[14:15], v[0:1]
	v_mul_f64 v[2:3], s[12:13], v[0:1]
	v_mul_lo_u32 v6, s3, v4
	s_mov_b64 s[0:1], 0
	s_andn2_b64 vcc, exec, s[18:19]
	v_fma_f64 v[0:1], s[12:13], v[8:9], -v[10:11]
	v_fmac_f64_e32 v[2:3], s[14:15], v[8:9]
	v_ashrrev_i32_e32 v7, 31, v6
	s_cbranch_vccnz .LBB55_16
; %bb.15:
	s_mov_b64 s[0:1], -1
.LBB55_16:
	s_andn2_b64 vcc, exec, s[0:1]
	s_cbranch_vccnz .LBB55_18
; %bb.17:
	v_lshl_add_u64 v[4:5], v[6:7], 4, s[6:7]
	flat_load_dwordx4 v[8:11], v[4:5]
	s_waitcnt vmcnt(0) lgkmcnt(0)
	v_mul_f64 v[4:5], s[10:11], v[10:11]
	v_mul_f64 v[10:11], s[8:9], v[10:11]
	v_fma_f64 v[4:5], s[8:9], v[8:9], -v[4:5]
	v_fmac_f64_e32 v[10:11], s[10:11], v[8:9]
	v_add_f64 v[0:1], v[0:1], v[4:5]
	v_add_f64 v[2:3], v[2:3], v[10:11]
.LBB55_18:
	s_or_b64 s[16:17], s[16:17], exec
.LBB55_19:
	s_or_b64 exec, exec, s[4:5]
.LBB55_20:
	s_and_saveexec_b64 s[0:1], s[16:17]
	s_cbranch_execz .LBB55_22
; %bb.21:
	v_lshl_add_u64 v[4:5], v[6:7], 4, s[6:7]
	flat_store_dwordx4 v[4:5], v[0:3]
.LBB55_22:
	s_endpgm
	.section	.rodata,"a",@progbits
	.p2align	6, 0x0
	.amdhsa_kernel _ZL36rocblas_hemvn_kernel_upper_block_sumILi64Ei19rocblas_complex_numIdEPKPS1_S1_EviT1_lS5_lT2_lT0_lPT3_i
		.amdhsa_group_segment_fixed_size 0
		.amdhsa_private_segment_fixed_size 0
		.amdhsa_kernarg_size 360
		.amdhsa_user_sgpr_count 2
		.amdhsa_user_sgpr_dispatch_ptr 0
		.amdhsa_user_sgpr_queue_ptr 0
		.amdhsa_user_sgpr_kernarg_segment_ptr 1
		.amdhsa_user_sgpr_dispatch_id 0
		.amdhsa_user_sgpr_kernarg_preload_length 0
		.amdhsa_user_sgpr_kernarg_preload_offset 0
		.amdhsa_user_sgpr_private_segment_size 0
		.amdhsa_uses_dynamic_stack 0
		.amdhsa_enable_private_segment 0
		.amdhsa_system_sgpr_workgroup_id_x 1
		.amdhsa_system_sgpr_workgroup_id_y 0
		.amdhsa_system_sgpr_workgroup_id_z 1
		.amdhsa_system_sgpr_workgroup_info 0
		.amdhsa_system_vgpr_workitem_id 0
		.amdhsa_next_free_vgpr 14
		.amdhsa_next_free_sgpr 26
		.amdhsa_accum_offset 16
		.amdhsa_reserve_vcc 1
		.amdhsa_float_round_mode_32 0
		.amdhsa_float_round_mode_16_64 0
		.amdhsa_float_denorm_mode_32 3
		.amdhsa_float_denorm_mode_16_64 3
		.amdhsa_dx10_clamp 1
		.amdhsa_ieee_mode 1
		.amdhsa_fp16_overflow 0
		.amdhsa_tg_split 0
		.amdhsa_exception_fp_ieee_invalid_op 0
		.amdhsa_exception_fp_denorm_src 0
		.amdhsa_exception_fp_ieee_div_zero 0
		.amdhsa_exception_fp_ieee_overflow 0
		.amdhsa_exception_fp_ieee_underflow 0
		.amdhsa_exception_fp_ieee_inexact 0
		.amdhsa_exception_int_div_zero 0
	.end_amdhsa_kernel
	.section	.text._ZL36rocblas_hemvn_kernel_upper_block_sumILi64Ei19rocblas_complex_numIdEPKPS1_S1_EviT1_lS5_lT2_lT0_lPT3_i,"axG",@progbits,_ZL36rocblas_hemvn_kernel_upper_block_sumILi64Ei19rocblas_complex_numIdEPKPS1_S1_EviT1_lS5_lT2_lT0_lPT3_i,comdat
.Lfunc_end55:
	.size	_ZL36rocblas_hemvn_kernel_upper_block_sumILi64Ei19rocblas_complex_numIdEPKPS1_S1_EviT1_lS5_lT2_lT0_lPT3_i, .Lfunc_end55-_ZL36rocblas_hemvn_kernel_upper_block_sumILi64Ei19rocblas_complex_numIdEPKPS1_S1_EviT1_lS5_lT2_lT0_lPT3_i
                                        ; -- End function
	.set _ZL36rocblas_hemvn_kernel_upper_block_sumILi64Ei19rocblas_complex_numIdEPKPS1_S1_EviT1_lS5_lT2_lT0_lPT3_i.num_vgpr, 14
	.set _ZL36rocblas_hemvn_kernel_upper_block_sumILi64Ei19rocblas_complex_numIdEPKPS1_S1_EviT1_lS5_lT2_lT0_lPT3_i.num_agpr, 0
	.set _ZL36rocblas_hemvn_kernel_upper_block_sumILi64Ei19rocblas_complex_numIdEPKPS1_S1_EviT1_lS5_lT2_lT0_lPT3_i.numbered_sgpr, 26
	.set _ZL36rocblas_hemvn_kernel_upper_block_sumILi64Ei19rocblas_complex_numIdEPKPS1_S1_EviT1_lS5_lT2_lT0_lPT3_i.num_named_barrier, 0
	.set _ZL36rocblas_hemvn_kernel_upper_block_sumILi64Ei19rocblas_complex_numIdEPKPS1_S1_EviT1_lS5_lT2_lT0_lPT3_i.private_seg_size, 0
	.set _ZL36rocblas_hemvn_kernel_upper_block_sumILi64Ei19rocblas_complex_numIdEPKPS1_S1_EviT1_lS5_lT2_lT0_lPT3_i.uses_vcc, 1
	.set _ZL36rocblas_hemvn_kernel_upper_block_sumILi64Ei19rocblas_complex_numIdEPKPS1_S1_EviT1_lS5_lT2_lT0_lPT3_i.uses_flat_scratch, 0
	.set _ZL36rocblas_hemvn_kernel_upper_block_sumILi64Ei19rocblas_complex_numIdEPKPS1_S1_EviT1_lS5_lT2_lT0_lPT3_i.has_dyn_sized_stack, 0
	.set _ZL36rocblas_hemvn_kernel_upper_block_sumILi64Ei19rocblas_complex_numIdEPKPS1_S1_EviT1_lS5_lT2_lT0_lPT3_i.has_recursion, 0
	.set _ZL36rocblas_hemvn_kernel_upper_block_sumILi64Ei19rocblas_complex_numIdEPKPS1_S1_EviT1_lS5_lT2_lT0_lPT3_i.has_indirect_call, 0
	.section	.AMDGPU.csdata,"",@progbits
; Kernel info:
; codeLenInByte = 700
; TotalNumSgprs: 32
; NumVgprs: 14
; NumAgprs: 0
; TotalNumVgprs: 14
; ScratchSize: 0
; MemoryBound: 0
; FloatMode: 240
; IeeeMode: 1
; LDSByteSize: 0 bytes/workgroup (compile time only)
; SGPRBlocks: 3
; VGPRBlocks: 1
; NumSGPRsForWavesPerEU: 32
; NumVGPRsForWavesPerEU: 14
; AccumOffset: 16
; Occupancy: 8
; WaveLimiterHint : 1
; COMPUTE_PGM_RSRC2:SCRATCH_EN: 0
; COMPUTE_PGM_RSRC2:USER_SGPR: 2
; COMPUTE_PGM_RSRC2:TRAP_HANDLER: 0
; COMPUTE_PGM_RSRC2:TGID_X_EN: 1
; COMPUTE_PGM_RSRC2:TGID_Y_EN: 0
; COMPUTE_PGM_RSRC2:TGID_Z_EN: 1
; COMPUTE_PGM_RSRC2:TIDIG_COMP_CNT: 0
; COMPUTE_PGM_RSRC3_GFX90A:ACCUM_OFFSET: 3
; COMPUTE_PGM_RSRC3_GFX90A:TG_SPLIT: 0
	.section	.text._ZL26rocblas_hemvn_kernel_lowerILb1ELi64ELi4ELi33ELi32ELi16ElPK19rocblas_complex_numIdEPKS3_PS1_EviT6_lT7_lT5_lS8_lS9_lS7_lT8_i,"axG",@progbits,_ZL26rocblas_hemvn_kernel_lowerILb1ELi64ELi4ELi33ELi32ELi16ElPK19rocblas_complex_numIdEPKS3_PS1_EviT6_lT7_lT5_lS8_lS9_lS7_lT8_i,comdat
	.globl	_ZL26rocblas_hemvn_kernel_lowerILb1ELi64ELi4ELi33ELi32ELi16ElPK19rocblas_complex_numIdEPKS3_PS1_EviT6_lT7_lT5_lS8_lS9_lS7_lT8_i ; -- Begin function _ZL26rocblas_hemvn_kernel_lowerILb1ELi64ELi4ELi33ELi32ELi16ElPK19rocblas_complex_numIdEPKS3_PS1_EviT6_lT7_lT5_lS8_lS9_lS7_lT8_i
	.p2align	8
	.type	_ZL26rocblas_hemvn_kernel_lowerILb1ELi64ELi4ELi33ELi32ELi16ElPK19rocblas_complex_numIdEPKS3_PS1_EviT6_lT7_lT5_lS8_lS9_lS7_lT8_i,@function
_ZL26rocblas_hemvn_kernel_lowerILb1ELi64ELi4ELi33ELi32ELi16ElPK19rocblas_complex_numIdEPKS3_PS1_EviT6_lT7_lT5_lS8_lS9_lS7_lT8_i: ; @_ZL26rocblas_hemvn_kernel_lowerILb1ELi64ELi4ELi33ELi32ELi16ElPK19rocblas_complex_numIdEPKS3_PS1_EviT6_lT7_lT5_lS8_lS9_lS7_lT8_i
; %bb.0:
	s_load_dwordx2 s[4:5], s[0:1], 0x84
	s_add_u32 s12, s0, 0x78
	s_mov_b32 s22, s3
	s_addc_u32 s13, s1, 0
	s_waitcnt lgkmcnt(0)
	s_and_b32 s3, s5, 0xffff
	s_lshr_b32 s5, s4, 16
	s_and_b32 s4, s4, 0xffff
	s_mul_i32 s4, s5, s4
	s_mul_i32 s4, s4, s3
	s_cmpk_lg_i32 s4, 0x100
	s_cbranch_scc1 .LBB56_150
; %bb.1:
	s_load_dwordx8 s[4:11], s[0:1], 0x8
	s_mov_b32 s23, 0
	s_waitcnt lgkmcnt(0)
	s_mul_i32 s3, s7, s22
	s_mul_hi_u32 s7, s6, s22
	s_mul_i32 s6, s6, s22
	s_add_i32 s7, s7, s3
	s_lshl_b64 s[6:7], s[6:7], 4
	s_add_u32 s14, s4, s6
	s_addc_u32 s15, s5, s7
	s_load_dwordx4 s[16:19], s[14:15], 0x0
	s_load_dwordx2 s[26:27], s[0:1], 0x68
	s_load_dwordx4 s[4:7], s[0:1], 0x58
	s_waitcnt lgkmcnt(0)
	v_cmp_neq_f64_e64 s[14:15], s[16:17], 0
	v_cmp_neq_f64_e64 s[16:17], s[18:19], 0
	s_or_b64 s[16:17], s[14:15], s[16:17]
	s_mov_b64 s[14:15], -1
	s_and_b64 vcc, exec, s[16:17]
	s_cbranch_vccnz .LBB56_3
; %bb.2:
	s_mul_i32 s3, s7, s22
	s_mul_hi_u32 s7, s6, s22
	s_add_i32 s7, s7, s3
	s_mul_i32 s6, s6, s22
	s_lshl_b64 s[6:7], s[6:7], 4
	s_add_u32 s14, s4, s6
	s_addc_u32 s15, s5, s7
	s_load_dwordx4 s[4:7], s[14:15], 0x0
	s_mov_b64 s[14:15], 0
	s_waitcnt lgkmcnt(0)
	v_cmp_eq_f64_e64 s[4:5], s[4:5], 1.0
	v_cmp_eq_f64_e64 s[6:7], s[6:7], 0
	s_and_b64 s[4:5], s[4:5], s[6:7]
	s_andn2_b64 vcc, exec, s[4:5]
.LBB56_3:
	s_andn2_b64 vcc, exec, s[14:15]
	s_cbranch_vccnz .LBB56_150
; %bb.4:
	s_load_dword s3, s[12:13], 0x0
	s_load_dwordx4 s[4:7], s[0:1], 0x38
	s_load_dwordx2 s[20:21], s[0:1], 0x48
	s_lshl_b64 s[12:13], s[22:23], 3
	s_add_u32 s8, s8, s12
	s_addc_u32 s9, s9, s13
	s_waitcnt lgkmcnt(0)
	s_add_u32 s12, s4, s12
	s_addc_u32 s13, s5, s13
	s_load_dwordx2 s[14:15], s[12:13], 0x0
	s_load_dwordx2 s[24:25], s[0:1], 0x28
	s_load_dword s23, s[0:1], 0x0
	s_load_dwordx2 s[4:5], s[8:9], 0x0
	s_lshl_b64 s[0:1], s[6:7], 4
	s_waitcnt lgkmcnt(0)
	s_add_u32 s0, s14, s0
	s_addc_u32 s1, s15, s1
	s_ashr_i32 s33, s23, 31
	s_lshr_b32 s7, s33, 26
	s_add_i32 s7, s23, s7
	v_and_b32_e32 v159, 0x3ff, v0
	s_lshl_b32 s30, s2, 6
	s_andn2_b32 s7, s7, 63
	s_add_i32 s6, s3, -1
	s_sub_i32 s7, s23, s7
	v_add_u32_e32 v148, s30, v159
	s_cmp_eq_u32 s2, s6
	v_ashrrev_i32_e32 v149, 31, v148
	v_bfe_u32 v158, v0, 10, 10
	s_cselect_b32 s28, s7, 0
	v_mul_lo_u32 v2, s20, v149
	v_mul_lo_u32 v3, s21, v148
	v_mad_u64_u32 v[0:1], s[6:7], s20, v148, 0
	v_add3_u32 v1, v1, v2, v3
	v_lshl_add_u64 v[36:37], v[0:1], 4, s[0:1]
	v_cmp_ne_u32_e64 s[0:1], 0, v158
	v_cmp_eq_u32_e64 s[16:17], 0, v158
	s_and_saveexec_b64 s[6:7], s[16:17]
	s_cbranch_execz .LBB56_9
; %bb.5:
	s_cmp_lg_u32 s28, 0
	s_cselect_b64 s[8:9], -1, 0
	v_cmp_le_i32_e32 vcc, s28, v159
	v_mov_b32_e32 v0, 0x4700
	s_and_b64 s[8:9], s[8:9], vcc
	v_lshl_add_u32 v0, v159, 4, v0
	s_and_saveexec_b64 s[12:13], s[8:9]
	s_xor_b64 s[8:9], exec, s[12:13]
; %bb.6:
	v_mov_b32_e32 v2, 0
	v_mov_b32_e32 v3, v2
	;; [unrolled: 1-line block ×4, first 2 shown]
	ds_write_b128 v0, v[2:5]
                                        ; implicit-def: $vgpr0
; %bb.7:
	s_andn2_saveexec_b64 s[8:9], s[8:9]
	s_cbranch_execz .LBB56_9
; %bb.8:
	flat_load_dwordx4 v[2:5], v[36:37]
	s_waitcnt vmcnt(0) lgkmcnt(0)
	ds_write2_b64 v0, v[2:3], v[4:5] offset1:1
.LBB56_9:
	s_or_b64 exec, exec, s[6:7]
	s_lshl_b64 s[6:7], s[10:11], 4
	s_add_u32 s6, s4, s6
	s_addc_u32 s7, s5, s7
	s_ashr_i32 s31, s30, 31
	v_lshl_add_u32 v42, v158, 6, v159
	s_lshl_b64 s[4:5], s[30:31], 4
	v_and_b32_e32 v8, 31, v159
	v_lshrrev_b32_e32 v12, 5, v42
	s_add_u32 s4, s6, s4
	v_mov_b32_e32 v9, 0
	s_addc_u32 s5, s7, s5
	v_mad_u64_u32 v[38:39], s[6:7], s24, v12, v[8:9]
	v_mov_b32_e32 v0, v39
	v_mad_u64_u32 v[0:1], s[6:7], s25, v12, v[0:1]
	v_mov_b32_e32 v39, v0
	v_lshl_add_u64 v[0:1], v[38:39], 4, s[4:5]
	s_mul_hi_u32 s4, s24, s30
	s_mul_i32 s5, s24, s31
	s_add_i32 s4, s4, s5
	s_mul_i32 s5, s25, s30
	s_add_i32 s35, s4, s5
	s_cmp_lg_u32 s28, 0
	s_mul_i32 s34, s24, s30
	s_cselect_b64 s[36:37], -1, 0
	s_cmp_eq_u32 s28, 0
	v_lshl_add_u64 v[4:5], s[34:35], 4, v[0:1]
	s_cselect_b64 s[18:19], -1, 0
	s_mov_b64 s[4:5], -1
	s_and_b64 vcc, exec, s[36:37]
	s_cbranch_vccnz .LBB56_11
; %bb.10:
	flat_load_dwordx4 v[0:3], v[4:5]
	v_mul_u32_u24_e32 v6, 0x210, v12
	s_lshl_b64 s[4:5], s[24:25], 7
	v_lshl_add_u32 v9, v8, 4, v6
	v_lshl_add_u64 v[6:7], v[4:5], 0, s[4:5]
	v_add_u32_e32 v10, 0x1080, v9
	s_waitcnt vmcnt(0) lgkmcnt(0)
	ds_write2_b64 v9, v[0:1], v[2:3] offset1:1
	flat_load_dwordx4 v[0:3], v[6:7]
	v_lshl_add_u64 v[6:7], v[6:7], 0, s[4:5]
	s_waitcnt vmcnt(0) lgkmcnt(0)
	ds_write2_b64 v10, v[0:1], v[2:3] offset1:1
	flat_load_dwordx4 v[0:3], v[6:7]
	v_add_u32_e32 v10, 0x2100, v9
	v_lshl_add_u64 v[6:7], v[6:7], 0, s[4:5]
	s_mov_b64 s[4:5], 0
	s_waitcnt vmcnt(0) lgkmcnt(0)
	ds_write2_b64 v10, v[0:1], v[2:3] offset1:1
	flat_load_dwordx4 v[0:3], v[6:7]
	v_add_u32_e32 v6, 0x3180, v9
	s_waitcnt vmcnt(0) lgkmcnt(0)
	ds_write2_b64 v6, v[0:1], v[2:3] offset1:1
.LBB56_11:
	s_andn2_b64 vcc, exec, s[4:5]
	v_lshlrev_b32_e32 v9, 4, v8
	s_cbranch_vccnz .LBB56_29
; %bb.12:
	v_lshlrev_b32_e32 v0, 4, v8
	v_sub_co_u32_e32 v2, vcc, v4, v0
	s_ashr_i32 s29, s28, 31
	s_nop 0
	v_subbrev_co_u32_e32 v3, vcc, 0, v5, vcc
	v_lshl_add_u64 v[2:3], s[28:29], 4, v[2:3]
	v_lshl_add_u64 v[2:3], v[2:3], 0, -16
	v_cmp_gt_i32_e32 vcc, s28, v8
	s_movk_i32 s6, 0x210
	v_cmp_le_i32_e64 s[4:5], s28, v12
	v_cndmask_b32_e32 v3, v3, v5, vcc
	v_cndmask_b32_e32 v2, v2, v4, vcc
	v_mad_u32_u24 v1, v12, s6, v9
	s_and_saveexec_b64 s[6:7], s[4:5]
	s_xor_b64 s[4:5], exec, s[6:7]
; %bb.13:
	v_mov_b32_e32 v14, 0
	v_mov_b32_e32 v15, v14
	;; [unrolled: 1-line block ×4, first 2 shown]
	ds_write_b128 v1, v[14:17]
                                        ; implicit-def: $vgpr1
; %bb.14:
	s_andn2_saveexec_b64 s[4:5], s[4:5]
	s_cbranch_execz .LBB56_16
; %bb.15:
	flat_load_dwordx4 v[14:17], v[2:3]
	s_waitcnt vmcnt(0) lgkmcnt(0)
	ds_write2_b64 v1, v[14:15], v[16:17] offset1:1
.LBB56_16:
	s_or_b64 exec, exec, s[4:5]
	v_add_u32_e32 v6, 8, v12
	v_mul_u32_u24_e32 v1, 0x210, v12
	v_cmp_le_i32_e64 s[4:5], s28, v6
	s_and_saveexec_b64 s[6:7], s[4:5]
	s_xor_b64 s[4:5], exec, s[6:7]
	s_cbranch_execz .LBB56_18
; %bb.17:
	v_mov_b32_e32 v14, 0
	v_add_u32_e32 v6, v1, v9
	v_mov_b32_e32 v15, v14
	v_mov_b32_e32 v16, v14
	;; [unrolled: 1-line block ×3, first 2 shown]
	ds_write_b128 v6, v[14:17] offset:4224
.LBB56_18:
	s_andn2_saveexec_b64 s[4:5], s[4:5]
	s_cbranch_execz .LBB56_20
; %bb.19:
	s_lshl_b64 s[6:7], s[24:25], 7
	v_lshl_add_u64 v[6:7], v[2:3], 0, s[6:7]
	flat_load_dwordx4 v[14:17], v[6:7]
	s_movk_i32 s6, 0x1080
	v_add3_u32 v6, v1, v9, s6
	s_waitcnt vmcnt(0) lgkmcnt(0)
	ds_write2_b64 v6, v[14:15], v[16:17] offset1:1
.LBB56_20:
	s_or_b64 exec, exec, s[4:5]
	v_add_u32_e32 v6, 16, v12
	v_cmp_le_i32_e64 s[4:5], s28, v6
	s_and_saveexec_b64 s[6:7], s[4:5]
	s_xor_b64 s[4:5], exec, s[6:7]
	s_cbranch_execz .LBB56_22
; %bb.21:
	v_mov_b32_e32 v14, 0
	v_add_u32_e32 v6, v1, v9
	v_mov_b32_e32 v15, v14
	v_mov_b32_e32 v16, v14
	;; [unrolled: 1-line block ×3, first 2 shown]
	ds_write_b128 v6, v[14:17] offset:8448
.LBB56_22:
	s_andn2_saveexec_b64 s[4:5], s[4:5]
	s_cbranch_execz .LBB56_24
; %bb.23:
	s_lshl_b64 s[6:7], s[24:25], 8
	v_lshl_add_u64 v[6:7], v[2:3], 0, s[6:7]
	flat_load_dwordx4 v[14:17], v[6:7]
	s_movk_i32 s6, 0x2100
	v_add3_u32 v6, v1, v9, s6
	s_waitcnt vmcnt(0) lgkmcnt(0)
	ds_write2_b64 v6, v[14:15], v[16:17] offset1:1
.LBB56_24:
	s_or_b64 exec, exec, s[4:5]
	v_add_u32_e32 v6, 24, v12
	v_cmp_le_i32_e64 s[4:5], s28, v6
	s_and_saveexec_b64 s[6:7], s[4:5]
	s_xor_b64 s[4:5], exec, s[6:7]
	s_cbranch_execz .LBB56_26
; %bb.25:
	v_mov_b32_e32 v14, 0
	v_add_u32_e32 v1, v1, v9
	v_mov_b32_e32 v15, v14
	v_mov_b32_e32 v16, v14
	;; [unrolled: 1-line block ×3, first 2 shown]
	ds_write_b128 v1, v[14:17] offset:12672
                                        ; implicit-def: $vgpr1
.LBB56_26:
	s_andn2_saveexec_b64 s[4:5], s[4:5]
	s_cbranch_execz .LBB56_28
; %bb.27:
	v_mov_b32_e32 v6, 0x180
	v_mad_u64_u32 v[6:7], s[6:7], s24, v6, v[2:3]
	s_mul_i32 s6, s25, 0x180
	s_nop 0
	v_add_u32_e32 v7, s6, v7
	flat_load_dwordx4 v[14:17], v[6:7]
	s_movk_i32 s6, 0x3180
	v_add3_u32 v1, v1, v9, s6
	s_waitcnt vmcnt(0) lgkmcnt(0)
	ds_write2_b64 v1, v[14:15], v[16:17] offset1:1
.LBB56_28:
	s_or_b64 exec, exec, s[4:5]
	v_mov_b32_e32 v1, 0
	v_lshl_add_u64 v[0:1], v[2:3], 0, v[0:1]
	s_lshl_b64 s[4:5], s[28:29], 4
	v_mov_b32_e32 v2, s5
	v_subrev_co_u32_e64 v0, s[4:5], s4, v0
	s_nop 1
	v_subb_co_u32_e64 v1, s[4:5], v1, v2, s[4:5]
	v_lshl_add_u64 v[0:1], v[0:1], 0, 16
	v_cndmask_b32_e32 v5, v1, v5, vcc
	v_cndmask_b32_e32 v4, v0, v4, vcc
.LBB56_29:
	v_lshlrev_b32_e32 v13, 2, v12
	v_mul_u32_u24_e32 v15, 0x210, v8
	v_cmp_ge_u32_e64 s[6:7], v13, v8
	s_mov_b64 s[4:5], 0
	s_waitcnt lgkmcnt(0)
	s_barrier
                                        ; implicit-def: $vgpr7
	s_and_saveexec_b64 s[8:9], s[6:7]
	s_xor_b64 s[8:9], exec, s[8:9]
	s_cbranch_execz .LBB56_33
; %bb.30:
	v_cmp_eq_u32_e32 vcc, v13, v8
                                        ; implicit-def: $vgpr7
	s_and_saveexec_b64 s[10:11], vcc
	s_xor_b64 s[10:11], exec, s[10:11]
; %bb.31:
	s_mov_b64 s[4:5], exec
	v_add_u32_e32 v7, v9, v15
; %bb.32:
	s_or_b64 exec, exec, s[10:11]
	s_and_b64 s[4:5], s[4:5], exec
.LBB56_33:
	s_or_saveexec_b64 s[8:9], s[8:9]
	v_lshl_or_b32 v6, v8, 9, v9
	v_mov_b64_e32 v[2:3], 0
	s_xor_b64 exec, exec, s[8:9]
	s_cbranch_execz .LBB56_35
; %bb.34:
	s_movk_i32 s10, 0x840
	v_mad_u32_u24 v0, v12, s10, v9
	ds_read_b128 v[0:3], v0
	v_lshl_add_u32 v7, v13, 4, v6
	s_or_b64 s[4:5], s[4:5], exec
	s_waitcnt lgkmcnt(0)
	v_xor_b32_e32 v3, 0x80000000, v3
	ds_write_b64 v7, v[0:1]
.LBB56_35:
	s_or_b64 exec, exec, s[8:9]
	s_and_saveexec_b64 s[8:9], s[4:5]
; %bb.36:
	ds_write_b64 v7, v[2:3] offset:8
; %bb.37:
	s_or_b64 exec, exec, s[8:9]
	v_or_b32_e32 v16, 1, v13
	v_cmp_ge_u32_e64 s[8:9], v16, v8
	s_mov_b64 s[4:5], 0
                                        ; implicit-def: $vgpr7
	s_and_saveexec_b64 s[10:11], s[8:9]
	s_xor_b64 s[10:11], exec, s[10:11]
	s_cbranch_execnz .LBB56_99
; %bb.38:
	s_or_saveexec_b64 s[10:11], s[10:11]
	v_mov_b64_e32 v[2:3], 0
	s_xor_b64 exec, exec, s[10:11]
	s_cbranch_execnz .LBB56_102
.LBB56_39:
	s_or_b64 exec, exec, s[10:11]
	s_and_saveexec_b64 s[10:11], s[4:5]
.LBB56_40:
	ds_write_b64 v7, v[2:3] offset:8
.LBB56_41:
	s_or_b64 exec, exec, s[10:11]
	v_or_b32_e32 v17, 2, v13
	v_cmp_ge_u32_e64 s[10:11], v17, v8
	s_mov_b64 s[4:5], 0
                                        ; implicit-def: $vgpr7
	s_and_saveexec_b64 s[12:13], s[10:11]
	s_xor_b64 s[12:13], exec, s[12:13]
	s_cbranch_execnz .LBB56_103
; %bb.42:
	s_or_saveexec_b64 s[12:13], s[12:13]
	v_mov_b64_e32 v[2:3], 0
	s_xor_b64 exec, exec, s[12:13]
	s_cbranch_execnz .LBB56_106
.LBB56_43:
	s_or_b64 exec, exec, s[12:13]
	s_and_saveexec_b64 s[12:13], s[4:5]
.LBB56_44:
	ds_write_b64 v7, v[2:3] offset:8
.LBB56_45:
	s_or_b64 exec, exec, s[12:13]
	v_or_b32_e32 v18, 3, v13
	v_cmp_ge_u32_e64 s[12:13], v18, v8
	s_mov_b64 s[4:5], 0
                                        ; implicit-def: $vgpr7
	s_and_saveexec_b64 s[14:15], s[12:13]
	s_xor_b64 s[14:15], exec, s[14:15]
	s_cbranch_execnz .LBB56_107
; %bb.46:
	s_or_saveexec_b64 s[14:15], s[14:15]
	v_mov_b64_e32 v[2:3], 0
	s_xor_b64 exec, exec, s[14:15]
	s_cbranch_execnz .LBB56_110
.LBB56_47:
	s_or_b64 exec, exec, s[14:15]
	s_and_saveexec_b64 s[14:15], s[4:5]
.LBB56_48:
	ds_write_b64 v7, v[2:3] offset:8
.LBB56_49:
	s_or_b64 exec, exec, s[14:15]
	s_movk_i32 s4, 0x840
	v_lshlrev_b32_e32 v19, 4, v13
	s_waitcnt lgkmcnt(0)
	s_barrier
	v_mad_u32_u24 v6, v12, s4, v9
	ds_read_b128 v[0:3], v19 offset:18176
	ds_read_b128 v[20:23], v6
	ds_read_b128 v[24:27], v19 offset:18192
	ds_read_b128 v[28:31], v19 offset:18208
	s_movk_i32 s29, 0x210
	v_mad_u32_u24 v14, v16, s29, v9
	s_waitcnt lgkmcnt(2)
	v_mul_f64 v[6:7], v[2:3], v[22:23]
	v_mul_f64 v[10:11], v[0:1], v[22:23]
	v_fma_f64 v[6:7], v[0:1], v[20:21], -v[6:7]
	v_fmac_f64_e32 v[10:11], v[2:3], v[20:21]
	ds_read_b128 v[20:23], v19 offset:18224
	ds_read_b128 v[32:35], v14
	v_add_f64 v[2:3], v[6:7], 0
	v_add_f64 v[6:7], v[10:11], 0
	ds_read_b128 v[44:47], v14 offset:528
	v_mov_b64_e32 v[0:1], 0
	s_waitcnt lgkmcnt(1)
	v_mul_f64 v[10:11], v[26:27], v[34:35]
	v_fma_f64 v[10:11], v[24:25], v[32:33], -v[10:11]
	v_mul_f64 v[24:25], v[24:25], v[34:35]
	v_fmac_f64_e32 v[24:25], v[26:27], v[32:33]
	v_add_f64 v[6:7], v[6:7], v[24:25]
	ds_read_b128 v[24:27], v14 offset:1056
	v_add_f64 v[2:3], v[2:3], v[10:11]
	s_waitcnt lgkmcnt(1)
	v_mul_f64 v[10:11], v[30:31], v[46:47]
	v_fma_f64 v[10:11], v[28:29], v[44:45], -v[10:11]
	v_add_f64 v[2:3], v[2:3], v[10:11]
	s_waitcnt lgkmcnt(0)
	v_mul_f64 v[10:11], v[22:23], v[26:27]
	v_mul_f64 v[28:29], v[28:29], v[46:47]
	v_fma_f64 v[10:11], v[20:21], v[24:25], -v[10:11]
	v_fmac_f64_e32 v[28:29], v[30:31], v[44:45]
	v_mul_f64 v[26:27], v[20:21], v[26:27]
	v_add_f64 v[20:21], v[2:3], v[10:11]
	v_mul_u32_u24_e32 v2, 33, v8
	v_add_f64 v[6:7], v[6:7], v[28:29]
	v_fmac_f64_e32 v[26:27], v[22:23], v[24:25]
	v_lshlrev_b32_e32 v43, 4, v2
	v_add_f64 v[22:23], v[6:7], v[26:27]
	v_lshl_add_u32 v44, v12, 4, v43
	v_cmp_gt_u32_e64 s[4:5], 32, v42
	v_mov_b64_e32 v[2:3], 0
	s_barrier
	ds_write_b128 v44, v[20:23]
	s_waitcnt lgkmcnt(0)
	s_barrier
	s_and_saveexec_b64 s[14:15], s[4:5]
	s_cbranch_execz .LBB56_51
; %bb.50:
	ds_read_b128 v[0:3], v43
	ds_read_b128 v[20:23], v43 offset:16
	ds_read_b128 v[24:27], v43 offset:32
	;; [unrolled: 1-line block ×3, first 2 shown]
	s_waitcnt lgkmcnt(2)
	v_add_f64 v[0:1], v[20:21], v[0:1]
	v_add_f64 v[6:7], v[22:23], v[2:3]
	s_waitcnt lgkmcnt(1)
	v_add_f64 v[10:11], v[0:1], v[24:25]
	ds_read_b128 v[0:3], v43 offset:64
	ds_read_b128 v[20:23], v43 offset:80
	v_add_f64 v[6:7], v[6:7], v[26:27]
	s_waitcnt lgkmcnt(2)
	v_add_f64 v[10:11], v[10:11], v[28:29]
	v_add_f64 v[6:7], v[6:7], v[30:31]
	ds_read_b128 v[24:27], v43 offset:96
	s_waitcnt lgkmcnt(2)
	v_add_f64 v[10:11], v[10:11], v[0:1]
	v_add_f64 v[6:7], v[6:7], v[2:3]
	ds_read_b128 v[0:3], v43 offset:112
	s_waitcnt lgkmcnt(2)
	v_add_f64 v[10:11], v[10:11], v[20:21]
	v_add_f64 v[6:7], v[6:7], v[22:23]
	s_waitcnt lgkmcnt(1)
	v_add_f64 v[10:11], v[10:11], v[24:25]
	v_add_f64 v[6:7], v[6:7], v[26:27]
	;; [unrolled: 3-line block ×3, first 2 shown]
.LBB56_51:
	s_or_b64 exec, exec, s[14:15]
	s_lshl_b64 s[14:15], s[24:25], 9
	v_lshl_add_u64 v[6:7], v[4:5], 0, s[14:15]
	s_mov_b64 s[14:15], 0x200
	v_cndmask_b32_e64 v4, 0, 1, s[18:19]
	v_lshl_add_u64 v[10:11], v[6:7], 0, s[14:15]
	v_mad_u32_u24 v14, v12, s29, v9
	v_cmp_ne_u32_e64 s[14:15], 1, v4
	s_andn2_b64 vcc, exec, s[18:19]
	s_mov_b64 s[18:19], -1
	s_barrier
	s_cbranch_vccnz .LBB56_53
; %bb.52:
	flat_load_dwordx4 v[20:23], v[10:11]
	s_lshl_b64 s[18:19], s[24:25], 7
	v_lshl_add_u64 v[4:5], v[6:7], 0, s[18:19]
	v_add_u32_e32 v24, 0x1080, v14
	s_waitcnt vmcnt(0) lgkmcnt(0)
	ds_write2_b64 v14, v[20:21], v[22:23] offset1:1
	flat_load_dwordx4 v[20:23], v[4:5] offset:512
	v_lshl_add_u64 v[4:5], v[4:5], 0, s[18:19]
	s_waitcnt vmcnt(0) lgkmcnt(0)
	ds_write2_b64 v24, v[20:21], v[22:23] offset1:1
	flat_load_dwordx4 v[20:23], v[4:5] offset:512
	v_add_u32_e32 v24, 0x2100, v14
	v_lshl_add_u64 v[4:5], v[4:5], 0, s[18:19]
	s_mov_b64 s[18:19], 0
	s_waitcnt vmcnt(0) lgkmcnt(0)
	ds_write2_b64 v24, v[20:21], v[22:23] offset1:1
	flat_load_dwordx4 v[20:23], v[4:5] offset:512
	v_add_u32_e32 v4, 0x3180, v14
	s_waitcnt vmcnt(0) lgkmcnt(0)
	ds_write2_b64 v4, v[20:21], v[22:23] offset1:1
.LBB56_53:
	s_andn2_b64 vcc, exec, s[18:19]
	s_cbranch_vccnz .LBB56_71
; %bb.54:
	v_lshlrev_b32_e32 v4, 4, v8
	v_sub_co_u32_e32 v6, vcc, v6, v4
	s_ashr_i32 s29, s28, 31
	s_nop 0
	v_subbrev_co_u32_e32 v7, vcc, 0, v7, vcc
	v_or_b32_e32 v5, 32, v8
	v_lshl_add_u64 v[6:7], s[28:29], 4, v[6:7]
	v_lshl_add_u64 v[6:7], v[6:7], 0, -16
	v_cmp_gt_i32_e32 vcc, s28, v5
	s_sub_i32 s38, s28, 32
	v_cmp_le_i32_e64 s[18:19], s38, v12
	v_cndmask_b32_e32 v7, v7, v11, vcc
	v_cndmask_b32_e32 v6, v6, v10, vcc
	s_and_saveexec_b64 s[40:41], s[18:19]
	s_xor_b64 s[18:19], exec, s[40:41]
; %bb.55:
	v_mov_b32_e32 v20, 0
	v_mov_b32_e32 v21, v20
	;; [unrolled: 1-line block ×4, first 2 shown]
	ds_write_b128 v14, v[20:23]
; %bb.56:
	s_andn2_saveexec_b64 s[18:19], s[18:19]
	s_cbranch_execz .LBB56_58
; %bb.57:
	flat_load_dwordx4 v[20:23], v[6:7]
	s_waitcnt vmcnt(0) lgkmcnt(0)
	ds_write2_b64 v14, v[20:21], v[22:23] offset1:1
.LBB56_58:
	s_or_b64 exec, exec, s[18:19]
	v_add_u32_e32 v20, 8, v12
	v_mul_u32_u24_e32 v5, 0x210, v12
	v_cmp_le_i32_e64 s[18:19], s38, v20
	s_and_saveexec_b64 s[40:41], s[18:19]
	s_xor_b64 s[18:19], exec, s[40:41]
	s_cbranch_execz .LBB56_60
; %bb.59:
	v_mov_b32_e32 v22, 0
	v_add_u32_e32 v20, v5, v9
	v_mov_b32_e32 v23, v22
	v_mov_b32_e32 v24, v22
	;; [unrolled: 1-line block ×3, first 2 shown]
	ds_write_b128 v20, v[22:25] offset:4224
.LBB56_60:
	s_andn2_saveexec_b64 s[18:19], s[18:19]
	s_cbranch_execz .LBB56_62
; %bb.61:
	s_lshl_b64 s[40:41], s[24:25], 7
	v_lshl_add_u64 v[20:21], v[6:7], 0, s[40:41]
	flat_load_dwordx4 v[20:23], v[20:21]
	s_movk_i32 s39, 0x1080
	v_add3_u32 v24, v5, v9, s39
	s_waitcnt vmcnt(0) lgkmcnt(0)
	ds_write2_b64 v24, v[20:21], v[22:23] offset1:1
.LBB56_62:
	s_or_b64 exec, exec, s[18:19]
	v_add_u32_e32 v20, 16, v12
	v_cmp_le_i32_e64 s[18:19], s38, v20
	s_and_saveexec_b64 s[40:41], s[18:19]
	s_xor_b64 s[18:19], exec, s[40:41]
	s_cbranch_execz .LBB56_64
; %bb.63:
	v_mov_b32_e32 v22, 0
	v_add_u32_e32 v20, v5, v9
	v_mov_b32_e32 v23, v22
	v_mov_b32_e32 v24, v22
	;; [unrolled: 1-line block ×3, first 2 shown]
	ds_write_b128 v20, v[22:25] offset:8448
.LBB56_64:
	s_andn2_saveexec_b64 s[18:19], s[18:19]
	s_cbranch_execz .LBB56_66
; %bb.65:
	s_lshl_b64 s[40:41], s[24:25], 8
	v_lshl_add_u64 v[20:21], v[6:7], 0, s[40:41]
	flat_load_dwordx4 v[20:23], v[20:21]
	s_movk_i32 s39, 0x2100
	v_add3_u32 v24, v5, v9, s39
	s_waitcnt vmcnt(0) lgkmcnt(0)
	ds_write2_b64 v24, v[20:21], v[22:23] offset1:1
.LBB56_66:
	s_or_b64 exec, exec, s[18:19]
	v_add_u32_e32 v20, 24, v12
	v_cmp_le_i32_e64 s[18:19], s38, v20
	s_and_saveexec_b64 s[38:39], s[18:19]
	s_xor_b64 s[18:19], exec, s[38:39]
	s_cbranch_execz .LBB56_68
; %bb.67:
	v_mov_b32_e32 v20, 0
	v_add_u32_e32 v5, v5, v9
	v_mov_b32_e32 v21, v20
	v_mov_b32_e32 v22, v20
	;; [unrolled: 1-line block ×3, first 2 shown]
	ds_write_b128 v5, v[20:23] offset:12672
                                        ; implicit-def: $vgpr5
.LBB56_68:
	s_andn2_saveexec_b64 s[18:19], s[18:19]
	s_cbranch_execz .LBB56_70
; %bb.69:
	v_mov_b32_e32 v20, 0x180
	v_mad_u64_u32 v[20:21], s[38:39], s24, v20, v[6:7]
	s_mul_i32 s38, s25, 0x180
	s_nop 0
	v_add_u32_e32 v21, s38, v21
	flat_load_dwordx4 v[20:23], v[20:21]
	s_movk_i32 s38, 0x3180
	v_add3_u32 v5, v5, v9, s38
	s_waitcnt vmcnt(0) lgkmcnt(0)
	ds_write2_b64 v5, v[20:21], v[22:23] offset1:1
.LBB56_70:
	s_or_b64 exec, exec, s[18:19]
	v_mov_b32_e32 v5, 0
	v_lshl_add_u64 v[4:5], v[6:7], 0, v[4:5]
	s_lshl_b64 s[18:19], s[28:29], 4
	v_mov_b32_e32 v6, s19
	v_subrev_co_u32_e64 v4, s[18:19], s18, v4
	s_nop 1
	v_subb_co_u32_e64 v5, s[18:19], v5, v6, s[18:19]
	s_mov_b64 s[18:19], 0x210
	s_nop 0
	v_lshl_add_u64 v[4:5], v[4:5], 0, s[18:19]
	v_cndmask_b32_e32 v11, v5, v11, vcc
	v_cndmask_b32_e32 v10, v4, v10, vcc
.LBB56_71:
	v_mul_u32_u24_e32 v4, 0x840, v12
	v_add_u32_e32 v45, 0x4700, v19
	v_mul_u32_u24_e32 v20, 0x210, v16
	s_lshl_b64 s[18:19], s[24:25], 5
	s_mov_b64 s[38:39], 0
	s_waitcnt lgkmcnt(0)
	s_barrier
                                        ; implicit-def: $vgpr21
	s_and_saveexec_b64 s[40:41], s[6:7]
	s_xor_b64 s[6:7], exec, s[40:41]
	s_cbranch_execz .LBB56_75
; %bb.72:
	v_cmp_eq_u32_e32 vcc, v13, v8
                                        ; implicit-def: $vgpr21
	s_and_saveexec_b64 s[40:41], vcc
	s_xor_b64 s[40:41], exec, s[40:41]
; %bb.73:
	s_mov_b64 s[38:39], exec
	v_add_u32_e32 v21, v9, v15
; %bb.74:
	s_or_b64 exec, exec, s[40:41]
	s_and_b64 s[38:39], s[38:39], exec
.LBB56_75:
	s_or_saveexec_b64 s[6:7], s[6:7]
	v_mov_b64_e32 v[6:7], 0
	v_add_u32_e32 v19, v9, v4
	s_xor_b64 exec, exec, s[6:7]
	s_cbranch_execz .LBB56_77
; %bb.76:
	ds_read_b128 v[4:7], v19
	v_lshl_add_u32 v21, v13, 4, v43
	s_or_b64 s[38:39], s[38:39], exec
	s_waitcnt lgkmcnt(0)
	v_xor_b32_e32 v7, 0x80000000, v7
	ds_write_b64 v21, v[4:5]
.LBB56_77:
	s_or_b64 exec, exec, s[6:7]
	s_and_saveexec_b64 s[6:7], s[38:39]
; %bb.78:
	ds_write_b64 v21, v[6:7] offset:8
; %bb.79:
	s_or_b64 exec, exec, s[6:7]
	s_mov_b64 s[6:7], 0
                                        ; implicit-def: $vgpr21
	s_and_saveexec_b64 s[38:39], s[8:9]
	s_xor_b64 s[8:9], exec, s[38:39]
	s_cbranch_execz .LBB56_83
; %bb.80:
	v_cmp_eq_u32_e32 vcc, v16, v8
                                        ; implicit-def: $vgpr21
	s_and_saveexec_b64 s[38:39], vcc
; %bb.81:
	s_mov_b64 s[6:7], exec
	v_add_u32_e32 v21, v9, v15
; %bb.82:
	s_or_b64 exec, exec, s[38:39]
	s_and_b64 s[6:7], s[6:7], exec
.LBB56_83:
	s_or_saveexec_b64 s[8:9], s[8:9]
	v_mov_b64_e32 v[6:7], 0
	v_add_u32_e32 v16, v9, v20
	s_xor_b64 exec, exec, s[8:9]
	s_cbranch_execz .LBB56_85
; %bb.84:
	ds_read_b128 v[4:7], v16
	v_lshl_add_u32 v20, v13, 4, v43
	v_add_u32_e32 v21, 16, v20
	s_or_b64 s[6:7], s[6:7], exec
	s_waitcnt lgkmcnt(0)
	v_xor_b32_e32 v7, 0x80000000, v7
	ds_write_b64 v20, v[4:5] offset:16
.LBB56_85:
	s_or_b64 exec, exec, s[8:9]
	s_and_saveexec_b64 s[8:9], s[6:7]
; %bb.86:
	ds_write_b64 v21, v[6:7] offset:8
; %bb.87:
	s_or_b64 exec, exec, s[8:9]
	s_mov_b64 s[6:7], 0
                                        ; implicit-def: $vgpr20
	s_and_saveexec_b64 s[8:9], s[10:11]
	s_xor_b64 s[8:9], exec, s[8:9]
	s_cbranch_execnz .LBB56_111
; %bb.88:
	s_or_saveexec_b64 s[8:9], s[8:9]
	v_mov_b64_e32 v[6:7], 0
	s_xor_b64 exec, exec, s[8:9]
	s_cbranch_execnz .LBB56_114
.LBB56_89:
	s_or_b64 exec, exec, s[8:9]
	s_and_saveexec_b64 s[8:9], s[6:7]
.LBB56_90:
	ds_write_b64 v20, v[6:7] offset:8
.LBB56_91:
	s_or_b64 exec, exec, s[8:9]
	s_mov_b64 s[6:7], 0
                                        ; implicit-def: $vgpr17
	s_and_saveexec_b64 s[8:9], s[12:13]
	s_xor_b64 s[8:9], exec, s[8:9]
	s_cbranch_execnz .LBB56_115
; %bb.92:
	s_or_saveexec_b64 s[8:9], s[8:9]
	v_mov_b64_e32 v[6:7], 0
	s_xor_b64 exec, exec, s[8:9]
	s_cbranch_execnz .LBB56_118
.LBB56_93:
	s_or_b64 exec, exec, s[8:9]
	s_and_saveexec_b64 s[8:9], s[6:7]
.LBB56_94:
	ds_write_b64 v17, v[6:7] offset:8
.LBB56_95:
	s_or_b64 exec, exec, s[8:9]
	s_waitcnt lgkmcnt(0)
	s_barrier
	ds_read_b128 v[4:7], v19
	ds_read_b128 v[18:21], v45 offset:512
	ds_read_b128 v[22:25], v45 offset:528
	;; [unrolled: 1-line block ×5, first 2 shown]
	ds_read_b128 v[50:53], v16
	s_waitcnt lgkmcnt(5)
	v_mul_f64 v[34:35], v[20:21], v[6:7]
	v_mul_f64 v[6:7], v[18:19], v[6:7]
	v_fmac_f64_e32 v[6:7], v[20:21], v[4:5]
	v_fma_f64 v[34:35], v[18:19], v[4:5], -v[34:35]
	v_add_f64 v[20:21], v[6:7], 0
	ds_read_b128 v[4:7], v16 offset:528
	s_waitcnt lgkmcnt(1)
	v_mul_f64 v[16:17], v[24:25], v[52:53]
	v_fma_f64 v[16:17], v[22:23], v[50:51], -v[16:17]
	v_mul_f64 v[22:23], v[22:23], v[52:53]
	v_add_f64 v[18:19], v[34:35], 0
	v_fmac_f64_e32 v[22:23], v[24:25], v[50:51]
	v_add_f64 v[16:17], v[18:19], v[16:17]
	v_add_f64 v[18:19], v[20:21], v[22:23]
	s_waitcnt lgkmcnt(0)
	v_mul_f64 v[20:21], v[28:29], v[6:7]
	v_mul_f64 v[6:7], v[26:27], v[6:7]
	v_fma_f64 v[20:21], v[26:27], v[4:5], -v[20:21]
	v_fmac_f64_e32 v[6:7], v[28:29], v[4:5]
	v_add_f64 v[4:5], v[16:17], v[20:21]
	v_add_f64 v[6:7], v[18:19], v[6:7]
	v_mul_f64 v[16:17], v[32:33], v[48:49]
	v_mul_f64 v[18:19], v[30:31], v[48:49]
	v_fma_f64 v[16:17], v[30:31], v[46:47], -v[16:17]
	v_fmac_f64_e32 v[18:19], v[32:33], v[46:47]
	v_add_f64 v[4:5], v[4:5], v[16:17]
	v_add_f64 v[6:7], v[6:7], v[18:19]
	v_cmp_eq_u32_e64 s[6:7], 1, v12
	s_barrier
	ds_write_b128 v44, v[4:7]
	s_waitcnt lgkmcnt(0)
	s_barrier
	s_and_saveexec_b64 s[8:9], s[6:7]
	s_cbranch_execz .LBB56_97
; %bb.96:
	ds_read_b128 v[0:3], v43
	ds_read_b128 v[4:7], v43 offset:16
	ds_read_b128 v[16:19], v43 offset:32
	;; [unrolled: 1-line block ×3, first 2 shown]
	s_waitcnt lgkmcnt(2)
	v_add_f64 v[0:1], v[4:5], v[0:1]
	v_add_f64 v[4:5], v[6:7], v[2:3]
	s_waitcnt lgkmcnt(1)
	v_add_f64 v[6:7], v[0:1], v[16:17]
	ds_read_b128 v[0:3], v43 offset:64
	v_add_f64 v[4:5], v[4:5], v[18:19]
	s_waitcnt lgkmcnt(1)
	v_add_f64 v[16:17], v[6:7], v[20:21]
	v_add_f64 v[20:21], v[4:5], v[22:23]
	ds_read_b128 v[4:7], v43 offset:80
	s_waitcnt lgkmcnt(1)
	v_add_f64 v[22:23], v[16:17], v[0:1]
	ds_read_b128 v[16:19], v43 offset:96
	v_add_f64 v[20:21], v[20:21], v[2:3]
	ds_read_b128 v[0:3], v43 offset:112
	s_waitcnt lgkmcnt(2)
	v_add_f64 v[4:5], v[22:23], v[4:5]
	v_add_f64 v[6:7], v[20:21], v[6:7]
	s_waitcnt lgkmcnt(1)
	v_add_f64 v[4:5], v[4:5], v[16:17]
	v_add_f64 v[6:7], v[6:7], v[18:19]
	;; [unrolled: 3-line block ×3, first 2 shown]
.LBB56_97:
	s_or_b64 exec, exec, s[8:9]
	s_lshl_b64 s[8:9], s[18:19], 4
	v_mov_b32_e32 v4, s9
	v_subrev_co_u32_e64 v40, s[8:9], s8, v10
	s_and_b64 vcc, exec, s[14:15]
	s_nop 0
	v_subb_co_u32_e64 v41, s[8:9], v11, v4, s[8:9]
	s_barrier
	s_cbranch_vccnz .LBB56_119
; %bb.98:
	flat_load_dwordx4 v[4:7], v[40:41]
	s_lshl_b64 s[8:9], s[24:25], 7
	v_lshl_add_u64 v[10:11], v[40:41], 0, s[8:9]
	s_movk_i32 s10, 0x210
	s_waitcnt vmcnt(0) lgkmcnt(0)
	ds_write2_b64 v14, v[4:5], v[6:7] offset1:1
	flat_load_dwordx4 v[16:19], v[10:11]
	v_add_u32_e32 v6, 8, v12
	v_mad_u32_u24 v4, v6, s10, v9
	v_lshl_add_u64 v[10:11], v[10:11], 0, s[8:9]
	v_add_u32_e32 v7, 16, v12
	s_waitcnt vmcnt(0) lgkmcnt(0)
	ds_write2_b64 v4, v[16:17], v[18:19] offset1:1
	flat_load_dwordx4 v[16:19], v[10:11]
	v_mov_b32_e32 v4, 0x1080
	v_mad_u32_u24 v4, v6, s10, v4
	v_add_u32_e32 v5, v9, v4
	v_lshl_add_u64 v[10:11], v[10:11], 0, s[8:9]
	s_waitcnt vmcnt(0) lgkmcnt(0)
	ds_write2_b64 v5, v[16:17], v[18:19] offset1:1
	flat_load_dwordx4 v[16:19], v[10:11]
	v_mov_b32_e32 v11, 0x2100
	v_mad_u32_u24 v11, v6, s10, v11
	v_add_u32_e32 v10, 24, v12
	v_mul_u32_u24_e32 v5, 0x210, v6
	v_add_u32_e32 v15, v9, v11
	s_waitcnt vmcnt(0) lgkmcnt(0)
	ds_write2_b64 v15, v[16:17], v[18:19] offset1:1
	s_cbranch_execz .LBB56_120
	s_branch .LBB56_137
.LBB56_99:
	v_cmp_eq_u32_e32 vcc, v16, v8
                                        ; implicit-def: $vgpr7
	s_and_saveexec_b64 s[12:13], vcc
; %bb.100:
	s_mov_b64 s[4:5], exec
	v_add_u32_e32 v7, v9, v15
; %bb.101:
	s_or_b64 exec, exec, s[12:13]
	s_and_b64 s[4:5], s[4:5], exec
	s_or_saveexec_b64 s[10:11], s[10:11]
	v_mov_b64_e32 v[2:3], 0
	s_xor_b64 exec, exec, s[10:11]
	s_cbranch_execz .LBB56_39
.LBB56_102:
	s_movk_i32 s12, 0x210
	v_mad_u32_u24 v0, v16, s12, v9
	ds_read_b128 v[0:3], v0
	v_lshl_add_u32 v10, v13, 4, v6
	v_add_u32_e32 v7, 16, v10
	s_or_b64 s[4:5], s[4:5], exec
	s_waitcnt lgkmcnt(0)
	v_xor_b32_e32 v3, 0x80000000, v3
	ds_write_b64 v10, v[0:1] offset:16
	s_or_b64 exec, exec, s[10:11]
	s_and_saveexec_b64 s[10:11], s[4:5]
	s_cbranch_execnz .LBB56_40
	s_branch .LBB56_41
.LBB56_103:
	v_cmp_eq_u32_e32 vcc, v17, v8
                                        ; implicit-def: $vgpr7
	s_and_saveexec_b64 s[14:15], vcc
; %bb.104:
	s_mov_b64 s[4:5], exec
	v_add_u32_e32 v7, v9, v15
; %bb.105:
	s_or_b64 exec, exec, s[14:15]
	s_and_b64 s[4:5], s[4:5], exec
	s_or_saveexec_b64 s[12:13], s[12:13]
	v_mov_b64_e32 v[2:3], 0
	s_xor_b64 exec, exec, s[12:13]
	s_cbranch_execz .LBB56_43
.LBB56_106:
	s_movk_i32 s14, 0x210
	v_mad_u32_u24 v0, v17, s14, v9
	ds_read_b128 v[0:3], v0
	v_lshl_add_u32 v10, v13, 4, v6
	v_add_u32_e32 v7, 32, v10
	s_or_b64 s[4:5], s[4:5], exec
	s_waitcnt lgkmcnt(0)
	v_xor_b32_e32 v3, 0x80000000, v3
	ds_write_b64 v10, v[0:1] offset:32
	s_or_b64 exec, exec, s[12:13]
	s_and_saveexec_b64 s[12:13], s[4:5]
	s_cbranch_execnz .LBB56_44
	s_branch .LBB56_45
.LBB56_107:
	v_cmp_eq_u32_e32 vcc, v18, v8
                                        ; implicit-def: $vgpr7
	s_and_saveexec_b64 s[38:39], vcc
; %bb.108:
	s_mov_b64 s[4:5], exec
	v_add_u32_e32 v7, v9, v15
; %bb.109:
	s_or_b64 exec, exec, s[38:39]
	s_and_b64 s[4:5], s[4:5], exec
                                        ; implicit-def: $vgpr6
	s_or_saveexec_b64 s[14:15], s[14:15]
	v_mov_b64_e32 v[2:3], 0
	s_xor_b64 exec, exec, s[14:15]
	s_cbranch_execz .LBB56_47
.LBB56_110:
	s_movk_i32 s29, 0x210
	v_mad_u32_u24 v0, v18, s29, v9
	ds_read_b128 v[0:3], v0
	v_lshl_add_u32 v6, v13, 4, v6
	v_add_u32_e32 v7, 48, v6
	s_or_b64 s[4:5], s[4:5], exec
	s_waitcnt lgkmcnt(0)
	v_xor_b32_e32 v3, 0x80000000, v3
	ds_write_b64 v6, v[0:1] offset:48
	s_or_b64 exec, exec, s[14:15]
	s_and_saveexec_b64 s[14:15], s[4:5]
	s_cbranch_execnz .LBB56_48
	s_branch .LBB56_49
.LBB56_111:
	v_cmp_eq_u32_e32 vcc, v17, v8
                                        ; implicit-def: $vgpr20
	s_and_saveexec_b64 s[10:11], vcc
; %bb.112:
	s_mov_b64 s[6:7], exec
	v_add_u32_e32 v20, v9, v15
; %bb.113:
	s_or_b64 exec, exec, s[10:11]
	s_and_b64 s[6:7], s[6:7], exec
	s_or_saveexec_b64 s[8:9], s[8:9]
	v_mov_b64_e32 v[6:7], 0
	s_xor_b64 exec, exec, s[8:9]
	s_cbranch_execz .LBB56_89
.LBB56_114:
	ds_read_b128 v[4:7], v16 offset:528
	v_lshl_add_u32 v17, v13, 4, v43
	v_add_u32_e32 v20, 32, v17
	s_or_b64 s[6:7], s[6:7], exec
	s_waitcnt lgkmcnt(0)
	v_xor_b32_e32 v7, 0x80000000, v7
	ds_write_b64 v17, v[4:5] offset:32
	s_or_b64 exec, exec, s[8:9]
	s_and_saveexec_b64 s[8:9], s[6:7]
	s_cbranch_execnz .LBB56_90
	s_branch .LBB56_91
.LBB56_115:
	v_cmp_eq_u32_e32 vcc, v18, v8
                                        ; implicit-def: $vgpr17
	s_and_saveexec_b64 s[10:11], vcc
; %bb.116:
	s_mov_b64 s[6:7], exec
	v_add_u32_e32 v17, v9, v15
; %bb.117:
	s_or_b64 exec, exec, s[10:11]
	s_and_b64 s[6:7], s[6:7], exec
	s_or_saveexec_b64 s[8:9], s[8:9]
	v_mov_b64_e32 v[6:7], 0
	s_xor_b64 exec, exec, s[8:9]
	s_cbranch_execz .LBB56_93
.LBB56_118:
	ds_read_b128 v[4:7], v16 offset:1056
	v_lshl_add_u32 v15, v13, 4, v43
	v_add_u32_e32 v17, 48, v15
	s_or_b64 s[6:7], s[6:7], exec
	s_waitcnt lgkmcnt(0)
	v_xor_b32_e32 v7, 0x80000000, v7
	ds_write_b64 v15, v[4:5] offset:48
	s_or_b64 exec, exec, s[8:9]
	s_and_saveexec_b64 s[8:9], s[6:7]
	s_cbranch_execnz .LBB56_94
	s_branch .LBB56_95
.LBB56_119:
                                        ; implicit-def: $vgpr6
                                        ; implicit-def: $vgpr5
                                        ; implicit-def: $vgpr7
                                        ; implicit-def: $vgpr4
                                        ; implicit-def: $vgpr10
                                        ; implicit-def: $vgpr11
.LBB56_120:
	v_or_b32_e32 v6, 32, v8
	v_lshlrev_b32_e32 v4, 4, v6
	v_sub_co_u32_e32 v4, vcc, v40, v4
	s_ashr_i32 s29, s28, 31
	s_nop 0
	v_subbrev_co_u32_e32 v5, vcc, 0, v41, vcc
	v_lshl_add_u64 v[4:5], s[28:29], 4, v[4:5]
	v_lshl_add_u64 v[4:5], v[4:5], 0, -16
	v_cmp_gt_i32_e32 vcc, s28, v6
	v_cmp_le_i32_e64 s[8:9], s28, v12
	s_nop 0
	v_cndmask_b32_e32 v5, v5, v41, vcc
	v_cndmask_b32_e32 v4, v4, v40, vcc
	s_and_saveexec_b64 s[10:11], s[8:9]
	s_xor_b64 s[8:9], exec, s[10:11]
; %bb.121:
	v_mov_b32_e32 v16, 0
	v_mov_b32_e32 v17, v16
	;; [unrolled: 1-line block ×4, first 2 shown]
	ds_write_b128 v14, v[16:19]
; %bb.122:
	s_andn2_saveexec_b64 s[8:9], s[8:9]
	s_cbranch_execz .LBB56_124
; %bb.123:
	flat_load_dwordx4 v[16:19], v[4:5]
	s_waitcnt vmcnt(0) lgkmcnt(0)
	ds_write2_b64 v14, v[16:17], v[18:19] offset1:1
.LBB56_124:
	s_or_b64 exec, exec, s[8:9]
	v_add_u32_e32 v6, 8, v12
	v_cmp_le_i32_e64 s[8:9], s28, v6
	s_and_saveexec_b64 s[10:11], s[8:9]
	s_xor_b64 s[8:9], exec, s[10:11]
	s_cbranch_execz .LBB56_126
; %bb.125:
	s_movk_i32 s10, 0x210
	v_mov_b32_e32 v16, 0
	v_mad_u32_u24 v7, v6, s10, v9
	v_mov_b32_e32 v17, v16
	v_mov_b32_e32 v18, v16
	;; [unrolled: 1-line block ×3, first 2 shown]
	ds_write_b128 v7, v[16:19]
.LBB56_126:
	s_andn2_saveexec_b64 s[8:9], s[8:9]
	s_cbranch_execz .LBB56_128
; %bb.127:
	s_lshl_b64 s[10:11], s[24:25], 7
	v_lshl_add_u64 v[10:11], v[4:5], 0, s[10:11]
	flat_load_dwordx4 v[16:19], v[10:11]
	s_movk_i32 s10, 0x210
	v_mad_u32_u24 v7, v6, s10, v9
	s_waitcnt vmcnt(0) lgkmcnt(0)
	ds_write2_b64 v7, v[16:17], v[18:19] offset1:1
.LBB56_128:
	s_or_b64 exec, exec, s[8:9]
	v_add_u32_e32 v7, 16, v12
	v_cmp_le_i32_e64 s[8:9], s28, v7
	s_and_saveexec_b64 s[10:11], s[8:9]
	s_xor_b64 s[8:9], exec, s[10:11]
	s_cbranch_execz .LBB56_130
; %bb.129:
	s_movk_i32 s10, 0x210
	v_mov_b32_e32 v16, 0
	v_mad_u32_u24 v10, v7, s10, v9
	v_mov_b32_e32 v17, v16
	v_mov_b32_e32 v18, v16
	;; [unrolled: 1-line block ×3, first 2 shown]
	ds_write_b128 v10, v[16:19]
.LBB56_130:
	s_andn2_saveexec_b64 s[8:9], s[8:9]
	s_cbranch_execz .LBB56_132
; %bb.131:
	s_lshl_b64 s[10:11], s[24:25], 8
	v_lshl_add_u64 v[10:11], v[4:5], 0, s[10:11]
	flat_load_dwordx4 v[16:19], v[10:11]
	s_movk_i32 s10, 0x210
	v_mad_u32_u24 v10, v7, s10, v9
	s_waitcnt vmcnt(0) lgkmcnt(0)
	ds_write2_b64 v10, v[16:17], v[18:19] offset1:1
.LBB56_132:
	s_or_b64 exec, exec, s[8:9]
	v_add_u32_e32 v10, 24, v12
	v_cmp_le_i32_e64 s[8:9], s28, v10
                                        ; implicit-def: $vgpr11
	s_and_saveexec_b64 s[10:11], s[8:9]
	s_xor_b64 s[8:9], exec, s[10:11]
	s_cbranch_execz .LBB56_134
; %bb.133:
	s_movk_i32 s10, 0x210
	v_mov_b32_e32 v16, 0
	v_mul_u32_u24_e32 v11, 0x210, v10
	v_mad_u32_u24 v15, v10, s10, v9
	v_mov_b32_e32 v17, v16
	v_mov_b32_e32 v18, v16
	;; [unrolled: 1-line block ×3, first 2 shown]
	ds_write_b128 v15, v[16:19]
.LBB56_134:
	s_andn2_saveexec_b64 s[8:9], s[8:9]
	s_cbranch_execz .LBB56_136
; %bb.135:
	v_mov_b32_e32 v11, 0x180
	v_mad_u64_u32 v[16:17], s[10:11], s24, v11, v[4:5]
	s_mul_i32 s10, s25, 0x180
	s_nop 0
	v_add_u32_e32 v17, s10, v17
	flat_load_dwordx4 v[16:19], v[16:17]
	s_movk_i32 s10, 0x210
	v_mul_u32_u24_e32 v11, 0x210, v10
	v_mad_u32_u24 v15, v10, s10, v9
	s_waitcnt vmcnt(0) lgkmcnt(0)
	ds_write2_b64 v15, v[16:17], v[18:19] offset1:1
.LBB56_136:
	s_or_b64 exec, exec, s[8:9]
	v_lshlrev_b32_e32 v16, 4, v8
	v_mov_b32_e32 v17, 0
	v_lshl_add_u64 v[4:5], v[4:5], 0, v[16:17]
	s_lshl_b64 s[8:9], s[28:29], 4
	v_mov_b32_e32 v8, s9
	v_subrev_co_u32_e64 v4, s[8:9], s8, v4
	s_nop 1
	v_subb_co_u32_e64 v5, s[8:9], v5, v8, s[8:9]
	s_mov_b64 s[8:9], 0x210
	s_nop 0
	v_lshl_add_u64 v[4:5], v[4:5], 0, s[8:9]
	v_cndmask_b32_e32 v40, v4, v40, vcc
	s_movk_i32 s8, 0x210
	v_mov_b32_e32 v4, 0x1080
	v_cndmask_b32_e32 v41, v5, v41, vcc
	v_mul_u32_u24_e32 v5, 0x210, v6
	v_mad_u32_u24 v4, v6, s8, v4
.LBB56_137:
	v_lshlrev_b32_e32 v8, 4, v12
	s_waitcnt lgkmcnt(0)
	s_barrier
	ds_read_b128 v[20:23], v8 offset:18176
	ds_read_b128 v[24:27], v14
	v_add_u32_e32 v5, v9, v5
	v_lshlrev_b32_e32 v6, 4, v6
	ds_read_b128 v[46:49], v6 offset:18176
	ds_read_b128 v[50:53], v5
	v_lshlrev_b32_e32 v5, 4, v7
	v_add_u32_e32 v4, v9, v4
	ds_read_b128 v[54:57], v5 offset:18176
	ds_read_b128 v[58:61], v4
	v_lshlrev_b32_e32 v5, 4, v10
	v_add_u32_e32 v4, v9, v11
	ds_read_b128 v[62:65], v5 offset:18176
	ds_read2_b64 v[66:69], v4 offset1:1
	s_waitcnt lgkmcnt(6)
	v_mul_f64 v[14:15], v[22:23], v[26:27]
	v_fma_f64 v[14:15], v[20:21], v[24:25], -v[14:15]
	s_waitcnt lgkmcnt(4)
	v_mul_f64 v[16:17], v[48:49], v[52:53]
	v_add_f64 v[14:15], v[14:15], 0
	v_fma_f64 v[16:17], v[46:47], v[50:51], -v[16:17]
	s_waitcnt lgkmcnt(2)
	v_mul_f64 v[6:7], v[56:57], v[60:61]
	v_add_f64 v[4:5], v[14:15], v[16:17]
	v_fma_f64 v[6:7], v[54:55], v[58:59], -v[6:7]
	v_add_f64 v[4:5], v[4:5], v[6:7]
	s_waitcnt lgkmcnt(0)
	v_mul_f64 v[6:7], v[64:65], v[68:69]
	v_fma_f64 v[6:7], v[62:63], v[66:67], -v[6:7]
	v_add_f64 v[70:71], v[4:5], v[6:7]
	v_lshl_add_u32 v4, v13, 4, v43
	v_mul_f64 v[72:73], v[20:21], v[26:27]
	ds_read_b128 v[28:31], v4
	ds_read_b128 v[16:19], v4 offset:16
	ds_read_b128 v[8:11], v4 offset:32
	;; [unrolled: 1-line block ×3, first 2 shown]
	v_fmac_f64_e32 v[72:73], v[22:23], v[24:25]
	v_mul_f64 v[46:47], v[46:47], v[52:53]
	v_fmac_f64_e32 v[46:47], v[48:49], v[50:51]
	v_add_f64 v[48:49], v[72:73], 0
	ds_read_b128 v[32:35], v45 offset:512
	ds_read_b128 v[24:27], v45 offset:528
	;; [unrolled: 1-line block ×4, first 2 shown]
	v_add_f64 v[46:47], v[48:49], v[46:47]
	v_mul_f64 v[48:49], v[54:55], v[60:61]
	v_fmac_f64_e32 v[48:49], v[56:57], v[58:59]
	v_add_f64 v[46:47], v[46:47], v[48:49]
	v_mul_f64 v[48:49], v[62:63], v[68:69]
	v_fmac_f64_e32 v[48:49], v[64:65], v[66:67]
	v_add_f64 v[72:73], v[46:47], v[48:49]
	s_waitcnt lgkmcnt(0)
	s_barrier
	ds_write_b128 v44, v[70:73]
	s_waitcnt lgkmcnt(0)
	s_barrier
	s_and_saveexec_b64 s[8:9], s[6:7]
	s_cbranch_execz .LBB56_139
; %bb.138:
	ds_read_b128 v[46:49], v43
	ds_read_b128 v[50:53], v43 offset:16
	ds_read_b128 v[54:57], v43 offset:32
	;; [unrolled: 1-line block ×3, first 2 shown]
	s_waitcnt lgkmcnt(3)
	v_add_f64 v[0:1], v[0:1], v[46:47]
	v_add_f64 v[2:3], v[2:3], v[48:49]
	s_waitcnt lgkmcnt(2)
	v_add_f64 v[0:1], v[0:1], v[50:51]
	v_add_f64 v[46:47], v[2:3], v[52:53]
	s_waitcnt lgkmcnt(1)
	v_add_f64 v[48:49], v[0:1], v[54:55]
	ds_read_b128 v[0:3], v43 offset:64
	v_add_f64 v[46:47], v[46:47], v[56:57]
	s_waitcnt lgkmcnt(1)
	v_add_f64 v[50:51], v[48:49], v[58:59]
	v_add_f64 v[54:55], v[46:47], v[60:61]
	ds_read_b128 v[46:49], v43 offset:80
	s_waitcnt lgkmcnt(1)
	v_add_f64 v[56:57], v[50:51], v[0:1]
	ds_read_b128 v[50:53], v43 offset:96
	v_add_f64 v[54:55], v[54:55], v[2:3]
	ds_read_b128 v[0:3], v43 offset:112
	s_waitcnt lgkmcnt(2)
	v_add_f64 v[46:47], v[56:57], v[46:47]
	v_add_f64 v[48:49], v[54:55], v[48:49]
	s_waitcnt lgkmcnt(1)
	v_add_f64 v[46:47], v[46:47], v[50:51]
	v_add_f64 v[48:49], v[48:49], v[52:53]
	;; [unrolled: 3-line block ×3, first 2 shown]
.LBB56_139:
	s_or_b64 exec, exec, s[8:9]
	v_mul_f64 v[46:47], v[30:31], v[34:35]
	v_mul_f64 v[30:31], v[30:31], v[32:33]
	v_fmac_f64_e32 v[46:47], v[28:29], v[32:33]
	v_fma_f64 v[28:29], v[28:29], v[34:35], -v[30:31]
	v_mul_f64 v[32:33], v[18:19], v[26:27]
	v_mul_f64 v[18:19], v[18:19], v[24:25]
	v_add_f64 v[28:29], v[28:29], 0
	v_fmac_f64_e32 v[32:33], v[16:17], v[24:25]
	v_fma_f64 v[16:17], v[16:17], v[26:27], -v[18:19]
	v_mul_f64 v[24:25], v[10:11], v[22:23]
	v_mul_f64 v[10:11], v[10:11], v[20:21]
	v_add_f64 v[30:31], v[46:47], 0
	v_add_f64 v[16:17], v[28:29], v[16:17]
	v_fmac_f64_e32 v[24:25], v[8:9], v[20:21]
	v_fma_f64 v[8:9], v[8:9], v[22:23], -v[10:11]
	v_add_f64 v[18:19], v[30:31], v[32:33]
	v_add_f64 v[8:9], v[16:17], v[8:9]
	v_mul_f64 v[16:17], v[6:7], v[14:15]
	v_mul_f64 v[6:7], v[6:7], v[12:13]
	v_add_f64 v[10:11], v[18:19], v[24:25]
	v_fmac_f64_e32 v[16:17], v[4:5], v[12:13]
	v_fma_f64 v[6:7], v[4:5], v[14:15], -v[6:7]
	v_add_f64 v[4:5], v[10:11], v[16:17]
	v_add_f64 v[6:7], v[8:9], v[6:7]
	s_barrier
	ds_write_b128 v44, v[4:7]
	s_waitcnt lgkmcnt(0)
	s_barrier
	s_and_saveexec_b64 s[6:7], s[4:5]
	s_cbranch_execz .LBB56_141
; %bb.140:
	ds_read_b128 v[4:7], v43
	ds_read_b128 v[8:11], v43 offset:16
	ds_read_b128 v[12:15], v43 offset:32
	;; [unrolled: 1-line block ×3, first 2 shown]
	s_waitcnt lgkmcnt(3)
	v_add_f64 v[0:1], v[0:1], v[4:5]
	v_add_f64 v[2:3], v[2:3], v[6:7]
	s_waitcnt lgkmcnt(2)
	v_add_f64 v[0:1], v[0:1], v[8:9]
	v_add_f64 v[4:5], v[2:3], v[10:11]
	s_waitcnt lgkmcnt(1)
	v_add_f64 v[6:7], v[0:1], v[12:13]
	ds_read_b128 v[0:3], v43 offset:64
	v_add_f64 v[4:5], v[4:5], v[14:15]
	s_waitcnt lgkmcnt(1)
	v_add_f64 v[8:9], v[6:7], v[16:17]
	v_add_f64 v[12:13], v[4:5], v[18:19]
	ds_read_b128 v[4:7], v43 offset:80
	s_waitcnt lgkmcnt(1)
	v_add_f64 v[14:15], v[8:9], v[0:1]
	ds_read_b128 v[8:11], v43 offset:96
	v_add_f64 v[12:13], v[12:13], v[2:3]
	ds_read_b128 v[0:3], v43 offset:112
	s_waitcnt lgkmcnt(2)
	v_add_f64 v[4:5], v[14:15], v[4:5]
	v_add_f64 v[6:7], v[12:13], v[6:7]
	s_waitcnt lgkmcnt(1)
	v_add_f64 v[4:5], v[4:5], v[8:9]
	v_add_f64 v[6:7], v[6:7], v[10:11]
	;; [unrolled: 3-line block ×3, first 2 shown]
.LBB56_141:
	s_or_b64 exec, exec, s[6:7]
	s_mul_hi_u32 s4, s23, s22
	s_mul_i32 s33, s33, s22
	s_add_i32 s4, s4, s33
	s_mul_i32 s6, s23, s22
	s_mul_i32 s4, s4, s3
	s_mul_hi_u32 s5, s6, s3
	s_add_i32 s5, s5, s4
	s_mul_i32 s4, s6, s3
	s_lshl_b64 s[4:5], s[4:5], 4
	s_add_u32 s3, s26, s4
	s_mul_i32 s4, s23, s2
	s_addc_u32 s7, s27, s5
	s_ashr_i32 s5, s4, 31
	s_lshl_b64 s[4:5], s[4:5], 4
	s_add_u32 s6, s3, s4
	v_cmp_le_i32_e32 vcc, s28, v159
	s_addc_u32 s7, s7, s5
	s_and_b64 vcc, s[36:37], vcc
	s_cmp_lt_i32 s2, 1
	v_lshlrev_b32_e32 v150, 4, v159
	s_barrier
	s_cbranch_scc1 .LBB56_148
; %bb.142:
	s_mul_i32 s3, s20, s31
	s_mul_hi_u32 s4, s20, s30
	s_add_i32 s3, s4, s3
	s_mul_i32 s4, s21, s30
	s_add_i32 s5, s3, s4
	s_mul_i32 s4, s20, s30
	s_lshl_b64 s[4:5], s[4:5], 4
	v_mov_b32_e32 v4, s5
	v_subrev_co_u32_e64 v152, s[4:5], s4, v36
	v_lshlrev_b64 v[6:7], 4, v[38:39]
	s_nop 0
	v_subb_co_u32_e64 v153, s[4:5], v37, v4, s[4:5]
	s_lshl_b64 s[4:5], s[34:35], 4
	s_nop 0
	v_mov_b32_e32 v5, s5
	v_subrev_co_u32_e64 v4, s[4:5], s4, v40
	v_lshlrev_b32_e32 v9, 2, v158
	s_nop 0
	v_subb_co_u32_e64 v5, s[4:5], v41, v5, s[4:5]
	s_movk_i32 s4, 0xfe00
	s_mov_b32 s5, -1
	v_lshl_add_u64 v[4:5], v[4:5], 0, s[4:5]
	v_sub_co_u32_e64 v4, s[4:5], v4, v6
	s_ashr_i32 s29, s28, 31
	s_nop 0
	v_subb_co_u32_e64 v5, s[4:5], v5, v7, s[4:5]
	v_mad_u64_u32 v[6:7], s[4:5], s24, v9, 0
	v_mov_b32_e32 v8, v7
	v_mad_u64_u32 v[8:9], s[4:5], s25, v9, v[8:9]
	v_mov_b32_e32 v7, v8
	v_lshl_add_u64 v[4:5], v[6:7], 4, v[4:5]
	v_mov_b32_e32 v155, 0
	v_lshl_add_u64 v[6:7], s[28:29], 4, v[4:5]
	v_mov_b32_e32 v151, v155
	v_lshl_add_u64 v[6:7], v[6:7], 0, -16
	v_lshl_add_u64 v[4:5], v[4:5], 0, v[150:151]
	v_cndmask_b32_e32 v9, v5, v7, vcc
	s_movk_i32 s3, 0x10c0
	v_and_b32_e32 v5, 48, v159
	v_lshrrev_b32_e32 v10, 4, v42
	v_and_b32_e32 v11, 15, v159
	v_cndmask_b32_e32 v8, v4, v6, vcc
	v_mov_b32_e32 v4, 0x4300
	v_mad_u32_u24 v162, v158, s3, v150
	s_movk_i32 s3, 0x430
	v_lshlrev_b32_e32 v5, 4, v5
	v_lshl_add_u32 v160, v158, 6, v4
	v_lshlrev_b32_e32 v4, 6, v10
	v_mad_u32_u24 v164, v11, s3, v5
	v_or_b32_e32 v5, 0xf0, v150
	v_mad_u32_u24 v163, v11, s3, v4
	v_mul_i32_i24_e32 v4, 0xffffffd0, v10
	v_mad_u32_u24 v165, v11, s3, v5
	s_mul_i32 s3, s25, 0xd0
	s_mul_hi_u32 s10, s24, 0xd0
	v_add_u32_e32 v151, 0x4300, v150
	v_add_u32_e32 v161, 0x4700, v150
	v_cmp_gt_u32_e64 s[4:5], 64, v42
	s_lshl_b64 s[8:9], s[24:25], 4
	s_add_i32 s11, s10, s3
	s_mul_i32 s10, s24, 0xd0
	s_mov_b32 s3, 0
	v_add_u32_e32 v166, v163, v4
	s_branch .LBB56_144
.LBB56_143:                             ;   in Loop: Header=BB56_144 Depth=1
	s_or_b64 exec, exec, s[12:13]
	v_mul_f64 v[132:133], v[6:7], v[34:35]
	v_fma_f64 v[132:133], v[4:5], v[32:33], -v[132:133]
	v_mul_f64 v[4:5], v[4:5], v[34:35]
	v_mul_f64 v[34:35], v[10:11], v[30:31]
	v_add_f64 v[0:1], v[0:1], v[132:133]
	v_fma_f64 v[34:35], v[8:9], v[28:29], -v[34:35]
	v_mul_f64 v[8:9], v[8:9], v[30:31]
	v_mul_f64 v[30:31], v[14:15], v[26:27]
	v_add_f64 v[0:1], v[0:1], v[34:35]
	v_fma_f64 v[30:31], v[12:13], v[24:25], -v[30:31]
	v_mul_f64 v[12:13], v[12:13], v[26:27]
	v_mul_f64 v[26:27], v[18:19], v[22:23]
	v_fmac_f64_e32 v[4:5], v[6:7], v[32:33]
	v_add_f64 v[0:1], v[0:1], v[30:31]
	v_fma_f64 v[26:27], v[16:17], v[20:21], -v[26:27]
	v_add_f64 v[2:3], v[2:3], v[4:5]
	v_mul_f64 v[4:5], v[38:39], v[70:71]
	v_add_f64 v[0:1], v[0:1], v[26:27]
	v_fma_f64 v[4:5], v[36:37], v[68:69], -v[4:5]
	v_add_f64 v[0:1], v[0:1], v[4:5]
	v_mul_f64 v[4:5], v[42:43], v[66:67]
	v_fma_f64 v[4:5], v[40:41], v[64:65], -v[4:5]
	v_add_f64 v[0:1], v[0:1], v[4:5]
	v_mul_f64 v[4:5], v[46:47], v[58:59]
	;; [unrolled: 3-line block ×4, first 2 shown]
	v_fmac_f64_e32 v[8:9], v[10:11], v[28:29]
	v_fma_f64 v[4:5], v[60:61], v[108:109], -v[4:5]
	v_mul_f64 v[16:17], v[16:17], v[22:23]
	v_add_f64 v[2:3], v[2:3], v[8:9]
	v_fmac_f64_e32 v[12:13], v[14:15], v[24:25]
	v_add_f64 v[0:1], v[0:1], v[4:5]
	v_mul_f64 v[4:5], v[74:75], v[106:107]
	v_add_f64 v[2:3], v[2:3], v[12:13]
	v_fmac_f64_e32 v[16:17], v[18:19], v[20:21]
	v_mul_f64 v[6:7], v[36:37], v[70:71]
	v_fma_f64 v[4:5], v[72:73], v[104:105], -v[4:5]
	v_add_f64 v[2:3], v[2:3], v[16:17]
	v_mul_f64 v[8:9], v[40:41], v[66:67]
	v_fmac_f64_e32 v[6:7], v[38:39], v[68:69]
	v_add_f64 v[0:1], v[0:1], v[4:5]
	v_mul_f64 v[4:5], v[78:79], v[98:99]
	v_mul_f64 v[10:11], v[44:45], v[58:59]
	v_add_f64 v[2:3], v[2:3], v[6:7]
	v_fmac_f64_e32 v[8:9], v[42:43], v[64:65]
	v_fma_f64 v[4:5], v[76:77], v[96:97], -v[4:5]
	v_mul_f64 v[12:13], v[48:49], v[54:55]
	v_add_f64 v[2:3], v[2:3], v[8:9]
	v_fmac_f64_e32 v[10:11], v[46:47], v[56:57]
	v_add_f64 v[0:1], v[0:1], v[4:5]
	v_mul_f64 v[4:5], v[82:83], v[86:87]
	v_add_f64 v[2:3], v[2:3], v[10:11]
	v_fmac_f64_e32 v[12:13], v[50:51], v[52:53]
	v_mul_f64 v[6:7], v[60:61], v[110:111]
	v_fma_f64 v[4:5], v[80:81], v[84:85], -v[4:5]
	v_add_f64 v[2:3], v[2:3], v[12:13]
	v_mul_f64 v[8:9], v[72:73], v[106:107]
	v_add_f64 v[0:1], v[0:1], v[4:5]
	v_fmac_f64_e32 v[6:7], v[62:63], v[108:109]
	v_mul_f64 v[4:5], v[90:91], v[118:119]
	v_mul_f64 v[10:11], v[76:77], v[98:99]
	v_add_f64 v[2:3], v[2:3], v[6:7]
	v_fmac_f64_e32 v[8:9], v[74:75], v[104:105]
	v_fma_f64 v[4:5], v[88:89], v[116:117], -v[4:5]
	v_mul_f64 v[12:13], v[80:81], v[86:87]
	v_add_f64 v[2:3], v[2:3], v[8:9]
	v_fmac_f64_e32 v[10:11], v[78:79], v[96:97]
	v_add_f64 v[0:1], v[0:1], v[4:5]
	v_mul_f64 v[4:5], v[94:95], v[122:123]
	v_add_f64 v[2:3], v[2:3], v[10:11]
	v_fmac_f64_e32 v[12:13], v[82:83], v[84:85]
	v_mul_f64 v[6:7], v[88:89], v[118:119]
	v_fma_f64 v[4:5], v[92:93], v[120:121], -v[4:5]
	v_add_f64 v[2:3], v[2:3], v[12:13]
	v_mul_f64 v[8:9], v[92:93], v[122:123]
	v_add_f64 v[0:1], v[0:1], v[4:5]
	v_mul_f64 v[4:5], v[102:103], v[126:127]
	v_fmac_f64_e32 v[6:7], v[90:91], v[116:117]
	v_fma_f64 v[4:5], v[100:101], v[124:125], -v[4:5]
	v_mul_f64 v[10:11], v[100:101], v[126:127]
	v_fmac_f64_e32 v[8:9], v[94:95], v[120:121]
	v_add_f64 v[2:3], v[2:3], v[6:7]
	v_add_f64 v[0:1], v[0:1], v[4:5]
	v_mul_f64 v[4:5], v[114:115], v[130:131]
	v_mul_f64 v[12:13], v[112:113], v[130:131]
	v_fmac_f64_e32 v[10:11], v[102:103], v[124:125]
	v_add_f64 v[2:3], v[2:3], v[8:9]
	v_fma_f64 v[4:5], v[112:113], v[128:129], -v[4:5]
	v_fmac_f64_e32 v[12:13], v[114:115], v[128:129]
	v_add_f64 v[2:3], v[2:3], v[10:11]
	s_add_i32 s3, s3, 64
	s_add_i32 s2, s2, -1
	v_add_f64 v[0:1], v[0:1], v[4:5]
	v_add_f64 v[2:3], v[2:3], v[12:13]
	s_cmp_eq_u32 s2, 0
	v_lshl_add_u64 v[8:9], v[156:157], 0, s[10:11]
	s_barrier
	s_cbranch_scc1 .LBB56_148
.LBB56_144:                             ; =>This Inner Loop Header: Depth=1
	s_and_saveexec_b64 s[12:13], s[16:17]
	s_cbranch_execz .LBB56_146
; %bb.145:                              ;   in Loop: Header=BB56_144 Depth=1
	s_mul_i32 s14, s21, s3
	s_mul_hi_u32 s15, s20, s3
	s_add_i32 s15, s15, s14
	s_mul_i32 s14, s20, s3
	v_lshl_add_u64 v[4:5], s[14:15], 4, v[152:153]
	flat_load_dwordx4 v[4:7], v[4:5]
	s_waitcnt vmcnt(0) lgkmcnt(0)
	ds_write2_b64 v151, v[4:5], v[6:7] offset1:1
.LBB56_146:                             ;   in Loop: Header=BB56_144 Depth=1
	s_or_b64 exec, exec, s[12:13]
	v_lshl_add_u64 v[12:13], v[8:9], 0, s[8:9]
	s_waitcnt lgkmcnt(0)
	s_barrier
	flat_load_dwordx4 v[4:7], v[8:9]
	v_lshl_add_u64 v[16:17], v[12:13], 0, s[8:9]
	flat_load_dwordx4 v[8:11], v[12:13]
	v_lshl_add_u64 v[40:41], v[16:17], 0, s[8:9]
	;; [unrolled: 2-line block ×3, first 2 shown]
	flat_load_dwordx4 v[16:19], v[40:41]
	ds_read_b128 v[36:39], v161
	ds_read_b128 v[32:35], v160
	ds_read_b128 v[28:31], v160 offset:16
	ds_read_b128 v[24:27], v160 offset:32
	;; [unrolled: 1-line block ×3, first 2 shown]
	s_waitcnt vmcnt(0) lgkmcnt(0)
	v_mul_f64 v[40:41], v[6:7], v[38:39]
	v_mul_f64 v[42:43], v[6:7], v[36:37]
	;; [unrolled: 1-line block ×4, first 2 shown]
	v_fmac_f64_e32 v[44:45], v[8:9], v[36:37]
	v_fma_f64 v[46:47], v[8:9], v[38:39], -v[46:47]
	v_fmac_f64_e32 v[40:41], v[4:5], v[36:37]
	v_fma_f64 v[42:43], v[4:5], v[38:39], -v[42:43]
	ds_write_b128 v162, v[44:47] offset:1072
	v_mul_f64 v[44:45], v[18:19], v[38:39]
	v_mul_f64 v[46:47], v[18:19], v[36:37]
	ds_write_b128 v162, v[40:43]
	v_mul_f64 v[40:41], v[14:15], v[38:39]
	v_mul_f64 v[42:43], v[14:15], v[36:37]
	v_fmac_f64_e32 v[44:45], v[16:17], v[36:37]
	v_fma_f64 v[46:47], v[16:17], v[38:39], -v[46:47]
	v_fmac_f64_e32 v[40:41], v[12:13], v[36:37]
	v_fma_f64 v[42:43], v[12:13], v[38:39], -v[42:43]
	ds_write_b128 v162, v[44:47] offset:3216
	v_lshl_add_u64 v[44:45], v[48:49], 0, s[8:9]
	ds_write_b128 v162, v[40:43] offset:2144
	s_waitcnt lgkmcnt(0)
	s_barrier
	ds_read_b128 v[128:131], v163
	ds_read_b128 v[124:127], v163 offset:16
	ds_read_b128 v[120:123], v163 offset:32
	;; [unrolled: 1-line block ×3, first 2 shown]
	s_waitcnt lgkmcnt(0)
	s_barrier
	flat_load_dwordx4 v[36:39], v[48:49]
	flat_load_dwordx4 v[40:43], v[44:45]
	v_lshl_add_u64 v[48:49], v[44:45], 0, s[8:9]
	v_lshl_add_u64 v[52:53], v[48:49], 0, s[8:9]
	flat_load_dwordx4 v[44:47], v[48:49]
	v_lshl_add_u64 v[88:89], v[52:53], 0, s[10:11]
	flat_load_dwordx4 v[48:51], v[52:53]
	ds_read_b128 v[60:63], v161
	ds_read_b128 v[68:71], v160 offset:256
	ds_read_b128 v[64:67], v160 offset:272
	;; [unrolled: 1-line block ×4, first 2 shown]
	v_add_f64 v[128:129], v[128:129], 0
	v_add_f64 v[130:131], v[130:131], 0
	;; [unrolled: 1-line block ×8, first 2 shown]
	s_waitcnt vmcnt(0) lgkmcnt(0)
	v_mul_f64 v[72:73], v[38:39], v[62:63]
	v_mul_f64 v[74:75], v[38:39], v[60:61]
	;; [unrolled: 1-line block ×8, first 2 shown]
	v_fma_f64 v[74:75], v[36:37], v[62:63], -v[74:75]
	v_fmac_f64_e32 v[72:73], v[36:37], v[60:61]
	v_fmac_f64_e32 v[76:77], v[40:41], v[60:61]
	v_fma_f64 v[78:79], v[40:41], v[62:63], -v[78:79]
	v_fma_f64 v[82:83], v[44:45], v[62:63], -v[82:83]
	v_fma_f64 v[86:87], v[48:49], v[62:63], -v[86:87]
	v_fmac_f64_e32 v[80:81], v[44:45], v[60:61]
	v_fmac_f64_e32 v[84:85], v[48:49], v[60:61]
	ds_write_b128 v162, v[72:75]
	ds_write_b128 v162, v[76:79] offset:1072
	ds_write_b128 v162, v[80:83] offset:2144
	ds_write_b128 v162, v[84:87] offset:3216
	v_lshl_add_u64 v[76:77], v[88:89], 0, s[8:9]
	v_lshl_add_u64 v[80:81], v[76:77], 0, s[8:9]
	s_waitcnt lgkmcnt(0)
	s_barrier
	ds_read_b128 v[144:147], v163
	ds_read_b128 v[140:143], v163 offset:16
	ds_read_b128 v[136:139], v163 offset:32
	;; [unrolled: 1-line block ×3, first 2 shown]
	s_waitcnt lgkmcnt(0)
	s_barrier
	flat_load_dwordx4 v[60:63], v[88:89]
	flat_load_dwordx4 v[72:75], v[76:77]
	v_lshl_add_u64 v[84:85], v[80:81], 0, s[8:9]
	flat_load_dwordx4 v[76:79], v[80:81]
	v_lshl_add_u64 v[156:157], v[84:85], 0, s[10:11]
	flat_load_dwordx4 v[80:83], v[84:85]
	ds_read_b128 v[88:91], v161
	ds_read_b128 v[108:111], v160 offset:512
	ds_read_b128 v[104:107], v160 offset:528
	;; [unrolled: 1-line block ×4, first 2 shown]
	v_add_f64 v[116:117], v[144:145], 0
	v_add_f64 v[118:119], v[146:147], 0
	;; [unrolled: 1-line block ×8, first 2 shown]
	s_waitcnt vmcnt(0) lgkmcnt(0)
	v_mul_f64 v[94:95], v[62:63], v[88:89]
	v_mul_f64 v[92:93], v[62:63], v[90:91]
	;; [unrolled: 1-line block ×8, first 2 shown]
	v_fma_f64 v[94:95], v[60:61], v[90:91], -v[94:95]
	v_fmac_f64_e32 v[92:93], v[60:61], v[88:89]
	v_fmac_f64_e32 v[100:101], v[72:73], v[88:89]
	v_fma_f64 v[102:103], v[72:73], v[90:91], -v[102:103]
	v_fma_f64 v[114:115], v[76:77], v[90:91], -v[114:115]
	;; [unrolled: 1-line block ×3, first 2 shown]
	v_fmac_f64_e32 v[112:113], v[76:77], v[88:89]
	v_fmac_f64_e32 v[168:169], v[80:81], v[88:89]
	ds_write_b128 v162, v[92:95]
	ds_write_b128 v162, v[100:103] offset:1072
	ds_write_b128 v162, v[112:115] offset:2144
	;; [unrolled: 1-line block ×3, first 2 shown]
	v_lshl_add_u64 v[100:101], v[156:157], 0, s[8:9]
	v_lshl_add_u64 v[112:113], v[100:101], 0, s[8:9]
	s_waitcnt lgkmcnt(0)
	s_barrier
	ds_read_b128 v[168:171], v163
	ds_read_b128 v[172:175], v163 offset:16
	ds_read_b128 v[176:179], v163 offset:32
	;; [unrolled: 1-line block ×3, first 2 shown]
	s_waitcnt lgkmcnt(0)
	s_barrier
	flat_load_dwordx4 v[88:91], v[156:157]
	flat_load_dwordx4 v[92:95], v[100:101]
	v_lshl_add_u64 v[156:157], v[112:113], 0, s[8:9]
	flat_load_dwordx4 v[100:103], v[112:113]
	v_add_f64 v[140:141], v[168:169], 0
	flat_load_dwordx4 v[112:115], v[156:157]
	ds_read_b128 v[136:139], v161
	ds_read_b128 v[116:119], v160 offset:768
	ds_read_b128 v[120:123], v160 offset:784
	;; [unrolled: 1-line block ×4, first 2 shown]
	v_add_f64 v[142:143], v[170:171], 0
	v_add_f64 v[140:141], v[140:141], v[172:173]
	;; [unrolled: 1-line block ×7, first 2 shown]
	s_waitcnt vmcnt(0) lgkmcnt(0)
	v_mul_f64 v[146:147], v[90:91], v[136:137]
	v_mul_f64 v[144:145], v[90:91], v[138:139]
	;; [unrolled: 1-line block ×8, first 2 shown]
	v_fma_f64 v[146:147], v[88:89], v[138:139], -v[146:147]
	v_fma_f64 v[170:171], v[92:93], v[138:139], -v[170:171]
	;; [unrolled: 1-line block ×3, first 2 shown]
	v_fmac_f64_e32 v[144:145], v[88:89], v[136:137]
	v_fmac_f64_e32 v[168:169], v[92:93], v[136:137]
	;; [unrolled: 1-line block ×3, first 2 shown]
	v_fma_f64 v[178:179], v[112:113], v[138:139], -v[178:179]
	v_fmac_f64_e32 v[176:177], v[112:113], v[136:137]
	ds_write_b128 v162, v[144:147]
	ds_write_b128 v162, v[168:171] offset:1072
	ds_write_b128 v162, v[172:175] offset:2144
	;; [unrolled: 1-line block ×3, first 2 shown]
	s_waitcnt lgkmcnt(0)
	s_barrier
	ds_read_b128 v[136:139], v163
	ds_read_b128 v[144:147], v163 offset:16
	ds_read_b128 v[168:171], v163 offset:32
	;; [unrolled: 1-line block ×3, first 2 shown]
	s_waitcnt lgkmcnt(0)
	s_barrier
	ds_write_b128 v166, v[184:187]
	ds_write_b128 v166, v[132:135] offset:256
	ds_write_b128 v166, v[140:143] offset:512
	v_add_f64 v[132:133], v[136:137], 0
	v_add_f64 v[134:135], v[138:139], 0
	;; [unrolled: 1-line block ×8, first 2 shown]
	ds_write_b128 v166, v[132:135] offset:768
	s_waitcnt lgkmcnt(0)
	s_barrier
	s_and_saveexec_b64 s[12:13], s[4:5]
	s_cbranch_execz .LBB56_143
; %bb.147:                              ;   in Loop: Header=BB56_144 Depth=1
	ds_read_b128 v[132:135], v164
	ds_read_b128 v[136:139], v164 offset:16
	ds_read_b128 v[140:143], v164 offset:32
	;; [unrolled: 1-line block ×3, first 2 shown]
	v_add_u32_e32 v154, s3, v159
	s_waitcnt lgkmcnt(2)
	v_add_f64 v[132:133], v[136:137], v[132:133]
	v_add_f64 v[136:137], v[138:139], v[134:135]
	s_waitcnt lgkmcnt(1)
	v_add_f64 v[138:139], v[132:133], v[140:141]
	ds_read_b128 v[132:135], v164 offset:64
	v_add_f64 v[140:141], v[136:137], v[142:143]
	s_waitcnt lgkmcnt(1)
	v_add_f64 v[142:143], v[138:139], v[144:145]
	ds_read_b128 v[136:139], v164 offset:80
	;; [unrolled: 4-line block ×9, first 2 shown]
	v_add_f64 v[134:135], v[144:145], v[134:135]
	s_waitcnt lgkmcnt(1)
	v_add_f64 v[136:137], v[132:133], v[136:137]
	v_add_f64 v[144:145], v[134:135], v[138:139]
	ds_read_b128 v[132:135], v164 offset:208
	s_waitcnt lgkmcnt(1)
	v_add_f64 v[146:147], v[136:137], v[140:141]
	ds_read_b128 v[136:139], v164 offset:224
	v_add_f64 v[144:145], v[144:145], v[142:143]
	ds_read_b128 v[140:143], v165
	s_waitcnt lgkmcnt(2)
	v_add_f64 v[132:133], v[146:147], v[132:133]
	v_add_f64 v[134:135], v[144:145], v[134:135]
	s_waitcnt lgkmcnt(1)
	v_add_f64 v[132:133], v[132:133], v[136:137]
	v_add_f64 v[134:135], v[134:135], v[138:139]
	;; [unrolled: 3-line block ×3, first 2 shown]
	v_lshl_add_u64 v[136:137], v[154:155], 4, s[6:7]
	global_store_dwordx4 v[136:137], v[132:135], off
	s_branch .LBB56_143
.LBB56_148:
	s_movk_i32 s2, 0x430
	v_mad_u32_u24 v4, v158, s2, v150
	s_nor_b64 s[0:1], s[0:1], vcc
	ds_write_b128 v4, v[0:3]
	s_waitcnt lgkmcnt(0)
	s_barrier
	s_and_saveexec_b64 s[2:3], s[0:1]
	s_cbranch_execz .LBB56_150
; %bb.149:
	ds_read_b128 v[0:3], v150 offset:1072
	ds_read_b128 v[4:7], v150
	ds_read_b128 v[8:11], v150 offset:2144
	ds_read_b128 v[12:15], v150 offset:3216
	s_waitcnt lgkmcnt(2)
	v_add_f64 v[0:1], v[0:1], v[4:5]
	v_add_f64 v[2:3], v[2:3], v[6:7]
	s_waitcnt lgkmcnt(1)
	v_add_f64 v[0:1], v[0:1], v[8:9]
	v_add_f64 v[2:3], v[2:3], v[10:11]
	;; [unrolled: 3-line block ×3, first 2 shown]
	v_lshl_add_u64 v[4:5], v[148:149], 4, s[6:7]
	global_store_dwordx4 v[4:5], v[0:3], off
.LBB56_150:
	s_endpgm
	.section	.rodata,"a",@progbits
	.p2align	6, 0x0
	.amdhsa_kernel _ZL26rocblas_hemvn_kernel_lowerILb1ELi64ELi4ELi33ELi32ELi16ElPK19rocblas_complex_numIdEPKS3_PS1_EviT6_lT7_lT5_lS8_lS9_lS7_lT8_i
		.amdhsa_group_segment_fixed_size 19200
		.amdhsa_private_segment_fixed_size 0
		.amdhsa_kernarg_size 376
		.amdhsa_user_sgpr_count 2
		.amdhsa_user_sgpr_dispatch_ptr 0
		.amdhsa_user_sgpr_queue_ptr 0
		.amdhsa_user_sgpr_kernarg_segment_ptr 1
		.amdhsa_user_sgpr_dispatch_id 0
		.amdhsa_user_sgpr_kernarg_preload_length 0
		.amdhsa_user_sgpr_kernarg_preload_offset 0
		.amdhsa_user_sgpr_private_segment_size 0
		.amdhsa_uses_dynamic_stack 0
		.amdhsa_enable_private_segment 0
		.amdhsa_system_sgpr_workgroup_id_x 1
		.amdhsa_system_sgpr_workgroup_id_y 0
		.amdhsa_system_sgpr_workgroup_id_z 1
		.amdhsa_system_sgpr_workgroup_info 0
		.amdhsa_system_vgpr_workitem_id 1
		.amdhsa_next_free_vgpr 188
		.amdhsa_next_free_sgpr 42
		.amdhsa_accum_offset 188
		.amdhsa_reserve_vcc 1
		.amdhsa_float_round_mode_32 0
		.amdhsa_float_round_mode_16_64 0
		.amdhsa_float_denorm_mode_32 3
		.amdhsa_float_denorm_mode_16_64 3
		.amdhsa_dx10_clamp 1
		.amdhsa_ieee_mode 1
		.amdhsa_fp16_overflow 0
		.amdhsa_tg_split 0
		.amdhsa_exception_fp_ieee_invalid_op 0
		.amdhsa_exception_fp_denorm_src 0
		.amdhsa_exception_fp_ieee_div_zero 0
		.amdhsa_exception_fp_ieee_overflow 0
		.amdhsa_exception_fp_ieee_underflow 0
		.amdhsa_exception_fp_ieee_inexact 0
		.amdhsa_exception_int_div_zero 0
	.end_amdhsa_kernel
	.section	.text._ZL26rocblas_hemvn_kernel_lowerILb1ELi64ELi4ELi33ELi32ELi16ElPK19rocblas_complex_numIdEPKS3_PS1_EviT6_lT7_lT5_lS8_lS9_lS7_lT8_i,"axG",@progbits,_ZL26rocblas_hemvn_kernel_lowerILb1ELi64ELi4ELi33ELi32ELi16ElPK19rocblas_complex_numIdEPKS3_PS1_EviT6_lT7_lT5_lS8_lS9_lS7_lT8_i,comdat
.Lfunc_end56:
	.size	_ZL26rocblas_hemvn_kernel_lowerILb1ELi64ELi4ELi33ELi32ELi16ElPK19rocblas_complex_numIdEPKS3_PS1_EviT6_lT7_lT5_lS8_lS9_lS7_lT8_i, .Lfunc_end56-_ZL26rocblas_hemvn_kernel_lowerILb1ELi64ELi4ELi33ELi32ELi16ElPK19rocblas_complex_numIdEPKS3_PS1_EviT6_lT7_lT5_lS8_lS9_lS7_lT8_i
                                        ; -- End function
	.set _ZL26rocblas_hemvn_kernel_lowerILb1ELi64ELi4ELi33ELi32ELi16ElPK19rocblas_complex_numIdEPKS3_PS1_EviT6_lT7_lT5_lS8_lS9_lS7_lT8_i.num_vgpr, 188
	.set _ZL26rocblas_hemvn_kernel_lowerILb1ELi64ELi4ELi33ELi32ELi16ElPK19rocblas_complex_numIdEPKS3_PS1_EviT6_lT7_lT5_lS8_lS9_lS7_lT8_i.num_agpr, 0
	.set _ZL26rocblas_hemvn_kernel_lowerILb1ELi64ELi4ELi33ELi32ELi16ElPK19rocblas_complex_numIdEPKS3_PS1_EviT6_lT7_lT5_lS8_lS9_lS7_lT8_i.numbered_sgpr, 42
	.set _ZL26rocblas_hemvn_kernel_lowerILb1ELi64ELi4ELi33ELi32ELi16ElPK19rocblas_complex_numIdEPKS3_PS1_EviT6_lT7_lT5_lS8_lS9_lS7_lT8_i.num_named_barrier, 0
	.set _ZL26rocblas_hemvn_kernel_lowerILb1ELi64ELi4ELi33ELi32ELi16ElPK19rocblas_complex_numIdEPKS3_PS1_EviT6_lT7_lT5_lS8_lS9_lS7_lT8_i.private_seg_size, 0
	.set _ZL26rocblas_hemvn_kernel_lowerILb1ELi64ELi4ELi33ELi32ELi16ElPK19rocblas_complex_numIdEPKS3_PS1_EviT6_lT7_lT5_lS8_lS9_lS7_lT8_i.uses_vcc, 1
	.set _ZL26rocblas_hemvn_kernel_lowerILb1ELi64ELi4ELi33ELi32ELi16ElPK19rocblas_complex_numIdEPKS3_PS1_EviT6_lT7_lT5_lS8_lS9_lS7_lT8_i.uses_flat_scratch, 0
	.set _ZL26rocblas_hemvn_kernel_lowerILb1ELi64ELi4ELi33ELi32ELi16ElPK19rocblas_complex_numIdEPKS3_PS1_EviT6_lT7_lT5_lS8_lS9_lS7_lT8_i.has_dyn_sized_stack, 0
	.set _ZL26rocblas_hemvn_kernel_lowerILb1ELi64ELi4ELi33ELi32ELi16ElPK19rocblas_complex_numIdEPKS3_PS1_EviT6_lT7_lT5_lS8_lS9_lS7_lT8_i.has_recursion, 0
	.set _ZL26rocblas_hemvn_kernel_lowerILb1ELi64ELi4ELi33ELi32ELi16ElPK19rocblas_complex_numIdEPKS3_PS1_EviT6_lT7_lT5_lS8_lS9_lS7_lT8_i.has_indirect_call, 0
	.section	.AMDGPU.csdata,"",@progbits
; Kernel info:
; codeLenInByte = 9764
; TotalNumSgprs: 48
; NumVgprs: 188
; NumAgprs: 0
; TotalNumVgprs: 188
; ScratchSize: 0
; MemoryBound: 0
; FloatMode: 240
; IeeeMode: 1
; LDSByteSize: 19200 bytes/workgroup (compile time only)
; SGPRBlocks: 5
; VGPRBlocks: 23
; NumSGPRsForWavesPerEU: 48
; NumVGPRsForWavesPerEU: 188
; AccumOffset: 188
; Occupancy: 2
; WaveLimiterHint : 1
; COMPUTE_PGM_RSRC2:SCRATCH_EN: 0
; COMPUTE_PGM_RSRC2:USER_SGPR: 2
; COMPUTE_PGM_RSRC2:TRAP_HANDLER: 0
; COMPUTE_PGM_RSRC2:TGID_X_EN: 1
; COMPUTE_PGM_RSRC2:TGID_Y_EN: 0
; COMPUTE_PGM_RSRC2:TGID_Z_EN: 1
; COMPUTE_PGM_RSRC2:TIDIG_COMP_CNT: 1
; COMPUTE_PGM_RSRC3_GFX90A:ACCUM_OFFSET: 46
; COMPUTE_PGM_RSRC3_GFX90A:TG_SPLIT: 0
	.section	.text._ZL36rocblas_hemvn_kernel_lower_block_sumILi64ElPK19rocblas_complex_numIdEPKPS1_S1_EviT1_lS7_lT2_lT0_lPT3_i,"axG",@progbits,_ZL36rocblas_hemvn_kernel_lower_block_sumILi64ElPK19rocblas_complex_numIdEPKPS1_S1_EviT1_lS7_lT2_lT0_lPT3_i,comdat
	.globl	_ZL36rocblas_hemvn_kernel_lower_block_sumILi64ElPK19rocblas_complex_numIdEPKPS1_S1_EviT1_lS7_lT2_lT0_lPT3_i ; -- Begin function _ZL36rocblas_hemvn_kernel_lower_block_sumILi64ElPK19rocblas_complex_numIdEPKPS1_S1_EviT1_lS7_lT2_lT0_lPT3_i
	.p2align	8
	.type	_ZL36rocblas_hemvn_kernel_lower_block_sumILi64ElPK19rocblas_complex_numIdEPKPS1_S1_EviT1_lS7_lT2_lT0_lPT3_i,@function
_ZL36rocblas_hemvn_kernel_lower_block_sumILi64ElPK19rocblas_complex_numIdEPKPS1_S1_EviT1_lS7_lT2_lT0_lPT3_i: ; @_ZL36rocblas_hemvn_kernel_lower_block_sumILi64ElPK19rocblas_complex_numIdEPKPS1_S1_EviT1_lS7_lT2_lT0_lPT3_i
; %bb.0:
	s_load_dwordx8 s[4:11], s[0:1], 0x8
	s_mov_b32 s20, s3
	s_waitcnt lgkmcnt(0)
	s_mul_i32 s3, s7, s3
	s_mul_hi_u32 s7, s6, s20
	s_add_i32 s7, s7, s3
	s_mul_i32 s6, s6, s20
	s_lshl_b64 s[6:7], s[6:7], 4
	s_add_u32 s4, s4, s6
	s_addc_u32 s5, s5, s7
	s_load_dwordx4 s[12:15], s[4:5], 0x0
	s_mul_i32 s3, s11, s20
	s_mul_hi_u32 s4, s10, s20
	s_add_i32 s5, s4, s3
	s_mul_i32 s4, s10, s20
	s_lshl_b64 s[4:5], s[4:5], 4
	s_add_u32 s4, s8, s4
	s_addc_u32 s5, s9, s5
	s_load_dwordx4 s[8:11], s[4:5], 0x0
	s_waitcnt lgkmcnt(0)
	v_cmp_neq_f64_e64 s[4:5], s[12:13], 0
	v_cmp_neq_f64_e64 s[6:7], s[14:15], 0
	s_or_b64 s[4:5], s[4:5], s[6:7]
	s_mov_b64 s[6:7], -1
	s_and_b64 vcc, exec, s[4:5]
	s_cbranch_vccnz .LBB57_2
; %bb.1:
	v_cmp_neq_f64_e64 s[6:7], s[8:9], 1.0
	v_cmp_neq_f64_e64 s[16:17], s[10:11], 0
	s_or_b64 s[6:7], s[6:7], s[16:17]
.LBB57_2:
	s_andn2_b64 vcc, exec, s[6:7]
	s_cbranch_vccnz .LBB57_22
; %bb.3:
	s_load_dwordx2 s[16:17], s[0:1], 0x28
	s_mov_b32 s21, 0
	s_xor_b64 s[18:19], s[4:5], -1
	s_lshl_b64 s[24:25], s[20:21], 3
	s_load_dword s22, s[0:1], 0x0
	s_load_dwordx4 s[4:7], s[0:1], 0x30
	s_waitcnt lgkmcnt(0)
	s_add_u32 s16, s16, s24
	s_addc_u32 s17, s17, s25
	s_load_dwordx2 s[16:17], s[16:17], 0x0
	v_lshl_or_b32 v6, s2, 6, v0
	s_lshl_b64 s[4:5], s[4:5], 4
	s_waitcnt lgkmcnt(0)
	s_add_u32 s16, s16, s4
	s_addc_u32 s17, s17, s5
	s_andn2_b64 vcc, exec, s[18:19]
	v_cmp_gt_i32_e64 s[4:5], s22, v6
	s_cbranch_vccnz .LBB57_8
; %bb.4:
	s_mov_b64 s[24:25], 0
	s_mov_b64 s[18:19], 0
                                        ; implicit-def: $vgpr2_vgpr3
                                        ; implicit-def: $vgpr4_vgpr5
	s_and_saveexec_b64 s[26:27], s[4:5]
	s_cbranch_execz .LBB57_9
; %bb.5:
	v_cmp_neq_f64_e64 s[4:5], s[8:9], 0
	v_cmp_neq_f64_e64 s[18:19], s[10:11], 0
	v_ashrrev_i32_e32 v0, 31, v6
	v_mul_lo_u32 v1, s7, v6
	v_mul_lo_u32 v0, s6, v0
	v_mad_u64_u32 v[4:5], s[28:29], s6, v6, 0
	s_or_b64 s[4:5], s[4:5], s[18:19]
	v_mov_b64_e32 v[2:3], 0
	v_add3_u32 v5, v5, v0, v1
	s_andn2_b64 vcc, exec, s[4:5]
	v_mov_b64_e32 v[0:1], 0
	s_cbranch_vccnz .LBB57_7
; %bb.6:
	v_lshl_add_u64 v[0:1], v[4:5], 4, s[16:17]
	flat_load_dwordx4 v[8:11], v[0:1]
	s_waitcnt vmcnt(0) lgkmcnt(0)
	v_mul_f64 v[0:1], s[10:11], v[10:11]
	v_mul_f64 v[2:3], s[8:9], v[10:11]
	v_fma_f64 v[0:1], s[8:9], v[8:9], -v[0:1]
	v_fmac_f64_e32 v[2:3], s[10:11], v[8:9]
.LBB57_7:
	s_mov_b64 s[18:19], exec
	s_or_b64 exec, exec, s[26:27]
	s_and_b64 vcc, exec, s[24:25]
	s_cbranch_vccnz .LBB57_10
	s_branch .LBB57_20
.LBB57_8:
	s_mov_b64 s[18:19], 0
                                        ; implicit-def: $vgpr2_vgpr3
                                        ; implicit-def: $vgpr4_vgpr5
	s_cbranch_execnz .LBB57_10
	s_branch .LBB57_20
.LBB57_9:
	s_or_b64 exec, exec, s[26:27]
	s_and_b64 vcc, exec, s[24:25]
	s_cbranch_vccz .LBB57_20
.LBB57_10:
	v_cmp_gt_i32_e32 vcc, s22, v6
                                        ; implicit-def: $vgpr2_vgpr3
                                        ; implicit-def: $vgpr4_vgpr5
	s_and_saveexec_b64 s[4:5], vcc
	s_cbranch_execz .LBB57_19
; %bb.11:
	s_load_dword s3, s[0:1], 0x58
	v_mov_b64_e32 v[0:1], 0
	v_mov_b64_e32 v[4:5], 0
	s_waitcnt lgkmcnt(0)
	s_cmp_ge_i32 s2, s3
	s_cbranch_scc1 .LBB57_14
; %bb.12:
	s_ashr_i32 s23, s22, 31
	s_mul_i32 s21, s22, s2
	s_load_dwordx2 s[0:1], s[0:1], 0x48
	v_add_u32_e32 v0, s21, v6
	s_mul_hi_u32 s21, s22, s20
	s_mul_i32 s24, s23, s20
	s_add_i32 s21, s21, s24
	s_mul_i32 s20, s22, s20
	s_mul_i32 s21, s21, s3
	s_mul_hi_u32 s24, s20, s3
	s_add_i32 s21, s24, s21
	s_mul_i32 s20, s20, s3
	s_lshl_b64 s[20:21], s[20:21], 4
	s_waitcnt lgkmcnt(0)
	s_add_u32 s0, s0, s20
	v_ashrrev_i32_e32 v1, 31, v0
	s_addc_u32 s1, s1, s21
	v_lshl_add_u64 v[0:1], v[0:1], 4, s[0:1]
	v_lshl_add_u64 v[2:3], v[0:1], 0, 8
	s_lshl_b64 s[0:1], s[22:23], 4
	v_mov_b64_e32 v[0:1], 0
	v_mov_b64_e32 v[4:5], 0
.LBB57_13:                              ; =>This Inner Loop Header: Depth=1
	global_load_dwordx4 v[8:11], v[2:3], off offset:-8
	s_add_i32 s2, s2, 1
	v_lshl_add_u64 v[2:3], v[2:3], 0, s[0:1]
	s_cmp_ge_i32 s2, s3
	s_waitcnt vmcnt(0)
	v_add_f64 v[4:5], v[4:5], v[8:9]
	v_add_f64 v[0:1], v[0:1], v[10:11]
	s_cbranch_scc0 .LBB57_13
.LBB57_14:
	v_cmp_neq_f64_e64 s[2:3], s[8:9], 0
	v_cmp_neq_f64_e64 s[20:21], s[10:11], 0
	s_or_b64 s[2:3], s[2:3], s[20:21]
	v_mul_f64 v[8:9], s[14:15], v[0:1]
	v_mul_f64 v[2:3], s[12:13], v[0:1]
	v_ashrrev_i32_e32 v10, 31, v6
	s_mov_b64 s[0:1], 0
	s_andn2_b64 vcc, exec, s[2:3]
	v_fma_f64 v[0:1], s[12:13], v[4:5], -v[8:9]
	v_fmac_f64_e32 v[2:3], s[14:15], v[4:5]
	v_mul_lo_u32 v7, s7, v6
	v_mul_lo_u32 v8, s6, v10
	s_cbranch_vccz .LBB57_16
; %bb.15:
	v_mad_u64_u32 v[4:5], s[2:3], s6, v6, 0
	v_add3_u32 v5, v5, v8, v7
	s_andn2_b64 vcc, exec, s[0:1]
	s_cbranch_vccz .LBB57_17
	s_branch .LBB57_18
.LBB57_16:
                                        ; implicit-def: $vgpr4_vgpr5
.LBB57_17:
	v_mad_u64_u32 v[4:5], s[0:1], s6, v6, 0
	v_add3_u32 v5, v5, v8, v7
	v_lshl_add_u64 v[6:7], v[4:5], 4, s[16:17]
	flat_load_dwordx4 v[6:9], v[6:7]
	s_waitcnt vmcnt(0) lgkmcnt(0)
	v_mul_f64 v[10:11], s[10:11], v[8:9]
	v_mul_f64 v[8:9], s[8:9], v[8:9]
	v_fma_f64 v[10:11], s[8:9], v[6:7], -v[10:11]
	v_fmac_f64_e32 v[8:9], s[10:11], v[6:7]
	v_add_f64 v[0:1], v[0:1], v[10:11]
	v_add_f64 v[2:3], v[2:3], v[8:9]
.LBB57_18:
	s_or_b64 s[18:19], s[18:19], exec
.LBB57_19:
	s_or_b64 exec, exec, s[4:5]
.LBB57_20:
	s_and_saveexec_b64 s[0:1], s[18:19]
	s_cbranch_execz .LBB57_22
; %bb.21:
	v_lshl_add_u64 v[4:5], v[4:5], 4, s[16:17]
	flat_store_dwordx4 v[4:5], v[0:3]
.LBB57_22:
	s_endpgm
	.section	.rodata,"a",@progbits
	.p2align	6, 0x0
	.amdhsa_kernel _ZL36rocblas_hemvn_kernel_lower_block_sumILi64ElPK19rocblas_complex_numIdEPKPS1_S1_EviT1_lS7_lT2_lT0_lPT3_i
		.amdhsa_group_segment_fixed_size 0
		.amdhsa_private_segment_fixed_size 0
		.amdhsa_kernarg_size 344
		.amdhsa_user_sgpr_count 2
		.amdhsa_user_sgpr_dispatch_ptr 0
		.amdhsa_user_sgpr_queue_ptr 0
		.amdhsa_user_sgpr_kernarg_segment_ptr 1
		.amdhsa_user_sgpr_dispatch_id 0
		.amdhsa_user_sgpr_kernarg_preload_length 0
		.amdhsa_user_sgpr_kernarg_preload_offset 0
		.amdhsa_user_sgpr_private_segment_size 0
		.amdhsa_uses_dynamic_stack 0
		.amdhsa_enable_private_segment 0
		.amdhsa_system_sgpr_workgroup_id_x 1
		.amdhsa_system_sgpr_workgroup_id_y 0
		.amdhsa_system_sgpr_workgroup_id_z 1
		.amdhsa_system_sgpr_workgroup_info 0
		.amdhsa_system_vgpr_workitem_id 0
		.amdhsa_next_free_vgpr 12
		.amdhsa_next_free_sgpr 30
		.amdhsa_accum_offset 12
		.amdhsa_reserve_vcc 1
		.amdhsa_float_round_mode_32 0
		.amdhsa_float_round_mode_16_64 0
		.amdhsa_float_denorm_mode_32 3
		.amdhsa_float_denorm_mode_16_64 3
		.amdhsa_dx10_clamp 1
		.amdhsa_ieee_mode 1
		.amdhsa_fp16_overflow 0
		.amdhsa_tg_split 0
		.amdhsa_exception_fp_ieee_invalid_op 0
		.amdhsa_exception_fp_denorm_src 0
		.amdhsa_exception_fp_ieee_div_zero 0
		.amdhsa_exception_fp_ieee_overflow 0
		.amdhsa_exception_fp_ieee_underflow 0
		.amdhsa_exception_fp_ieee_inexact 0
		.amdhsa_exception_int_div_zero 0
	.end_amdhsa_kernel
	.section	.text._ZL36rocblas_hemvn_kernel_lower_block_sumILi64ElPK19rocblas_complex_numIdEPKPS1_S1_EviT1_lS7_lT2_lT0_lPT3_i,"axG",@progbits,_ZL36rocblas_hemvn_kernel_lower_block_sumILi64ElPK19rocblas_complex_numIdEPKPS1_S1_EviT1_lS7_lT2_lT0_lPT3_i,comdat
.Lfunc_end57:
	.size	_ZL36rocblas_hemvn_kernel_lower_block_sumILi64ElPK19rocblas_complex_numIdEPKPS1_S1_EviT1_lS7_lT2_lT0_lPT3_i, .Lfunc_end57-_ZL36rocblas_hemvn_kernel_lower_block_sumILi64ElPK19rocblas_complex_numIdEPKPS1_S1_EviT1_lS7_lT2_lT0_lPT3_i
                                        ; -- End function
	.set _ZL36rocblas_hemvn_kernel_lower_block_sumILi64ElPK19rocblas_complex_numIdEPKPS1_S1_EviT1_lS7_lT2_lT0_lPT3_i.num_vgpr, 12
	.set _ZL36rocblas_hemvn_kernel_lower_block_sumILi64ElPK19rocblas_complex_numIdEPKPS1_S1_EviT1_lS7_lT2_lT0_lPT3_i.num_agpr, 0
	.set _ZL36rocblas_hemvn_kernel_lower_block_sumILi64ElPK19rocblas_complex_numIdEPKPS1_S1_EviT1_lS7_lT2_lT0_lPT3_i.numbered_sgpr, 30
	.set _ZL36rocblas_hemvn_kernel_lower_block_sumILi64ElPK19rocblas_complex_numIdEPKPS1_S1_EviT1_lS7_lT2_lT0_lPT3_i.num_named_barrier, 0
	.set _ZL36rocblas_hemvn_kernel_lower_block_sumILi64ElPK19rocblas_complex_numIdEPKPS1_S1_EviT1_lS7_lT2_lT0_lPT3_i.private_seg_size, 0
	.set _ZL36rocblas_hemvn_kernel_lower_block_sumILi64ElPK19rocblas_complex_numIdEPKPS1_S1_EviT1_lS7_lT2_lT0_lPT3_i.uses_vcc, 1
	.set _ZL36rocblas_hemvn_kernel_lower_block_sumILi64ElPK19rocblas_complex_numIdEPKPS1_S1_EviT1_lS7_lT2_lT0_lPT3_i.uses_flat_scratch, 0
	.set _ZL36rocblas_hemvn_kernel_lower_block_sumILi64ElPK19rocblas_complex_numIdEPKPS1_S1_EviT1_lS7_lT2_lT0_lPT3_i.has_dyn_sized_stack, 0
	.set _ZL36rocblas_hemvn_kernel_lower_block_sumILi64ElPK19rocblas_complex_numIdEPKPS1_S1_EviT1_lS7_lT2_lT0_lPT3_i.has_recursion, 0
	.set _ZL36rocblas_hemvn_kernel_lower_block_sumILi64ElPK19rocblas_complex_numIdEPKPS1_S1_EviT1_lS7_lT2_lT0_lPT3_i.has_indirect_call, 0
	.section	.AMDGPU.csdata,"",@progbits
; Kernel info:
; codeLenInByte = 840
; TotalNumSgprs: 36
; NumVgprs: 12
; NumAgprs: 0
; TotalNumVgprs: 12
; ScratchSize: 0
; MemoryBound: 0
; FloatMode: 240
; IeeeMode: 1
; LDSByteSize: 0 bytes/workgroup (compile time only)
; SGPRBlocks: 4
; VGPRBlocks: 1
; NumSGPRsForWavesPerEU: 36
; NumVGPRsForWavesPerEU: 12
; AccumOffset: 12
; Occupancy: 8
; WaveLimiterHint : 1
; COMPUTE_PGM_RSRC2:SCRATCH_EN: 0
; COMPUTE_PGM_RSRC2:USER_SGPR: 2
; COMPUTE_PGM_RSRC2:TRAP_HANDLER: 0
; COMPUTE_PGM_RSRC2:TGID_X_EN: 1
; COMPUTE_PGM_RSRC2:TGID_Y_EN: 0
; COMPUTE_PGM_RSRC2:TGID_Z_EN: 1
; COMPUTE_PGM_RSRC2:TIDIG_COMP_CNT: 0
; COMPUTE_PGM_RSRC3_GFX90A:ACCUM_OFFSET: 2
; COMPUTE_PGM_RSRC3_GFX90A:TG_SPLIT: 0
	.section	.text._ZL26rocblas_hemvn_kernel_lowerILb1ELi64ELi4ELi33ELi32ELi16EiPK19rocblas_complex_numIdEPKS3_PS1_EviT6_lT7_lT5_lS8_lS9_lS7_lT8_i,"axG",@progbits,_ZL26rocblas_hemvn_kernel_lowerILb1ELi64ELi4ELi33ELi32ELi16EiPK19rocblas_complex_numIdEPKS3_PS1_EviT6_lT7_lT5_lS8_lS9_lS7_lT8_i,comdat
	.globl	_ZL26rocblas_hemvn_kernel_lowerILb1ELi64ELi4ELi33ELi32ELi16EiPK19rocblas_complex_numIdEPKS3_PS1_EviT6_lT7_lT5_lS8_lS9_lS7_lT8_i ; -- Begin function _ZL26rocblas_hemvn_kernel_lowerILb1ELi64ELi4ELi33ELi32ELi16EiPK19rocblas_complex_numIdEPKS3_PS1_EviT6_lT7_lT5_lS8_lS9_lS7_lT8_i
	.p2align	8
	.type	_ZL26rocblas_hemvn_kernel_lowerILb1ELi64ELi4ELi33ELi32ELi16EiPK19rocblas_complex_numIdEPKS3_PS1_EviT6_lT7_lT5_lS8_lS9_lS7_lT8_i,@function
_ZL26rocblas_hemvn_kernel_lowerILb1ELi64ELi4ELi33ELi32ELi16EiPK19rocblas_complex_numIdEPKS3_PS1_EviT6_lT7_lT5_lS8_lS9_lS7_lT8_i: ; @_ZL26rocblas_hemvn_kernel_lowerILb1ELi64ELi4ELi33ELi32ELi16EiPK19rocblas_complex_numIdEPKS3_PS1_EviT6_lT7_lT5_lS8_lS9_lS7_lT8_i
; %bb.0:
	s_load_dwordx2 s[4:5], s[0:1], 0x84
	s_add_u32 s12, s0, 0x78
	s_mov_b32 s20, s3
	s_addc_u32 s13, s1, 0
	s_waitcnt lgkmcnt(0)
	s_and_b32 s3, s5, 0xffff
	s_lshr_b32 s5, s4, 16
	s_and_b32 s4, s4, 0xffff
	s_mul_i32 s4, s5, s4
	s_mul_i32 s4, s4, s3
	s_cmpk_lg_i32 s4, 0x100
	s_cbranch_scc1 .LBB58_150
; %bb.1:
	s_load_dwordx8 s[4:11], s[0:1], 0x8
	s_mov_b32 s21, 0
	s_waitcnt lgkmcnt(0)
	s_mul_i32 s3, s7, s20
	s_mul_hi_u32 s7, s6, s20
	s_mul_i32 s6, s6, s20
	s_add_i32 s7, s7, s3
	s_lshl_b64 s[6:7], s[6:7], 4
	s_add_u32 s14, s4, s6
	s_addc_u32 s15, s5, s7
	s_load_dwordx4 s[16:19], s[14:15], 0x0
	s_load_dwordx2 s[22:23], s[0:1], 0x68
	s_load_dwordx4 s[4:7], s[0:1], 0x58
	s_waitcnt lgkmcnt(0)
	v_cmp_neq_f64_e64 s[14:15], s[16:17], 0
	v_cmp_neq_f64_e64 s[16:17], s[18:19], 0
	s_or_b64 s[16:17], s[14:15], s[16:17]
	s_mov_b64 s[14:15], -1
	s_and_b64 vcc, exec, s[16:17]
	s_cbranch_vccnz .LBB58_3
; %bb.2:
	s_mul_i32 s3, s7, s20
	s_mul_hi_u32 s7, s6, s20
	s_add_i32 s7, s7, s3
	s_mul_i32 s6, s6, s20
	s_lshl_b64 s[6:7], s[6:7], 4
	s_add_u32 s14, s4, s6
	s_addc_u32 s15, s5, s7
	s_load_dwordx4 s[4:7], s[14:15], 0x0
	s_mov_b64 s[14:15], 0
	s_waitcnt lgkmcnt(0)
	v_cmp_eq_f64_e64 s[4:5], s[4:5], 1.0
	v_cmp_eq_f64_e64 s[6:7], s[6:7], 0
	s_and_b64 s[4:5], s[4:5], s[6:7]
	s_andn2_b64 vcc, exec, s[4:5]
.LBB58_3:
	s_andn2_b64 vcc, exec, s[14:15]
	s_cbranch_vccnz .LBB58_150
; %bb.4:
	s_load_dwordx4 s[4:7], s[0:1], 0x38
	s_load_dword s3, s[0:1], 0x48
	s_lshl_b64 s[14:15], s[20:21], 3
	s_add_u32 s8, s8, s14
	s_addc_u32 s9, s9, s15
	s_waitcnt lgkmcnt(0)
	s_add_u32 s14, s4, s14
	s_addc_u32 s15, s5, s15
	s_load_dwordx2 s[16:17], s[14:15], 0x0
	s_load_dword s21, s[0:1], 0x0
	s_load_dword s33, s[12:13], 0x0
	s_load_dwordx2 s[4:5], s[8:9], 0x0
	s_lshl_b64 s[6:7], s[6:7], 4
	s_waitcnt lgkmcnt(0)
	s_add_u32 s6, s16, s6
	s_addc_u32 s7, s17, s7
	s_ashr_i32 s40, s21, 31
	s_lshr_b32 s9, s40, 26
	v_and_b32_e32 v150, 0x3ff, v0
	s_lshl_b32 s28, s2, 6
	s_add_i32 s9, s21, s9
	s_andn2_b32 s9, s9, 63
	v_add_u32_e32 v148, s28, v150
	v_bfe_u32 v149, v0, 10, 10
	s_add_i32 s8, s33, -1
	s_sub_i32 s9, s21, s9
	v_mul_lo_u32 v0, s3, v148
	s_cmp_eq_u32 s2, s8
	v_ashrrev_i32_e32 v1, 31, v0
	s_cselect_b32 s24, s9, 0
	v_lshl_add_u64 v[36:37], v[0:1], 4, s[6:7]
	v_cmp_ne_u32_e64 s[16:17], 0, v149
	v_cmp_eq_u32_e64 s[18:19], 0, v149
	s_and_saveexec_b64 s[6:7], s[18:19]
	s_cbranch_execz .LBB58_9
; %bb.5:
	s_cmp_lg_u32 s24, 0
	s_cselect_b64 s[8:9], -1, 0
	v_cmp_le_i32_e32 vcc, s24, v150
	v_mov_b32_e32 v0, 0x4700
	s_and_b64 s[8:9], s[8:9], vcc
	v_lshl_add_u32 v0, v150, 4, v0
	s_and_saveexec_b64 s[12:13], s[8:9]
	s_xor_b64 s[8:9], exec, s[12:13]
; %bb.6:
	v_mov_b32_e32 v2, 0
	v_mov_b32_e32 v3, v2
	;; [unrolled: 1-line block ×4, first 2 shown]
	ds_write_b128 v0, v[2:5]
                                        ; implicit-def: $vgpr0
; %bb.7:
	s_andn2_saveexec_b64 s[8:9], s[8:9]
	s_cbranch_execz .LBB58_9
; %bb.8:
	flat_load_dwordx4 v[2:5], v[36:37]
	s_waitcnt vmcnt(0) lgkmcnt(0)
	ds_write2_b64 v0, v[2:3], v[4:5] offset1:1
.LBB58_9:
	s_or_b64 exec, exec, s[6:7]
	s_load_dword s26, s[0:1], 0x28
	s_lshl_b64 s[6:7], s[10:11], 4
	s_add_u32 s4, s4, s6
	s_addc_u32 s5, s5, s7
	s_ashr_i32 s29, s28, 31
	v_lshl_add_u32 v42, v149, 6, v150
	s_lshl_b64 s[0:1], s[28:29], 4
	v_and_b32_e32 v10, 31, v150
	v_lshrrev_b32_e32 v11, 5, v42
	s_add_u32 s0, s4, s0
	s_waitcnt lgkmcnt(0)
	s_mul_i32 s30, s26, s28
	s_addc_u32 s1, s5, s1
	v_mad_u64_u32 v[38:39], s[4:5], s26, v11, v[10:11]
	s_ashr_i32 s31, s30, 31
	v_ashrrev_i32_e32 v39, 31, v38
	s_cmp_lg_u32 s24, 0
	v_lshl_add_u64 v[0:1], v[38:39], 4, s[0:1]
	s_cselect_b64 s[34:35], -1, 0
	s_cmp_eq_u32 s24, 0
	v_lshl_add_u64 v[4:5], s[30:31], 4, v[0:1]
	s_cselect_b64 s[36:37], -1, 0
	s_mov_b64 s[0:1], -1
	s_and_b64 vcc, exec, s[34:35]
	s_cbranch_vccnz .LBB58_11
; %bb.10:
	flat_load_dwordx4 v[0:3], v[4:5]
	v_mul_u32_u24_e32 v6, 0x210, v11
	s_lshl_b32 s0, s26, 3
	v_lshl_add_u32 v8, v10, 4, v6
	s_ashr_i32 s1, s0, 31
	v_lshl_add_u64 v[6:7], s[0:1], 4, v[4:5]
	s_ashr_i32 s27, s26, 31
	s_lshl_b64 s[0:1], s[26:27], 7
	v_add_u32_e32 v9, 0x1080, v8
	s_waitcnt vmcnt(0) lgkmcnt(0)
	ds_write2_b64 v8, v[0:1], v[2:3] offset1:1
	flat_load_dwordx4 v[0:3], v[6:7]
	v_lshl_add_u64 v[6:7], v[6:7], 0, s[0:1]
	s_waitcnt vmcnt(0) lgkmcnt(0)
	ds_write2_b64 v9, v[0:1], v[2:3] offset1:1
	flat_load_dwordx4 v[0:3], v[6:7]
	v_add_u32_e32 v9, 0x2100, v8
	v_lshl_add_u64 v[6:7], v[6:7], 0, s[0:1]
	s_mov_b64 s[0:1], 0
	s_waitcnt vmcnt(0) lgkmcnt(0)
	ds_write2_b64 v9, v[0:1], v[2:3] offset1:1
	flat_load_dwordx4 v[0:3], v[6:7]
	v_add_u32_e32 v6, 0x3180, v8
	s_waitcnt vmcnt(0) lgkmcnt(0)
	ds_write2_b64 v6, v[0:1], v[2:3] offset1:1
.LBB58_11:
	s_andn2_b64 vcc, exec, s[0:1]
	v_lshlrev_b32_e32 v8, 4, v10
	s_cbranch_vccnz .LBB58_29
; %bb.12:
	v_sub_co_u32_e32 v0, vcc, v4, v8
	s_ashr_i32 s25, s24, 31
	s_nop 0
	v_subbrev_co_u32_e32 v1, vcc, 0, v5, vcc
	v_lshl_add_u64 v[0:1], s[24:25], 4, v[0:1]
	v_lshl_add_u64 v[0:1], v[0:1], 0, -16
	v_cmp_gt_i32_e32 vcc, s24, v10
	s_movk_i32 s4, 0x210
	v_cmp_le_i32_e64 s[0:1], s24, v11
	v_cndmask_b32_e32 v1, v1, v5, vcc
	v_cndmask_b32_e32 v0, v0, v4, vcc
	v_mad_u32_u24 v2, v11, s4, v8
	s_and_saveexec_b64 s[4:5], s[0:1]
	s_xor_b64 s[0:1], exec, s[4:5]
; %bb.13:
	v_mov_b32_e32 v12, 0
	v_mov_b32_e32 v13, v12
	;; [unrolled: 1-line block ×4, first 2 shown]
	ds_write_b128 v2, v[12:15]
                                        ; implicit-def: $vgpr2
; %bb.14:
	s_andn2_saveexec_b64 s[0:1], s[0:1]
	s_cbranch_execz .LBB58_16
; %bb.15:
	flat_load_dwordx4 v[12:15], v[0:1]
	s_waitcnt vmcnt(0) lgkmcnt(0)
	ds_write2_b64 v2, v[12:13], v[14:15] offset1:1
.LBB58_16:
	s_or_b64 exec, exec, s[0:1]
	v_add_u32_e32 v3, 8, v11
	v_mul_u32_u24_e32 v2, 0x210, v11
	v_cmp_le_i32_e64 s[0:1], s24, v3
	s_and_saveexec_b64 s[4:5], s[0:1]
	s_xor_b64 s[0:1], exec, s[4:5]
	s_cbranch_execz .LBB58_18
; %bb.17:
	v_mov_b32_e32 v12, 0
	v_add_u32_e32 v3, v2, v8
	v_mov_b32_e32 v13, v12
	v_mov_b32_e32 v14, v12
	;; [unrolled: 1-line block ×3, first 2 shown]
	ds_write_b128 v3, v[12:15] offset:4224
.LBB58_18:
	s_andn2_saveexec_b64 s[0:1], s[0:1]
	s_cbranch_execz .LBB58_20
; %bb.19:
	s_lshl_b32 s4, s26, 3
	s_ashr_i32 s5, s4, 31
	v_lshl_add_u64 v[6:7], s[4:5], 4, v[0:1]
	flat_load_dwordx4 v[12:15], v[6:7]
	s_movk_i32 s4, 0x1080
	v_add3_u32 v3, v2, v8, s4
	s_waitcnt vmcnt(0) lgkmcnt(0)
	ds_write2_b64 v3, v[12:13], v[14:15] offset1:1
.LBB58_20:
	s_or_b64 exec, exec, s[0:1]
	v_add_u32_e32 v3, 16, v11
	v_cmp_le_i32_e64 s[0:1], s24, v3
	s_and_saveexec_b64 s[4:5], s[0:1]
	s_xor_b64 s[0:1], exec, s[4:5]
	s_cbranch_execz .LBB58_22
; %bb.21:
	v_mov_b32_e32 v12, 0
	v_add_u32_e32 v3, v2, v8
	v_mov_b32_e32 v13, v12
	v_mov_b32_e32 v14, v12
	;; [unrolled: 1-line block ×3, first 2 shown]
	ds_write_b128 v3, v[12:15] offset:8448
.LBB58_22:
	s_andn2_saveexec_b64 s[0:1], s[0:1]
	s_cbranch_execz .LBB58_24
; %bb.23:
	s_lshl_b32 s4, s26, 4
	s_ashr_i32 s5, s4, 31
	v_lshl_add_u64 v[6:7], s[4:5], 4, v[0:1]
	flat_load_dwordx4 v[12:15], v[6:7]
	s_movk_i32 s4, 0x2100
	v_add3_u32 v3, v2, v8, s4
	s_waitcnt vmcnt(0) lgkmcnt(0)
	ds_write2_b64 v3, v[12:13], v[14:15] offset1:1
.LBB58_24:
	s_or_b64 exec, exec, s[0:1]
	v_add_u32_e32 v3, 24, v11
	v_cmp_le_i32_e64 s[0:1], s24, v3
	s_and_saveexec_b64 s[4:5], s[0:1]
	s_xor_b64 s[0:1], exec, s[4:5]
	s_cbranch_execz .LBB58_26
; %bb.25:
	v_mov_b32_e32 v12, 0
	v_add_u32_e32 v2, v2, v8
	v_mov_b32_e32 v13, v12
	v_mov_b32_e32 v14, v12
	;; [unrolled: 1-line block ×3, first 2 shown]
	ds_write_b128 v2, v[12:15] offset:12672
                                        ; implicit-def: $vgpr2
.LBB58_26:
	s_andn2_saveexec_b64 s[0:1], s[0:1]
	s_cbranch_execz .LBB58_28
; %bb.27:
	s_mul_i32 s4, s26, 24
	s_ashr_i32 s5, s4, 31
	v_lshl_add_u64 v[6:7], s[4:5], 4, v[0:1]
	flat_load_dwordx4 v[12:15], v[6:7]
	s_movk_i32 s4, 0x3180
	v_add3_u32 v2, v2, v8, s4
	s_waitcnt vmcnt(0) lgkmcnt(0)
	ds_write2_b64 v2, v[12:13], v[14:15] offset1:1
.LBB58_28:
	s_or_b64 exec, exec, s[0:1]
	v_mov_b32_e32 v9, 0
	v_lshl_add_u64 v[0:1], v[0:1], 0, v[8:9]
	s_lshl_b64 s[0:1], s[24:25], 4
	v_mov_b32_e32 v2, s1
	v_subrev_co_u32_e64 v0, s[0:1], s0, v0
	s_nop 1
	v_subb_co_u32_e64 v1, s[0:1], v1, v2, s[0:1]
	v_lshl_add_u64 v[0:1], v[0:1], 0, 16
	v_cndmask_b32_e32 v5, v1, v5, vcc
	v_cndmask_b32_e32 v4, v0, v4, vcc
.LBB58_29:
	v_lshlrev_b32_e32 v14, 2, v11
	v_mul_u32_u24_e32 v15, 0x210, v10
	v_cmp_ge_u32_e64 s[6:7], v14, v10
	s_mov_b64 s[0:1], 0
	s_waitcnt lgkmcnt(0)
	s_barrier
                                        ; implicit-def: $vgpr7
	s_and_saveexec_b64 s[4:5], s[6:7]
	s_xor_b64 s[4:5], exec, s[4:5]
	s_cbranch_execz .LBB58_33
; %bb.30:
	v_cmp_eq_u32_e32 vcc, v14, v10
                                        ; implicit-def: $vgpr7
	s_and_saveexec_b64 s[8:9], vcc
	s_xor_b64 s[8:9], exec, s[8:9]
; %bb.31:
	s_mov_b64 s[0:1], exec
	v_add_u32_e32 v7, v8, v15
; %bb.32:
	s_or_b64 exec, exec, s[8:9]
	s_and_b64 s[0:1], s[0:1], exec
.LBB58_33:
	s_or_saveexec_b64 s[4:5], s[4:5]
	v_lshl_or_b32 v6, v10, 9, v8
	v_mov_b64_e32 v[2:3], 0
	s_xor_b64 exec, exec, s[4:5]
	s_cbranch_execz .LBB58_35
; %bb.34:
	s_movk_i32 s8, 0x840
	v_mad_u32_u24 v0, v11, s8, v8
	ds_read_b128 v[0:3], v0
	v_lshl_add_u32 v7, v14, 4, v6
	s_or_b64 s[0:1], s[0:1], exec
	s_waitcnt lgkmcnt(0)
	v_xor_b32_e32 v3, 0x80000000, v3
	ds_write_b64 v7, v[0:1]
.LBB58_35:
	s_or_b64 exec, exec, s[4:5]
	s_and_saveexec_b64 s[4:5], s[0:1]
; %bb.36:
	ds_write_b64 v7, v[2:3] offset:8
; %bb.37:
	s_or_b64 exec, exec, s[4:5]
	v_or_b32_e32 v16, 1, v14
	v_cmp_ge_u32_e64 s[8:9], v16, v10
	s_mov_b64 s[0:1], 0
                                        ; implicit-def: $vgpr7
	s_and_saveexec_b64 s[4:5], s[8:9]
	s_xor_b64 s[4:5], exec, s[4:5]
	s_cbranch_execnz .LBB58_99
; %bb.38:
	s_or_saveexec_b64 s[4:5], s[4:5]
	v_mov_b64_e32 v[2:3], 0
	s_xor_b64 exec, exec, s[4:5]
	s_cbranch_execnz .LBB58_102
.LBB58_39:
	s_or_b64 exec, exec, s[4:5]
	s_and_saveexec_b64 s[4:5], s[0:1]
.LBB58_40:
	ds_write_b64 v7, v[2:3] offset:8
.LBB58_41:
	s_or_b64 exec, exec, s[4:5]
	v_or_b32_e32 v17, 2, v14
	v_cmp_ge_u32_e64 s[10:11], v17, v10
	s_mov_b64 s[0:1], 0
                                        ; implicit-def: $vgpr7
	s_and_saveexec_b64 s[4:5], s[10:11]
	s_xor_b64 s[4:5], exec, s[4:5]
	s_cbranch_execnz .LBB58_103
; %bb.42:
	s_or_saveexec_b64 s[4:5], s[4:5]
	v_mov_b64_e32 v[2:3], 0
	s_xor_b64 exec, exec, s[4:5]
	s_cbranch_execnz .LBB58_106
.LBB58_43:
	s_or_b64 exec, exec, s[4:5]
	s_and_saveexec_b64 s[4:5], s[0:1]
.LBB58_44:
	ds_write_b64 v7, v[2:3] offset:8
.LBB58_45:
	s_or_b64 exec, exec, s[4:5]
	v_or_b32_e32 v18, 3, v14
	v_cmp_ge_u32_e64 s[12:13], v18, v10
	s_mov_b64 s[0:1], 0
                                        ; implicit-def: $vgpr7
	s_and_saveexec_b64 s[4:5], s[12:13]
	s_xor_b64 s[4:5], exec, s[4:5]
	s_cbranch_execnz .LBB58_107
; %bb.46:
	s_or_saveexec_b64 s[4:5], s[4:5]
	v_mov_b64_e32 v[2:3], 0
	s_xor_b64 exec, exec, s[4:5]
	s_cbranch_execnz .LBB58_110
.LBB58_47:
	s_or_b64 exec, exec, s[4:5]
	s_and_saveexec_b64 s[4:5], s[0:1]
.LBB58_48:
	ds_write_b64 v7, v[2:3] offset:8
.LBB58_49:
	s_or_b64 exec, exec, s[4:5]
	s_movk_i32 s0, 0x840
	v_lshlrev_b32_e32 v6, 4, v14
	s_waitcnt lgkmcnt(0)
	s_barrier
	v_mad_u32_u24 v7, v11, s0, v8
	ds_read_b128 v[0:3], v6 offset:18176
	ds_read_b128 v[20:23], v7
	ds_read_b128 v[24:27], v6 offset:18192
	ds_read_b128 v[28:31], v6 offset:18208
	s_movk_i32 s0, 0x210
	v_mad_u32_u24 v7, v16, s0, v8
	s_waitcnt lgkmcnt(2)
	v_mul_f64 v[12:13], v[2:3], v[22:23]
	v_mul_f64 v[40:41], v[0:1], v[22:23]
	v_fma_f64 v[12:13], v[0:1], v[20:21], -v[12:13]
	v_fmac_f64_e32 v[40:41], v[2:3], v[20:21]
	ds_read_b128 v[20:23], v6 offset:18224
	ds_read_b128 v[32:35], v7
	v_add_f64 v[2:3], v[12:13], 0
	v_add_f64 v[12:13], v[40:41], 0
	ds_read_b128 v[44:47], v7 offset:528
	v_mov_b64_e32 v[0:1], 0
	s_waitcnt lgkmcnt(1)
	v_mul_f64 v[40:41], v[26:27], v[34:35]
	v_fma_f64 v[40:41], v[24:25], v[32:33], -v[40:41]
	v_mul_f64 v[24:25], v[24:25], v[34:35]
	v_fmac_f64_e32 v[24:25], v[26:27], v[32:33]
	v_add_f64 v[12:13], v[12:13], v[24:25]
	ds_read_b128 v[24:27], v7 offset:1056
	s_waitcnt lgkmcnt(1)
	v_mul_f64 v[32:33], v[30:31], v[46:47]
	v_fma_f64 v[32:33], v[28:29], v[44:45], -v[32:33]
	v_mul_f64 v[28:29], v[28:29], v[46:47]
	v_fmac_f64_e32 v[28:29], v[30:31], v[44:45]
	v_add_f64 v[2:3], v[2:3], v[40:41]
	v_add_f64 v[12:13], v[12:13], v[28:29]
	s_waitcnt lgkmcnt(0)
	v_mul_f64 v[28:29], v[22:23], v[26:27]
	v_add_f64 v[2:3], v[2:3], v[32:33]
	v_fma_f64 v[28:29], v[20:21], v[24:25], -v[28:29]
	v_mul_f64 v[26:27], v[20:21], v[26:27]
	v_add_f64 v[20:21], v[2:3], v[28:29]
	v_mul_u32_u24_e32 v2, 33, v10
	v_fmac_f64_e32 v[26:27], v[22:23], v[24:25]
	v_lshlrev_b32_e32 v43, 4, v2
	v_add_f64 v[22:23], v[12:13], v[26:27]
	v_lshl_add_u32 v44, v11, 4, v43
	v_cmp_gt_u32_e64 s[4:5], 32, v42
	v_mov_b64_e32 v[2:3], 0
	s_barrier
	ds_write_b128 v44, v[20:23]
	s_waitcnt lgkmcnt(0)
	s_barrier
	s_and_saveexec_b64 s[0:1], s[4:5]
	s_cbranch_execz .LBB58_51
; %bb.50:
	ds_read_b128 v[0:3], v43
	ds_read_b128 v[20:23], v43 offset:16
	ds_read_b128 v[24:27], v43 offset:32
	;; [unrolled: 1-line block ×3, first 2 shown]
	s_waitcnt lgkmcnt(2)
	v_add_f64 v[0:1], v[20:21], v[0:1]
	v_add_f64 v[12:13], v[22:23], v[2:3]
	s_waitcnt lgkmcnt(1)
	v_add_f64 v[20:21], v[0:1], v[24:25]
	ds_read_b128 v[0:3], v43 offset:64
	v_add_f64 v[12:13], v[12:13], v[26:27]
	s_waitcnt lgkmcnt(1)
	v_add_f64 v[24:25], v[20:21], v[28:29]
	ds_read_b128 v[20:23], v43 offset:80
	;; [unrolled: 4-line block ×3, first 2 shown]
	v_add_f64 v[12:13], v[12:13], v[2:3]
	ds_read_b128 v[0:3], v43 offset:112
	s_waitcnt lgkmcnt(2)
	v_add_f64 v[20:21], v[28:29], v[20:21]
	v_add_f64 v[12:13], v[12:13], v[22:23]
	s_waitcnt lgkmcnt(1)
	v_add_f64 v[20:21], v[20:21], v[24:25]
	v_add_f64 v[12:13], v[12:13], v[26:27]
	;; [unrolled: 3-line block ×3, first 2 shown]
.LBB58_51:
	s_or_b64 exec, exec, s[0:1]
	s_lshl_b32 s38, s26, 5
	s_ashr_i32 s39, s38, 31
	v_lshl_add_u64 v[4:5], s[38:39], 4, v[4:5]
	s_mov_b64 s[0:1], 0x200
	v_cndmask_b32_e64 v7, 0, 1, s[36:37]
	v_lshl_add_u64 v[12:13], v[4:5], 0, s[0:1]
	v_cmp_ne_u32_e64 s[14:15], 1, v7
	s_andn2_b64 vcc, exec, s[36:37]
	s_mov_b64 s[0:1], -1
	s_barrier
	s_cbranch_vccnz .LBB58_53
; %bb.52:
	flat_load_dwordx4 v[20:23], v[12:13]
	s_movk_i32 s1, 0x210
	s_lshl_b32 s0, s26, 3
	v_mad_u32_u24 v7, v11, s1, v8
	s_ashr_i32 s1, s0, 31
	v_lshl_add_u64 v[24:25], s[0:1], 4, v[4:5]
	s_ashr_i32 s27, s26, 31
	s_lshl_b64 s[0:1], s[26:27], 7
	v_add_u32_e32 v9, 0x1080, v7
	s_waitcnt vmcnt(0) lgkmcnt(0)
	ds_write2_b64 v7, v[20:21], v[22:23] offset1:1
	flat_load_dwordx4 v[20:23], v[24:25] offset:512
	v_lshl_add_u64 v[24:25], v[24:25], 0, s[0:1]
	s_waitcnt vmcnt(0) lgkmcnt(0)
	ds_write2_b64 v9, v[20:21], v[22:23] offset1:1
	flat_load_dwordx4 v[20:23], v[24:25] offset:512
	v_add_u32_e32 v9, 0x2100, v7
	v_lshl_add_u64 v[24:25], v[24:25], 0, s[0:1]
	v_add_u32_e32 v7, 0x3180, v7
	s_mov_b64 s[0:1], 0
	s_waitcnt vmcnt(0) lgkmcnt(0)
	ds_write2_b64 v9, v[20:21], v[22:23] offset1:1
	flat_load_dwordx4 v[20:23], v[24:25] offset:512
	s_waitcnt vmcnt(0) lgkmcnt(0)
	ds_write2_b64 v7, v[20:21], v[22:23] offset1:1
.LBB58_53:
	s_andn2_b64 vcc, exec, s[0:1]
	s_cbranch_vccnz .LBB58_71
; %bb.54:
	v_sub_co_u32_e32 v4, vcc, v4, v8
	s_ashr_i32 s25, s24, 31
	s_nop 0
	v_subbrev_co_u32_e32 v5, vcc, 0, v5, vcc
	v_or_b32_e32 v7, 32, v10
	v_lshl_add_u64 v[4:5], s[24:25], 4, v[4:5]
	v_lshl_add_u64 v[4:5], v[4:5], 0, -16
	v_cmp_gt_i32_e32 vcc, s24, v7
	s_sub_i32 s27, s24, 32
	s_movk_i32 s29, 0x210
	v_cndmask_b32_e32 v5, v5, v13, vcc
	v_cndmask_b32_e32 v4, v4, v12, vcc
	v_cmp_le_i32_e64 s[0:1], s27, v11
	v_mad_u32_u24 v7, v11, s29, v8
	s_and_saveexec_b64 s[36:37], s[0:1]
	s_xor_b64 s[0:1], exec, s[36:37]
; %bb.55:
	v_mov_b32_e32 v20, 0
	v_mov_b32_e32 v21, v20
	;; [unrolled: 1-line block ×4, first 2 shown]
	ds_write_b128 v7, v[20:23]
                                        ; implicit-def: $vgpr7
; %bb.56:
	s_andn2_saveexec_b64 s[0:1], s[0:1]
	s_cbranch_execz .LBB58_58
; %bb.57:
	flat_load_dwordx4 v[20:23], v[4:5]
	s_waitcnt vmcnt(0) lgkmcnt(0)
	ds_write2_b64 v7, v[20:21], v[22:23] offset1:1
.LBB58_58:
	s_or_b64 exec, exec, s[0:1]
	v_add_u32_e32 v9, 8, v11
	v_mul_u32_u24_e32 v7, 0x210, v11
	v_cmp_le_i32_e64 s[0:1], s27, v9
	s_and_saveexec_b64 s[36:37], s[0:1]
	s_xor_b64 s[0:1], exec, s[36:37]
	s_cbranch_execz .LBB58_60
; %bb.59:
	v_mov_b32_e32 v20, 0
	v_add_u32_e32 v9, v7, v8
	v_mov_b32_e32 v21, v20
	v_mov_b32_e32 v22, v20
	;; [unrolled: 1-line block ×3, first 2 shown]
	ds_write_b128 v9, v[20:23] offset:4224
.LBB58_60:
	s_andn2_saveexec_b64 s[0:1], s[0:1]
	s_cbranch_execz .LBB58_62
; %bb.61:
	s_lshl_b32 s36, s26, 3
	s_ashr_i32 s37, s36, 31
	v_lshl_add_u64 v[20:21], s[36:37], 4, v[4:5]
	flat_load_dwordx4 v[20:23], v[20:21]
	s_movk_i32 s29, 0x1080
	v_add3_u32 v9, v7, v8, s29
	s_waitcnt vmcnt(0) lgkmcnt(0)
	ds_write2_b64 v9, v[20:21], v[22:23] offset1:1
.LBB58_62:
	s_or_b64 exec, exec, s[0:1]
	v_add_u32_e32 v9, 16, v11
	v_cmp_le_i32_e64 s[0:1], s27, v9
	s_and_saveexec_b64 s[36:37], s[0:1]
	s_xor_b64 s[0:1], exec, s[36:37]
	s_cbranch_execz .LBB58_64
; %bb.63:
	v_mov_b32_e32 v20, 0
	v_add_u32_e32 v9, v7, v8
	v_mov_b32_e32 v21, v20
	v_mov_b32_e32 v22, v20
	;; [unrolled: 1-line block ×3, first 2 shown]
	ds_write_b128 v9, v[20:23] offset:8448
.LBB58_64:
	s_andn2_saveexec_b64 s[0:1], s[0:1]
	s_cbranch_execz .LBB58_66
; %bb.65:
	s_lshl_b32 s36, s26, 4
	s_ashr_i32 s37, s36, 31
	v_lshl_add_u64 v[20:21], s[36:37], 4, v[4:5]
	flat_load_dwordx4 v[20:23], v[20:21]
	s_movk_i32 s29, 0x2100
	v_add3_u32 v9, v7, v8, s29
	s_waitcnt vmcnt(0) lgkmcnt(0)
	ds_write2_b64 v9, v[20:21], v[22:23] offset1:1
.LBB58_66:
	s_or_b64 exec, exec, s[0:1]
	v_add_u32_e32 v9, 24, v11
	v_cmp_le_i32_e64 s[0:1], s27, v9
	s_and_saveexec_b64 s[36:37], s[0:1]
	s_xor_b64 s[0:1], exec, s[36:37]
	s_cbranch_execz .LBB58_68
; %bb.67:
	v_mov_b32_e32 v20, 0
	v_add_u32_e32 v7, v7, v8
	v_mov_b32_e32 v21, v20
	v_mov_b32_e32 v22, v20
	;; [unrolled: 1-line block ×3, first 2 shown]
	ds_write_b128 v7, v[20:23] offset:12672
                                        ; implicit-def: $vgpr7
.LBB58_68:
	s_andn2_saveexec_b64 s[0:1], s[0:1]
	s_cbranch_execz .LBB58_70
; %bb.69:
	s_mul_i32 s36, s26, 24
	s_ashr_i32 s37, s36, 31
	v_lshl_add_u64 v[20:21], s[36:37], 4, v[4:5]
	flat_load_dwordx4 v[20:23], v[20:21]
	s_movk_i32 s27, 0x3180
	v_add3_u32 v7, v7, v8, s27
	s_waitcnt vmcnt(0) lgkmcnt(0)
	ds_write2_b64 v7, v[20:21], v[22:23] offset1:1
.LBB58_70:
	s_or_b64 exec, exec, s[0:1]
	v_mov_b32_e32 v9, 0
	v_lshl_add_u64 v[4:5], v[4:5], 0, v[8:9]
	s_lshl_b64 s[0:1], s[24:25], 4
	v_mov_b32_e32 v7, s1
	v_subrev_co_u32_e64 v4, s[0:1], s0, v4
	s_nop 1
	v_subb_co_u32_e64 v5, s[0:1], v5, v7, s[0:1]
	s_mov_b64 s[0:1], 0x210
	s_nop 0
	v_lshl_add_u64 v[4:5], v[4:5], 0, s[0:1]
	v_cndmask_b32_e32 v13, v5, v13, vcc
	v_cndmask_b32_e32 v12, v4, v12, vcc
.LBB58_71:
	v_mul_u32_u24_e32 v4, 0x840, v11
	v_add_u32_e32 v45, 0x4700, v6
	v_mul_u32_u24_e32 v19, 0x210, v16
	s_mov_b64 s[0:1], 0
	s_waitcnt lgkmcnt(0)
	s_barrier
                                        ; implicit-def: $vgpr20
	s_and_saveexec_b64 s[36:37], s[6:7]
	s_xor_b64 s[6:7], exec, s[36:37]
	s_cbranch_execz .LBB58_75
; %bb.72:
	v_cmp_eq_u32_e32 vcc, v14, v10
                                        ; implicit-def: $vgpr20
	s_and_saveexec_b64 s[36:37], vcc
	s_xor_b64 s[36:37], exec, s[36:37]
; %bb.73:
	s_mov_b64 s[0:1], exec
	v_add_u32_e32 v20, v8, v15
; %bb.74:
	s_or_b64 exec, exec, s[36:37]
	s_and_b64 s[0:1], s[0:1], exec
.LBB58_75:
	s_or_saveexec_b64 s[6:7], s[6:7]
	v_mov_b64_e32 v[6:7], 0
	v_add_u32_e32 v9, v8, v4
	s_xor_b64 exec, exec, s[6:7]
	s_cbranch_execz .LBB58_77
; %bb.76:
	ds_read_b128 v[4:7], v9
	v_lshl_add_u32 v20, v14, 4, v43
	s_or_b64 s[0:1], s[0:1], exec
	s_waitcnt lgkmcnt(0)
	v_xor_b32_e32 v7, 0x80000000, v7
	ds_write_b64 v20, v[4:5]
.LBB58_77:
	s_or_b64 exec, exec, s[6:7]
	s_and_saveexec_b64 s[6:7], s[0:1]
; %bb.78:
	ds_write_b64 v20, v[6:7] offset:8
; %bb.79:
	s_or_b64 exec, exec, s[6:7]
	s_mov_b64 s[0:1], 0
                                        ; implicit-def: $vgpr20
	s_and_saveexec_b64 s[6:7], s[8:9]
	s_xor_b64 s[6:7], exec, s[6:7]
	s_cbranch_execz .LBB58_83
; %bb.80:
	v_cmp_eq_u32_e32 vcc, v16, v10
                                        ; implicit-def: $vgpr20
	s_and_saveexec_b64 s[8:9], vcc
; %bb.81:
	s_mov_b64 s[0:1], exec
	v_add_u32_e32 v20, v8, v15
; %bb.82:
	s_or_b64 exec, exec, s[8:9]
	s_and_b64 s[0:1], s[0:1], exec
.LBB58_83:
	s_or_saveexec_b64 s[6:7], s[6:7]
	v_mov_b64_e32 v[6:7], 0
	v_add_u32_e32 v16, v8, v19
	s_xor_b64 exec, exec, s[6:7]
	s_cbranch_execz .LBB58_85
; %bb.84:
	ds_read_b128 v[4:7], v16
	v_lshl_add_u32 v19, v14, 4, v43
	v_add_u32_e32 v20, 16, v19
	s_or_b64 s[0:1], s[0:1], exec
	s_waitcnt lgkmcnt(0)
	v_xor_b32_e32 v7, 0x80000000, v7
	ds_write_b64 v19, v[4:5] offset:16
.LBB58_85:
	s_or_b64 exec, exec, s[6:7]
	s_and_saveexec_b64 s[6:7], s[0:1]
; %bb.86:
	ds_write_b64 v20, v[6:7] offset:8
; %bb.87:
	s_or_b64 exec, exec, s[6:7]
	s_mov_b64 s[0:1], 0
                                        ; implicit-def: $vgpr19
	s_and_saveexec_b64 s[6:7], s[10:11]
	s_xor_b64 s[6:7], exec, s[6:7]
	s_cbranch_execnz .LBB58_111
; %bb.88:
	s_or_saveexec_b64 s[6:7], s[6:7]
	v_mov_b64_e32 v[6:7], 0
	s_xor_b64 exec, exec, s[6:7]
	s_cbranch_execnz .LBB58_114
.LBB58_89:
	s_or_b64 exec, exec, s[6:7]
	s_and_saveexec_b64 s[6:7], s[0:1]
.LBB58_90:
	ds_write_b64 v19, v[6:7] offset:8
.LBB58_91:
	s_or_b64 exec, exec, s[6:7]
	s_mov_b64 s[0:1], 0
                                        ; implicit-def: $vgpr17
	s_and_saveexec_b64 s[6:7], s[12:13]
	s_xor_b64 s[6:7], exec, s[6:7]
	s_cbranch_execnz .LBB58_115
; %bb.92:
	s_or_saveexec_b64 s[6:7], s[6:7]
	v_mov_b64_e32 v[6:7], 0
	s_xor_b64 exec, exec, s[6:7]
	s_cbranch_execnz .LBB58_118
.LBB58_93:
	s_or_b64 exec, exec, s[6:7]
	s_and_saveexec_b64 s[6:7], s[0:1]
.LBB58_94:
	ds_write_b64 v17, v[6:7] offset:8
.LBB58_95:
	s_or_b64 exec, exec, s[6:7]
	s_waitcnt lgkmcnt(0)
	s_barrier
	ds_read_b128 v[4:7], v9
	ds_read_b128 v[18:21], v45 offset:512
	ds_read_b128 v[22:25], v45 offset:528
	;; [unrolled: 1-line block ×5, first 2 shown]
	ds_read_b128 v[50:53], v16
	s_waitcnt lgkmcnt(5)
	v_mul_f64 v[34:35], v[20:21], v[6:7]
	v_mul_f64 v[6:7], v[18:19], v[6:7]
	v_fmac_f64_e32 v[6:7], v[20:21], v[4:5]
	v_fma_f64 v[34:35], v[18:19], v[4:5], -v[34:35]
	v_add_f64 v[20:21], v[6:7], 0
	ds_read_b128 v[4:7], v16 offset:528
	s_waitcnt lgkmcnt(1)
	v_mul_f64 v[16:17], v[24:25], v[52:53]
	v_fma_f64 v[16:17], v[22:23], v[50:51], -v[16:17]
	v_mul_f64 v[22:23], v[22:23], v[52:53]
	v_add_f64 v[18:19], v[34:35], 0
	v_fmac_f64_e32 v[22:23], v[24:25], v[50:51]
	v_add_f64 v[16:17], v[18:19], v[16:17]
	v_add_f64 v[18:19], v[20:21], v[22:23]
	s_waitcnt lgkmcnt(0)
	v_mul_f64 v[20:21], v[28:29], v[6:7]
	v_mul_f64 v[6:7], v[26:27], v[6:7]
	v_fma_f64 v[20:21], v[26:27], v[4:5], -v[20:21]
	v_fmac_f64_e32 v[6:7], v[28:29], v[4:5]
	v_add_f64 v[4:5], v[16:17], v[20:21]
	v_add_f64 v[6:7], v[18:19], v[6:7]
	v_mul_f64 v[16:17], v[32:33], v[48:49]
	v_mul_f64 v[18:19], v[30:31], v[48:49]
	v_fma_f64 v[16:17], v[30:31], v[46:47], -v[16:17]
	v_fmac_f64_e32 v[18:19], v[32:33], v[46:47]
	v_add_f64 v[4:5], v[4:5], v[16:17]
	v_add_f64 v[6:7], v[6:7], v[18:19]
	v_cmp_eq_u32_e64 s[6:7], 1, v11
	s_barrier
	ds_write_b128 v44, v[4:7]
	s_waitcnt lgkmcnt(0)
	s_barrier
	s_and_saveexec_b64 s[0:1], s[6:7]
	s_cbranch_execz .LBB58_97
; %bb.96:
	ds_read_b128 v[0:3], v43
	ds_read_b128 v[4:7], v43 offset:16
	ds_read_b128 v[16:19], v43 offset:32
	;; [unrolled: 1-line block ×3, first 2 shown]
	s_waitcnt lgkmcnt(2)
	v_add_f64 v[0:1], v[4:5], v[0:1]
	v_add_f64 v[4:5], v[6:7], v[2:3]
	s_waitcnt lgkmcnt(1)
	v_add_f64 v[6:7], v[0:1], v[16:17]
	ds_read_b128 v[0:3], v43 offset:64
	v_add_f64 v[4:5], v[4:5], v[18:19]
	s_waitcnt lgkmcnt(1)
	v_add_f64 v[16:17], v[6:7], v[20:21]
	v_add_f64 v[20:21], v[4:5], v[22:23]
	ds_read_b128 v[4:7], v43 offset:80
	s_waitcnt lgkmcnt(1)
	v_add_f64 v[22:23], v[16:17], v[0:1]
	ds_read_b128 v[16:19], v43 offset:96
	v_add_f64 v[20:21], v[20:21], v[2:3]
	ds_read_b128 v[0:3], v43 offset:112
	s_waitcnt lgkmcnt(2)
	v_add_f64 v[4:5], v[22:23], v[4:5]
	v_add_f64 v[6:7], v[20:21], v[6:7]
	s_waitcnt lgkmcnt(1)
	v_add_f64 v[4:5], v[4:5], v[16:17]
	v_add_f64 v[6:7], v[6:7], v[18:19]
	;; [unrolled: 3-line block ×3, first 2 shown]
.LBB58_97:
	s_or_b64 exec, exec, s[0:1]
	s_lshl_b64 s[0:1], s[38:39], 4
	v_mov_b32_e32 v4, s1
	v_subrev_co_u32_e64 v40, s[0:1], s0, v12
	s_and_b64 vcc, exec, s[14:15]
	s_nop 0
	v_subb_co_u32_e64 v41, s[0:1], v13, v4, s[0:1]
	s_barrier
	s_cbranch_vccnz .LBB58_119
; %bb.98:
	flat_load_dwordx4 v[4:7], v[40:41]
	s_movk_i32 s8, 0x210
	s_lshl_b32 s0, s26, 3
	v_mad_u32_u24 v9, v11, s8, v8
	s_ashr_i32 s1, s0, 31
	v_lshl_add_u64 v[12:13], s[0:1], 4, v[40:41]
	s_ashr_i32 s27, s26, 31
	s_lshl_b64 s[0:1], s[26:27], 7
	s_waitcnt vmcnt(0) lgkmcnt(0)
	ds_write2_b64 v9, v[4:5], v[6:7] offset1:1
	flat_load_dwordx4 v[16:19], v[12:13]
	v_mov_b32_e32 v4, 0x1080
	v_mad_u32_u24 v5, v11, s8, v4
	v_add_u32_e32 v4, v8, v5
	v_lshl_add_u64 v[6:7], v[12:13], 0, s[0:1]
	v_add_u32_e32 v12, 16, v11
	v_add_u32_e32 v13, 24, v11
	s_waitcnt vmcnt(0) lgkmcnt(0)
	ds_write2_b64 v4, v[16:17], v[18:19] offset1:1
	flat_load_dwordx4 v[16:19], v[6:7]
	v_mov_b32_e32 v4, 0x2100
	v_mad_u32_u24 v4, v11, s8, v4
	v_add_u32_e32 v9, v8, v4
	v_lshl_add_u64 v[6:7], v[6:7], 0, s[0:1]
	s_waitcnt vmcnt(0) lgkmcnt(0)
	ds_write2_b64 v9, v[16:17], v[18:19] offset1:1
	flat_load_dwordx4 v[16:19], v[6:7]
	v_mov_b32_e32 v9, 0x3180
	v_mad_u32_u24 v15, v11, s8, v9
	v_mul_u32_u24_e32 v7, 0x210, v11
	v_add_u32_e32 v6, 8, v11
	v_add_u32_e32 v9, v8, v15
	s_waitcnt vmcnt(0) lgkmcnt(0)
	ds_write2_b64 v9, v[16:17], v[18:19] offset1:1
	s_cbranch_execz .LBB58_120
	s_branch .LBB58_137
.LBB58_99:
	v_cmp_eq_u32_e32 vcc, v16, v10
                                        ; implicit-def: $vgpr7
	s_and_saveexec_b64 s[10:11], vcc
; %bb.100:
	s_mov_b64 s[0:1], exec
	v_add_u32_e32 v7, v8, v15
; %bb.101:
	s_or_b64 exec, exec, s[10:11]
	s_and_b64 s[0:1], s[0:1], exec
	s_or_saveexec_b64 s[4:5], s[4:5]
	v_mov_b64_e32 v[2:3], 0
	s_xor_b64 exec, exec, s[4:5]
	s_cbranch_execz .LBB58_39
.LBB58_102:
	s_movk_i32 s10, 0x210
	v_mad_u32_u24 v0, v16, s10, v8
	ds_read_b128 v[0:3], v0
	v_lshl_add_u32 v9, v14, 4, v6
	v_add_u32_e32 v7, 16, v9
	s_or_b64 s[0:1], s[0:1], exec
	s_waitcnt lgkmcnt(0)
	v_xor_b32_e32 v3, 0x80000000, v3
	ds_write_b64 v9, v[0:1] offset:16
	s_or_b64 exec, exec, s[4:5]
	s_and_saveexec_b64 s[4:5], s[0:1]
	s_cbranch_execnz .LBB58_40
	s_branch .LBB58_41
.LBB58_103:
	v_cmp_eq_u32_e32 vcc, v17, v10
                                        ; implicit-def: $vgpr7
	s_and_saveexec_b64 s[12:13], vcc
; %bb.104:
	s_mov_b64 s[0:1], exec
	v_add_u32_e32 v7, v8, v15
; %bb.105:
	s_or_b64 exec, exec, s[12:13]
	s_and_b64 s[0:1], s[0:1], exec
	s_or_saveexec_b64 s[4:5], s[4:5]
	v_mov_b64_e32 v[2:3], 0
	s_xor_b64 exec, exec, s[4:5]
	s_cbranch_execz .LBB58_43
.LBB58_106:
	s_movk_i32 s12, 0x210
	v_mad_u32_u24 v0, v17, s12, v8
	ds_read_b128 v[0:3], v0
	v_lshl_add_u32 v9, v14, 4, v6
	v_add_u32_e32 v7, 32, v9
	s_or_b64 s[0:1], s[0:1], exec
	s_waitcnt lgkmcnt(0)
	v_xor_b32_e32 v3, 0x80000000, v3
	ds_write_b64 v9, v[0:1] offset:32
	s_or_b64 exec, exec, s[4:5]
	s_and_saveexec_b64 s[4:5], s[0:1]
	s_cbranch_execnz .LBB58_44
	s_branch .LBB58_45
.LBB58_107:
	v_cmp_eq_u32_e32 vcc, v18, v10
                                        ; implicit-def: $vgpr7
	s_and_saveexec_b64 s[14:15], vcc
; %bb.108:
	s_mov_b64 s[0:1], exec
	v_add_u32_e32 v7, v8, v15
; %bb.109:
	s_or_b64 exec, exec, s[14:15]
	s_and_b64 s[0:1], s[0:1], exec
                                        ; implicit-def: $vgpr6
	s_or_saveexec_b64 s[4:5], s[4:5]
	v_mov_b64_e32 v[2:3], 0
	s_xor_b64 exec, exec, s[4:5]
	s_cbranch_execz .LBB58_47
.LBB58_110:
	s_movk_i32 s14, 0x210
	v_mad_u32_u24 v0, v18, s14, v8
	ds_read_b128 v[0:3], v0
	v_lshl_add_u32 v6, v14, 4, v6
	v_add_u32_e32 v7, 48, v6
	s_or_b64 s[0:1], s[0:1], exec
	s_waitcnt lgkmcnt(0)
	v_xor_b32_e32 v3, 0x80000000, v3
	ds_write_b64 v6, v[0:1] offset:48
	s_or_b64 exec, exec, s[4:5]
	s_and_saveexec_b64 s[4:5], s[0:1]
	s_cbranch_execnz .LBB58_48
	s_branch .LBB58_49
.LBB58_111:
	v_cmp_eq_u32_e32 vcc, v17, v10
                                        ; implicit-def: $vgpr19
	s_and_saveexec_b64 s[8:9], vcc
; %bb.112:
	s_mov_b64 s[0:1], exec
	v_add_u32_e32 v19, v8, v15
; %bb.113:
	s_or_b64 exec, exec, s[8:9]
	s_and_b64 s[0:1], s[0:1], exec
	s_or_saveexec_b64 s[6:7], s[6:7]
	v_mov_b64_e32 v[6:7], 0
	s_xor_b64 exec, exec, s[6:7]
	s_cbranch_execz .LBB58_89
.LBB58_114:
	ds_read_b128 v[4:7], v16 offset:528
	v_lshl_add_u32 v17, v14, 4, v43
	v_add_u32_e32 v19, 32, v17
	s_or_b64 s[0:1], s[0:1], exec
	s_waitcnt lgkmcnt(0)
	v_xor_b32_e32 v7, 0x80000000, v7
	ds_write_b64 v17, v[4:5] offset:32
	s_or_b64 exec, exec, s[6:7]
	s_and_saveexec_b64 s[6:7], s[0:1]
	s_cbranch_execnz .LBB58_90
	s_branch .LBB58_91
.LBB58_115:
	v_cmp_eq_u32_e32 vcc, v18, v10
                                        ; implicit-def: $vgpr17
	s_and_saveexec_b64 s[8:9], vcc
; %bb.116:
	s_mov_b64 s[0:1], exec
	v_add_u32_e32 v17, v8, v15
; %bb.117:
	s_or_b64 exec, exec, s[8:9]
	s_and_b64 s[0:1], s[0:1], exec
	s_or_saveexec_b64 s[6:7], s[6:7]
	v_mov_b64_e32 v[6:7], 0
	s_xor_b64 exec, exec, s[6:7]
	s_cbranch_execz .LBB58_93
.LBB58_118:
	ds_read_b128 v[4:7], v16 offset:1056
	v_lshl_add_u32 v15, v14, 4, v43
	v_add_u32_e32 v17, 48, v15
	s_or_b64 s[0:1], s[0:1], exec
	s_waitcnt lgkmcnt(0)
	v_xor_b32_e32 v7, 0x80000000, v7
	ds_write_b64 v15, v[4:5] offset:48
	s_or_b64 exec, exec, s[6:7]
	s_and_saveexec_b64 s[6:7], s[0:1]
	s_cbranch_execnz .LBB58_94
	s_branch .LBB58_95
.LBB58_119:
                                        ; implicit-def: $vgpr7
                                        ; implicit-def: $vgpr6
                                        ; implicit-def: $vgpr5
                                        ; implicit-def: $vgpr12
                                        ; implicit-def: $vgpr4
                                        ; implicit-def: $vgpr13
                                        ; implicit-def: $vgpr15
.LBB58_120:
	v_or_b32_e32 v6, 32, v10
	v_lshlrev_b32_e32 v4, 4, v6
	v_sub_co_u32_e32 v4, vcc, v40, v4
	s_ashr_i32 s25, s24, 31
	s_nop 0
	v_subbrev_co_u32_e32 v5, vcc, 0, v41, vcc
	v_lshl_add_u64 v[4:5], s[24:25], 4, v[4:5]
	v_lshl_add_u64 v[4:5], v[4:5], 0, -16
	v_cmp_gt_i32_e32 vcc, s24, v6
	s_movk_i32 s8, 0x210
	v_cmp_le_i32_e64 s[0:1], s24, v11
	v_cndmask_b32_e32 v5, v5, v41, vcc
	v_cndmask_b32_e32 v4, v4, v40, vcc
	v_mad_u32_u24 v6, v11, s8, v8
	s_and_saveexec_b64 s[8:9], s[0:1]
	s_xor_b64 s[0:1], exec, s[8:9]
; %bb.121:
	v_mov_b32_e32 v16, 0
	v_mov_b32_e32 v17, v16
	;; [unrolled: 1-line block ×4, first 2 shown]
	ds_write_b128 v6, v[16:19]
                                        ; implicit-def: $vgpr6
; %bb.122:
	s_andn2_saveexec_b64 s[0:1], s[0:1]
	s_cbranch_execz .LBB58_124
; %bb.123:
	flat_load_dwordx4 v[16:19], v[4:5]
	s_waitcnt vmcnt(0) lgkmcnt(0)
	ds_write2_b64 v6, v[16:17], v[18:19] offset1:1
.LBB58_124:
	s_or_b64 exec, exec, s[0:1]
	v_add_u32_e32 v6, 8, v11
	v_mul_u32_u24_e32 v7, 0x210, v11
	v_cmp_le_i32_e64 s[0:1], s24, v6
	s_and_saveexec_b64 s[8:9], s[0:1]
	s_xor_b64 s[0:1], exec, s[8:9]
	s_cbranch_execz .LBB58_126
; %bb.125:
	v_mov_b32_e32 v16, 0
	v_add_u32_e32 v9, v7, v8
	v_mov_b32_e32 v17, v16
	v_mov_b32_e32 v18, v16
	;; [unrolled: 1-line block ×3, first 2 shown]
	ds_write_b128 v9, v[16:19] offset:4224
.LBB58_126:
	s_andn2_saveexec_b64 s[0:1], s[0:1]
	s_cbranch_execz .LBB58_128
; %bb.127:
	s_lshl_b32 s8, s26, 3
	s_ashr_i32 s9, s8, 31
	v_lshl_add_u64 v[12:13], s[8:9], 4, v[4:5]
	flat_load_dwordx4 v[16:19], v[12:13]
	s_movk_i32 s8, 0x1080
	v_add3_u32 v9, v7, v8, s8
	s_waitcnt vmcnt(0) lgkmcnt(0)
	ds_write2_b64 v9, v[16:17], v[18:19] offset1:1
.LBB58_128:
	s_or_b64 exec, exec, s[0:1]
	v_add_u32_e32 v12, 16, v11
	v_cmp_le_i32_e64 s[0:1], s24, v12
	s_and_saveexec_b64 s[8:9], s[0:1]
	s_xor_b64 s[0:1], exec, s[8:9]
	s_cbranch_execz .LBB58_130
; %bb.129:
	v_mov_b32_e32 v16, 0
	v_add_u32_e32 v9, v7, v8
	v_mov_b32_e32 v17, v16
	v_mov_b32_e32 v18, v16
	;; [unrolled: 1-line block ×3, first 2 shown]
	ds_write_b128 v9, v[16:19] offset:8448
.LBB58_130:
	s_andn2_saveexec_b64 s[0:1], s[0:1]
	s_cbranch_execz .LBB58_132
; %bb.131:
	s_lshl_b32 s8, s26, 4
	s_ashr_i32 s9, s8, 31
	v_lshl_add_u64 v[16:17], s[8:9], 4, v[4:5]
	flat_load_dwordx4 v[16:19], v[16:17]
	s_movk_i32 s8, 0x2100
	v_add3_u32 v9, v7, v8, s8
	s_waitcnt vmcnt(0) lgkmcnt(0)
	ds_write2_b64 v9, v[16:17], v[18:19] offset1:1
.LBB58_132:
	s_or_b64 exec, exec, s[0:1]
	v_add_u32_e32 v13, 24, v11
	v_cmp_le_i32_e64 s[0:1], s24, v13
                                        ; implicit-def: $vgpr15
	s_and_saveexec_b64 s[8:9], s[0:1]
	s_xor_b64 s[0:1], exec, s[8:9]
	s_cbranch_execz .LBB58_134
; %bb.133:
	v_add_u32_e32 v15, 0x3180, v7
	v_mov_b32_e32 v16, 0
	v_add_u32_e32 v9, v8, v15
	v_mov_b32_e32 v17, v16
	v_mov_b32_e32 v18, v16
	;; [unrolled: 1-line block ×3, first 2 shown]
	ds_write_b128 v9, v[16:19]
.LBB58_134:
	s_andn2_saveexec_b64 s[0:1], s[0:1]
	s_cbranch_execz .LBB58_136
; %bb.135:
	s_mul_i32 s8, s26, 24
	s_ashr_i32 s9, s8, 31
	v_lshl_add_u64 v[16:17], s[8:9], 4, v[4:5]
	flat_load_dwordx4 v[16:19], v[16:17]
	v_add_u32_e32 v15, 0x3180, v7
	v_add_u32_e32 v9, v8, v15
	s_waitcnt vmcnt(0) lgkmcnt(0)
	ds_write2_b64 v9, v[16:17], v[18:19] offset1:1
.LBB58_136:
	s_or_b64 exec, exec, s[0:1]
	v_mov_b32_e32 v9, 0
	v_lshl_add_u64 v[4:5], v[4:5], 0, v[8:9]
	s_lshl_b64 s[0:1], s[24:25], 4
	v_mov_b32_e32 v9, s1
	v_subrev_co_u32_e64 v4, s[0:1], s0, v4
	s_nop 1
	v_subb_co_u32_e64 v5, s[0:1], v5, v9, s[0:1]
	s_mov_b64 s[0:1], 0x210
	s_nop 0
	v_lshl_add_u64 v[4:5], v[4:5], 0, s[0:1]
	v_cndmask_b32_e32 v41, v5, v41, vcc
	v_cndmask_b32_e32 v40, v4, v40, vcc
	v_add_u32_e32 v5, 0x1080, v7
	v_add_u32_e32 v4, 0x2100, v7
.LBB58_137:
	v_lshlrev_b32_e32 v9, 4, v11
	s_waitcnt lgkmcnt(0)
	s_barrier
	v_add_u32_e32 v7, v8, v7
	ds_read_b128 v[20:23], v9 offset:18176
	ds_read_b128 v[24:27], v7
	v_lshlrev_b32_e32 v6, 4, v6
	v_add_u32_e32 v5, v8, v5
	ds_read_b128 v[46:49], v6 offset:18176
	ds_read_b128 v[50:53], v5
	v_lshlrev_b32_e32 v5, 4, v12
	;; [unrolled: 4-line block ×3, first 2 shown]
	s_waitcnt lgkmcnt(4)
	v_mul_f64 v[6:7], v[22:23], v[26:27]
	v_add_u32_e32 v4, v8, v15
	ds_read_b128 v[62:65], v5 offset:18176
	ds_read2_b64 v[66:69], v4 offset1:1
	v_fma_f64 v[6:7], v[20:21], v[24:25], -v[6:7]
	s_waitcnt lgkmcnt(4)
	v_mul_f64 v[10:11], v[48:49], v[52:53]
	v_add_f64 v[6:7], v[6:7], 0
	v_fma_f64 v[10:11], v[46:47], v[50:51], -v[10:11]
	v_add_f64 v[4:5], v[6:7], v[10:11]
	s_waitcnt lgkmcnt(2)
	v_mul_f64 v[6:7], v[56:57], v[60:61]
	v_fma_f64 v[6:7], v[54:55], v[58:59], -v[6:7]
	v_add_f64 v[4:5], v[4:5], v[6:7]
	s_waitcnt lgkmcnt(0)
	v_mul_f64 v[6:7], v[64:65], v[68:69]
	v_fma_f64 v[6:7], v[62:63], v[66:67], -v[6:7]
	v_add_f64 v[70:71], v[4:5], v[6:7]
	v_lshl_add_u32 v4, v14, 4, v43
	v_mul_f64 v[72:73], v[20:21], v[26:27]
	ds_read_b128 v[28:31], v4
	ds_read_b128 v[16:19], v4 offset:16
	ds_read_b128 v[8:11], v4 offset:32
	;; [unrolled: 1-line block ×3, first 2 shown]
	v_fmac_f64_e32 v[72:73], v[22:23], v[24:25]
	v_mul_f64 v[46:47], v[46:47], v[52:53]
	v_fmac_f64_e32 v[46:47], v[48:49], v[50:51]
	v_add_f64 v[48:49], v[72:73], 0
	ds_read_b128 v[32:35], v45 offset:512
	ds_read_b128 v[24:27], v45 offset:528
	ds_read_b128 v[20:23], v45 offset:544
	ds_read_b128 v[12:15], v45 offset:560
	v_add_f64 v[46:47], v[48:49], v[46:47]
	v_mul_f64 v[48:49], v[54:55], v[60:61]
	v_fmac_f64_e32 v[48:49], v[56:57], v[58:59]
	v_add_f64 v[46:47], v[46:47], v[48:49]
	v_mul_f64 v[48:49], v[62:63], v[68:69]
	v_fmac_f64_e32 v[48:49], v[64:65], v[66:67]
	v_add_f64 v[72:73], v[46:47], v[48:49]
	s_waitcnt lgkmcnt(0)
	s_barrier
	ds_write_b128 v44, v[70:73]
	s_waitcnt lgkmcnt(0)
	s_barrier
	s_and_saveexec_b64 s[0:1], s[6:7]
	s_cbranch_execz .LBB58_139
; %bb.138:
	ds_read_b128 v[46:49], v43
	ds_read_b128 v[50:53], v43 offset:16
	ds_read_b128 v[54:57], v43 offset:32
	;; [unrolled: 1-line block ×3, first 2 shown]
	s_waitcnt lgkmcnt(3)
	v_add_f64 v[0:1], v[0:1], v[46:47]
	v_add_f64 v[2:3], v[2:3], v[48:49]
	s_waitcnt lgkmcnt(2)
	v_add_f64 v[0:1], v[0:1], v[50:51]
	v_add_f64 v[46:47], v[2:3], v[52:53]
	s_waitcnt lgkmcnt(1)
	v_add_f64 v[48:49], v[0:1], v[54:55]
	ds_read_b128 v[0:3], v43 offset:64
	v_add_f64 v[46:47], v[46:47], v[56:57]
	s_waitcnt lgkmcnt(1)
	v_add_f64 v[50:51], v[48:49], v[58:59]
	v_add_f64 v[54:55], v[46:47], v[60:61]
	ds_read_b128 v[46:49], v43 offset:80
	s_waitcnt lgkmcnt(1)
	v_add_f64 v[56:57], v[50:51], v[0:1]
	ds_read_b128 v[50:53], v43 offset:96
	v_add_f64 v[54:55], v[54:55], v[2:3]
	ds_read_b128 v[0:3], v43 offset:112
	s_waitcnt lgkmcnt(2)
	v_add_f64 v[46:47], v[56:57], v[46:47]
	v_add_f64 v[48:49], v[54:55], v[48:49]
	s_waitcnt lgkmcnt(1)
	v_add_f64 v[46:47], v[46:47], v[50:51]
	v_add_f64 v[48:49], v[48:49], v[52:53]
	;; [unrolled: 3-line block ×3, first 2 shown]
.LBB58_139:
	s_or_b64 exec, exec, s[0:1]
	v_mul_f64 v[46:47], v[30:31], v[34:35]
	v_mul_f64 v[30:31], v[30:31], v[32:33]
	v_fmac_f64_e32 v[46:47], v[28:29], v[32:33]
	v_fma_f64 v[28:29], v[28:29], v[34:35], -v[30:31]
	v_mul_f64 v[32:33], v[18:19], v[26:27]
	v_mul_f64 v[18:19], v[18:19], v[24:25]
	v_add_f64 v[28:29], v[28:29], 0
	v_fmac_f64_e32 v[32:33], v[16:17], v[24:25]
	v_fma_f64 v[16:17], v[16:17], v[26:27], -v[18:19]
	v_mul_f64 v[24:25], v[10:11], v[22:23]
	v_mul_f64 v[10:11], v[10:11], v[20:21]
	v_add_f64 v[30:31], v[46:47], 0
	v_add_f64 v[16:17], v[28:29], v[16:17]
	v_fmac_f64_e32 v[24:25], v[8:9], v[20:21]
	v_fma_f64 v[8:9], v[8:9], v[22:23], -v[10:11]
	v_add_f64 v[18:19], v[30:31], v[32:33]
	v_add_f64 v[8:9], v[16:17], v[8:9]
	v_mul_f64 v[16:17], v[6:7], v[14:15]
	v_mul_f64 v[6:7], v[6:7], v[12:13]
	v_add_f64 v[10:11], v[18:19], v[24:25]
	v_fmac_f64_e32 v[16:17], v[4:5], v[12:13]
	v_fma_f64 v[6:7], v[4:5], v[14:15], -v[6:7]
	v_add_f64 v[4:5], v[10:11], v[16:17]
	v_add_f64 v[6:7], v[8:9], v[6:7]
	s_barrier
	ds_write_b128 v44, v[4:7]
	s_waitcnt lgkmcnt(0)
	s_barrier
	s_and_saveexec_b64 s[0:1], s[4:5]
	s_cbranch_execz .LBB58_141
; %bb.140:
	ds_read_b128 v[4:7], v43
	ds_read_b128 v[8:11], v43 offset:16
	ds_read_b128 v[12:15], v43 offset:32
	;; [unrolled: 1-line block ×3, first 2 shown]
	s_waitcnt lgkmcnt(3)
	v_add_f64 v[0:1], v[0:1], v[4:5]
	v_add_f64 v[2:3], v[2:3], v[6:7]
	s_waitcnt lgkmcnt(2)
	v_add_f64 v[0:1], v[0:1], v[8:9]
	v_add_f64 v[4:5], v[2:3], v[10:11]
	s_waitcnt lgkmcnt(1)
	v_add_f64 v[6:7], v[0:1], v[12:13]
	ds_read_b128 v[0:3], v43 offset:64
	v_add_f64 v[4:5], v[4:5], v[14:15]
	s_waitcnt lgkmcnt(1)
	v_add_f64 v[8:9], v[6:7], v[16:17]
	v_add_f64 v[12:13], v[4:5], v[18:19]
	ds_read_b128 v[4:7], v43 offset:80
	s_waitcnt lgkmcnt(1)
	v_add_f64 v[14:15], v[8:9], v[0:1]
	ds_read_b128 v[8:11], v43 offset:96
	v_add_f64 v[12:13], v[12:13], v[2:3]
	ds_read_b128 v[0:3], v43 offset:112
	s_waitcnt lgkmcnt(2)
	v_add_f64 v[4:5], v[14:15], v[4:5]
	v_add_f64 v[6:7], v[12:13], v[6:7]
	s_waitcnt lgkmcnt(1)
	v_add_f64 v[4:5], v[4:5], v[8:9]
	v_add_f64 v[6:7], v[6:7], v[10:11]
	;; [unrolled: 3-line block ×3, first 2 shown]
.LBB58_141:
	s_or_b64 exec, exec, s[0:1]
	s_mul_hi_u32 s0, s21, s20
	s_mul_i32 s40, s40, s20
	s_add_i32 s0, s0, s40
	s_mul_i32 s4, s21, s20
	s_mul_i32 s0, s0, s33
	s_mul_hi_u32 s1, s4, s33
	s_add_i32 s1, s1, s0
	s_mul_i32 s0, s4, s33
	s_lshl_b64 s[0:1], s[0:1], 4
	s_add_u32 s4, s22, s0
	s_mul_i32 s0, s21, s2
	s_addc_u32 s5, s23, s1
	s_ashr_i32 s1, s0, 31
	s_lshl_b64 s[0:1], s[0:1], 4
	s_add_u32 s6, s4, s0
	v_cmp_le_i32_e32 vcc, s24, v150
	s_addc_u32 s7, s5, s1
	s_and_b64 vcc, s[34:35], vcc
	s_cmp_lt_i32 s2, 1
	v_lshlrev_b32_e32 v156, 4, v150
	s_barrier
	s_cbranch_scc1 .LBB58_148
; %bb.142:
	s_mul_i32 s0, s3, s28
	s_ashr_i32 s1, s0, 31
	s_lshl_b64 s[0:1], s[0:1], 4
	v_mov_b32_e32 v4, s1
	v_subrev_co_u32_e64 v152, s[0:1], s0, v36
	v_lshlrev_b64 v[6:7], 4, v[38:39]
	s_nop 0
	v_subb_co_u32_e64 v153, s[0:1], v37, v4, s[0:1]
	s_lshl_b64 s[0:1], s[30:31], 4
	s_nop 0
	v_mov_b32_e32 v5, s1
	v_subrev_co_u32_e64 v4, s[0:1], s0, v40
	s_ashr_i32 s25, s24, 31
	s_nop 0
	v_subb_co_u32_e64 v5, s[0:1], v41, v5, s[0:1]
	s_movk_i32 s0, 0xfe00
	s_mov_b32 s1, -1
	v_lshl_add_u64 v[4:5], v[4:5], 0, s[0:1]
	v_sub_co_u32_e64 v4, s[0:1], v4, v6
	v_mul_lo_u32 v6, v149, s26
	v_lshl_add_u32 v6, v6, 2, v150
	v_subb_co_u32_e64 v5, s[0:1], v5, v7, s[0:1]
	v_ashrrev_i32_e32 v7, 31, v6
	v_lshl_add_u64 v[4:5], v[6:7], 4, v[4:5]
	v_sub_co_u32_e64 v6, s[0:1], v4, v156
	v_lshrrev_b32_e32 v10, 4, v42
	s_nop 0
	v_subbrev_co_u32_e64 v7, s[0:1], 0, v5, s[0:1]
	v_lshl_add_u64 v[6:7], s[24:25], 4, v[6:7]
	v_lshl_add_u64 v[6:7], v[6:7], 0, -16
	v_cndmask_b32_e32 v9, v5, v7, vcc
	v_cndmask_b32_e32 v8, v4, v6, vcc
	v_mov_b32_e32 v4, 0x4300
	s_movk_i32 s0, 0x10c0
	v_and_b32_e32 v5, 48, v150
	v_and_b32_e32 v11, 15, v150
	v_lshl_add_u32 v158, v149, 6, v4
	v_mad_u32_u24 v160, v149, s0, v156
	v_lshlrev_b32_e32 v4, 6, v10
	s_movk_i32 s0, 0x430
	v_lshlrev_b32_e32 v5, 4, v5
	v_mad_u32_u24 v161, v11, s0, v4
	v_mul_i32_i24_e32 v4, 0xffffffd0, v10
	v_mad_u32_u24 v162, v11, s0, v5
	v_or_b32_e32 v5, 0xf0, v156
	s_ashr_i32 s27, s26, 31
	v_mov_b32_e32 v151, 0
	s_lshl_b32 s3, s3, 6
	v_add_u32_e32 v157, 0x4300, v156
	v_add_u32_e32 v159, 0x4700, v156
	v_cmp_gt_u32_e64 s[4:5], 64, v42
	v_mad_u32_u24 v163, v11, s0, v5
	s_lshl_b64 s[0:1], s[26:27], 4
	s_mul_hi_i32 s9, s26, 0xd0
	s_mul_i32 s8, s26, 0xd0
	s_mov_b32 s10, 0
	v_add_u32_e32 v164, v161, v4
	s_branch .LBB58_144
.LBB58_143:                             ;   in Loop: Header=BB58_144 Depth=1
	s_or_b64 exec, exec, s[12:13]
	v_mul_f64 v[132:133], v[6:7], v[34:35]
	v_fma_f64 v[132:133], v[4:5], v[32:33], -v[132:133]
	v_mul_f64 v[4:5], v[4:5], v[34:35]
	v_mul_f64 v[34:35], v[10:11], v[30:31]
	v_add_f64 v[0:1], v[0:1], v[132:133]
	v_fma_f64 v[34:35], v[8:9], v[28:29], -v[34:35]
	v_mul_f64 v[8:9], v[8:9], v[30:31]
	v_mul_f64 v[30:31], v[14:15], v[26:27]
	v_add_f64 v[0:1], v[0:1], v[34:35]
	v_fma_f64 v[30:31], v[12:13], v[24:25], -v[30:31]
	v_mul_f64 v[12:13], v[12:13], v[26:27]
	v_mul_f64 v[26:27], v[18:19], v[22:23]
	v_fmac_f64_e32 v[4:5], v[6:7], v[32:33]
	v_add_f64 v[0:1], v[0:1], v[30:31]
	v_fma_f64 v[26:27], v[16:17], v[20:21], -v[26:27]
	v_add_f64 v[2:3], v[2:3], v[4:5]
	v_mul_f64 v[4:5], v[38:39], v[70:71]
	v_add_f64 v[0:1], v[0:1], v[26:27]
	v_fma_f64 v[4:5], v[36:37], v[68:69], -v[4:5]
	v_add_f64 v[0:1], v[0:1], v[4:5]
	v_mul_f64 v[4:5], v[42:43], v[66:67]
	v_fma_f64 v[4:5], v[40:41], v[64:65], -v[4:5]
	v_add_f64 v[0:1], v[0:1], v[4:5]
	v_mul_f64 v[4:5], v[46:47], v[58:59]
	v_fma_f64 v[4:5], v[44:45], v[56:57], -v[4:5]
	v_add_f64 v[0:1], v[0:1], v[4:5]
	v_mul_f64 v[4:5], v[50:51], v[54:55]
	v_fma_f64 v[4:5], v[48:49], v[52:53], -v[4:5]
	v_add_f64 v[0:1], v[0:1], v[4:5]
	v_mul_f64 v[4:5], v[62:63], v[110:111]
	v_fmac_f64_e32 v[8:9], v[10:11], v[28:29]
	v_fma_f64 v[4:5], v[60:61], v[108:109], -v[4:5]
	v_mul_f64 v[16:17], v[16:17], v[22:23]
	v_add_f64 v[2:3], v[2:3], v[8:9]
	v_fmac_f64_e32 v[12:13], v[14:15], v[24:25]
	v_add_f64 v[0:1], v[0:1], v[4:5]
	v_mul_f64 v[4:5], v[74:75], v[106:107]
	v_add_f64 v[2:3], v[2:3], v[12:13]
	v_fmac_f64_e32 v[16:17], v[18:19], v[20:21]
	v_mul_f64 v[6:7], v[36:37], v[70:71]
	v_fma_f64 v[4:5], v[72:73], v[104:105], -v[4:5]
	v_add_f64 v[2:3], v[2:3], v[16:17]
	v_mul_f64 v[8:9], v[40:41], v[66:67]
	v_fmac_f64_e32 v[6:7], v[38:39], v[68:69]
	v_add_f64 v[0:1], v[0:1], v[4:5]
	v_mul_f64 v[4:5], v[78:79], v[98:99]
	v_mul_f64 v[10:11], v[44:45], v[58:59]
	v_add_f64 v[2:3], v[2:3], v[6:7]
	v_fmac_f64_e32 v[8:9], v[42:43], v[64:65]
	v_fma_f64 v[4:5], v[76:77], v[96:97], -v[4:5]
	v_mul_f64 v[12:13], v[48:49], v[54:55]
	v_add_f64 v[2:3], v[2:3], v[8:9]
	v_fmac_f64_e32 v[10:11], v[46:47], v[56:57]
	v_add_f64 v[0:1], v[0:1], v[4:5]
	v_mul_f64 v[4:5], v[82:83], v[86:87]
	v_add_f64 v[2:3], v[2:3], v[10:11]
	v_fmac_f64_e32 v[12:13], v[50:51], v[52:53]
	v_mul_f64 v[6:7], v[60:61], v[110:111]
	v_fma_f64 v[4:5], v[80:81], v[84:85], -v[4:5]
	v_add_f64 v[2:3], v[2:3], v[12:13]
	v_mul_f64 v[8:9], v[72:73], v[106:107]
	v_add_f64 v[0:1], v[0:1], v[4:5]
	v_fmac_f64_e32 v[6:7], v[62:63], v[108:109]
	v_mul_f64 v[4:5], v[90:91], v[118:119]
	v_mul_f64 v[10:11], v[76:77], v[98:99]
	v_add_f64 v[2:3], v[2:3], v[6:7]
	v_fmac_f64_e32 v[8:9], v[74:75], v[104:105]
	v_fma_f64 v[4:5], v[88:89], v[116:117], -v[4:5]
	v_mul_f64 v[12:13], v[80:81], v[86:87]
	v_add_f64 v[2:3], v[2:3], v[8:9]
	v_fmac_f64_e32 v[10:11], v[78:79], v[96:97]
	v_add_f64 v[0:1], v[0:1], v[4:5]
	v_mul_f64 v[4:5], v[94:95], v[122:123]
	v_add_f64 v[2:3], v[2:3], v[10:11]
	v_fmac_f64_e32 v[12:13], v[82:83], v[84:85]
	v_mul_f64 v[6:7], v[88:89], v[118:119]
	v_fma_f64 v[4:5], v[92:93], v[120:121], -v[4:5]
	v_add_f64 v[2:3], v[2:3], v[12:13]
	v_mul_f64 v[8:9], v[92:93], v[122:123]
	v_add_f64 v[0:1], v[0:1], v[4:5]
	v_mul_f64 v[4:5], v[102:103], v[126:127]
	v_fmac_f64_e32 v[6:7], v[90:91], v[116:117]
	v_fma_f64 v[4:5], v[100:101], v[124:125], -v[4:5]
	v_mul_f64 v[10:11], v[100:101], v[126:127]
	v_fmac_f64_e32 v[8:9], v[94:95], v[120:121]
	v_add_f64 v[2:3], v[2:3], v[6:7]
	v_add_f64 v[0:1], v[0:1], v[4:5]
	v_mul_f64 v[4:5], v[114:115], v[130:131]
	v_mul_f64 v[12:13], v[112:113], v[130:131]
	v_fmac_f64_e32 v[10:11], v[102:103], v[124:125]
	v_add_f64 v[2:3], v[2:3], v[8:9]
	v_fma_f64 v[4:5], v[112:113], v[128:129], -v[4:5]
	v_fmac_f64_e32 v[12:13], v[114:115], v[128:129]
	v_add_f64 v[2:3], v[2:3], v[10:11]
	s_add_i32 s2, s2, -1
	s_add_i32 s10, s10, s3
	v_add_f64 v[0:1], v[0:1], v[4:5]
	v_add_f64 v[2:3], v[2:3], v[12:13]
	v_add_u32_e32 v150, 64, v150
	s_cmp_eq_u32 s2, 0
	v_lshl_add_u64 v[8:9], v[154:155], 0, s[8:9]
	s_barrier
	s_cbranch_scc1 .LBB58_148
.LBB58_144:                             ; =>This Inner Loop Header: Depth=1
	s_and_saveexec_b64 s[12:13], s[18:19]
	s_cbranch_execz .LBB58_146
; %bb.145:                              ;   in Loop: Header=BB58_144 Depth=1
	s_ashr_i32 s11, s10, 31
	v_lshl_add_u64 v[4:5], s[10:11], 4, v[152:153]
	flat_load_dwordx4 v[4:7], v[4:5]
	s_waitcnt vmcnt(0) lgkmcnt(0)
	ds_write2_b64 v157, v[4:5], v[6:7] offset1:1
.LBB58_146:                             ;   in Loop: Header=BB58_144 Depth=1
	s_or_b64 exec, exec, s[12:13]
	v_lshl_add_u64 v[12:13], v[8:9], 0, s[0:1]
	s_waitcnt lgkmcnt(0)
	s_barrier
	flat_load_dwordx4 v[4:7], v[8:9]
	v_lshl_add_u64 v[16:17], v[12:13], 0, s[0:1]
	flat_load_dwordx4 v[8:11], v[12:13]
	v_lshl_add_u64 v[40:41], v[16:17], 0, s[0:1]
	;; [unrolled: 2-line block ×3, first 2 shown]
	flat_load_dwordx4 v[16:19], v[40:41]
	ds_read_b128 v[36:39], v159
	ds_read_b128 v[32:35], v158
	ds_read_b128 v[28:31], v158 offset:16
	ds_read_b128 v[24:27], v158 offset:32
	;; [unrolled: 1-line block ×3, first 2 shown]
	s_waitcnt vmcnt(0) lgkmcnt(0)
	v_mul_f64 v[40:41], v[6:7], v[38:39]
	v_mul_f64 v[42:43], v[6:7], v[36:37]
	;; [unrolled: 1-line block ×4, first 2 shown]
	v_fmac_f64_e32 v[44:45], v[8:9], v[36:37]
	v_fma_f64 v[46:47], v[8:9], v[38:39], -v[46:47]
	v_fmac_f64_e32 v[40:41], v[4:5], v[36:37]
	v_fma_f64 v[42:43], v[4:5], v[38:39], -v[42:43]
	ds_write_b128 v160, v[44:47] offset:1072
	v_mul_f64 v[44:45], v[18:19], v[38:39]
	v_mul_f64 v[46:47], v[18:19], v[36:37]
	ds_write_b128 v160, v[40:43]
	v_mul_f64 v[40:41], v[14:15], v[38:39]
	v_mul_f64 v[42:43], v[14:15], v[36:37]
	v_fmac_f64_e32 v[44:45], v[16:17], v[36:37]
	v_fma_f64 v[46:47], v[16:17], v[38:39], -v[46:47]
	v_fmac_f64_e32 v[40:41], v[12:13], v[36:37]
	v_fma_f64 v[42:43], v[12:13], v[38:39], -v[42:43]
	ds_write_b128 v160, v[44:47] offset:3216
	v_lshl_add_u64 v[44:45], v[48:49], 0, s[0:1]
	ds_write_b128 v160, v[40:43] offset:2144
	s_waitcnt lgkmcnt(0)
	s_barrier
	ds_read_b128 v[128:131], v161
	ds_read_b128 v[124:127], v161 offset:16
	ds_read_b128 v[120:123], v161 offset:32
	;; [unrolled: 1-line block ×3, first 2 shown]
	s_waitcnt lgkmcnt(0)
	s_barrier
	flat_load_dwordx4 v[36:39], v[48:49]
	flat_load_dwordx4 v[40:43], v[44:45]
	v_lshl_add_u64 v[48:49], v[44:45], 0, s[0:1]
	v_lshl_add_u64 v[52:53], v[48:49], 0, s[0:1]
	flat_load_dwordx4 v[44:47], v[48:49]
	v_lshl_add_u64 v[88:89], v[52:53], 0, s[8:9]
	flat_load_dwordx4 v[48:51], v[52:53]
	ds_read_b128 v[60:63], v159
	ds_read_b128 v[68:71], v158 offset:256
	ds_read_b128 v[64:67], v158 offset:272
	ds_read_b128 v[56:59], v158 offset:288
	ds_read_b128 v[52:55], v158 offset:304
	v_add_f64 v[128:129], v[128:129], 0
	v_add_f64 v[130:131], v[130:131], 0
	;; [unrolled: 1-line block ×8, first 2 shown]
	s_waitcnt vmcnt(0) lgkmcnt(0)
	v_mul_f64 v[72:73], v[38:39], v[62:63]
	v_mul_f64 v[74:75], v[38:39], v[60:61]
	;; [unrolled: 1-line block ×8, first 2 shown]
	v_fma_f64 v[74:75], v[36:37], v[62:63], -v[74:75]
	v_fmac_f64_e32 v[72:73], v[36:37], v[60:61]
	v_fmac_f64_e32 v[76:77], v[40:41], v[60:61]
	v_fma_f64 v[78:79], v[40:41], v[62:63], -v[78:79]
	v_fma_f64 v[82:83], v[44:45], v[62:63], -v[82:83]
	;; [unrolled: 1-line block ×3, first 2 shown]
	v_fmac_f64_e32 v[80:81], v[44:45], v[60:61]
	v_fmac_f64_e32 v[84:85], v[48:49], v[60:61]
	ds_write_b128 v160, v[72:75]
	ds_write_b128 v160, v[76:79] offset:1072
	ds_write_b128 v160, v[80:83] offset:2144
	ds_write_b128 v160, v[84:87] offset:3216
	v_lshl_add_u64 v[76:77], v[88:89], 0, s[0:1]
	v_lshl_add_u64 v[80:81], v[76:77], 0, s[0:1]
	s_waitcnt lgkmcnt(0)
	s_barrier
	ds_read_b128 v[144:147], v161
	ds_read_b128 v[140:143], v161 offset:16
	ds_read_b128 v[136:139], v161 offset:32
	;; [unrolled: 1-line block ×3, first 2 shown]
	s_waitcnt lgkmcnt(0)
	s_barrier
	flat_load_dwordx4 v[60:63], v[88:89]
	flat_load_dwordx4 v[72:75], v[76:77]
	v_lshl_add_u64 v[84:85], v[80:81], 0, s[0:1]
	flat_load_dwordx4 v[76:79], v[80:81]
	v_lshl_add_u64 v[154:155], v[84:85], 0, s[8:9]
	flat_load_dwordx4 v[80:83], v[84:85]
	ds_read_b128 v[88:91], v159
	ds_read_b128 v[108:111], v158 offset:512
	ds_read_b128 v[104:107], v158 offset:528
	;; [unrolled: 1-line block ×4, first 2 shown]
	v_add_f64 v[116:117], v[144:145], 0
	v_add_f64 v[118:119], v[146:147], 0
	;; [unrolled: 1-line block ×8, first 2 shown]
	s_waitcnt vmcnt(0) lgkmcnt(0)
	v_mul_f64 v[94:95], v[62:63], v[88:89]
	v_mul_f64 v[92:93], v[62:63], v[90:91]
	;; [unrolled: 1-line block ×8, first 2 shown]
	v_fma_f64 v[94:95], v[60:61], v[90:91], -v[94:95]
	v_fmac_f64_e32 v[92:93], v[60:61], v[88:89]
	v_fmac_f64_e32 v[100:101], v[72:73], v[88:89]
	v_fma_f64 v[102:103], v[72:73], v[90:91], -v[102:103]
	v_fma_f64 v[114:115], v[76:77], v[90:91], -v[114:115]
	v_fma_f64 v[168:169], v[80:81], v[90:91], -v[168:169]
	v_fmac_f64_e32 v[112:113], v[76:77], v[88:89]
	v_fmac_f64_e32 v[166:167], v[80:81], v[88:89]
	ds_write_b128 v160, v[92:95]
	ds_write_b128 v160, v[100:103] offset:1072
	ds_write_b128 v160, v[112:115] offset:2144
	ds_write_b128 v160, v[166:169] offset:3216
	v_lshl_add_u64 v[100:101], v[154:155], 0, s[0:1]
	v_lshl_add_u64 v[112:113], v[100:101], 0, s[0:1]
	s_waitcnt lgkmcnt(0)
	s_barrier
	ds_read_b128 v[166:169], v161
	ds_read_b128 v[170:173], v161 offset:16
	ds_read_b128 v[174:177], v161 offset:32
	;; [unrolled: 1-line block ×3, first 2 shown]
	s_waitcnt lgkmcnt(0)
	s_barrier
	flat_load_dwordx4 v[88:91], v[154:155]
	flat_load_dwordx4 v[92:95], v[100:101]
	v_lshl_add_u64 v[154:155], v[112:113], 0, s[0:1]
	flat_load_dwordx4 v[100:103], v[112:113]
	v_add_f64 v[140:141], v[166:167], 0
	flat_load_dwordx4 v[112:115], v[154:155]
	ds_read_b128 v[136:139], v159
	ds_read_b128 v[116:119], v158 offset:768
	ds_read_b128 v[120:123], v158 offset:784
	;; [unrolled: 1-line block ×4, first 2 shown]
	v_add_f64 v[142:143], v[168:169], 0
	v_add_f64 v[140:141], v[140:141], v[170:171]
	;; [unrolled: 1-line block ×7, first 2 shown]
	s_waitcnt vmcnt(0) lgkmcnt(0)
	v_mul_f64 v[146:147], v[90:91], v[136:137]
	v_mul_f64 v[144:145], v[90:91], v[138:139]
	;; [unrolled: 1-line block ×8, first 2 shown]
	v_fma_f64 v[146:147], v[88:89], v[138:139], -v[146:147]
	v_fma_f64 v[168:169], v[92:93], v[138:139], -v[168:169]
	;; [unrolled: 1-line block ×3, first 2 shown]
	v_fmac_f64_e32 v[144:145], v[88:89], v[136:137]
	v_fmac_f64_e32 v[166:167], v[92:93], v[136:137]
	;; [unrolled: 1-line block ×3, first 2 shown]
	v_fma_f64 v[176:177], v[112:113], v[138:139], -v[176:177]
	v_fmac_f64_e32 v[174:175], v[112:113], v[136:137]
	ds_write_b128 v160, v[144:147]
	ds_write_b128 v160, v[166:169] offset:1072
	ds_write_b128 v160, v[170:173] offset:2144
	;; [unrolled: 1-line block ×3, first 2 shown]
	s_waitcnt lgkmcnt(0)
	s_barrier
	ds_read_b128 v[136:139], v161
	ds_read_b128 v[144:147], v161 offset:16
	ds_read_b128 v[166:169], v161 offset:32
	;; [unrolled: 1-line block ×3, first 2 shown]
	s_waitcnt lgkmcnt(0)
	s_barrier
	ds_write_b128 v164, v[182:185]
	ds_write_b128 v164, v[132:135] offset:256
	ds_write_b128 v164, v[140:143] offset:512
	v_add_f64 v[132:133], v[136:137], 0
	v_add_f64 v[134:135], v[138:139], 0
	v_add_f64 v[132:133], v[132:133], v[144:145]
	v_add_f64 v[134:135], v[134:135], v[146:147]
	v_add_f64 v[132:133], v[132:133], v[166:167]
	v_add_f64 v[134:135], v[134:135], v[168:169]
	v_add_f64 v[132:133], v[132:133], v[170:171]
	v_add_f64 v[134:135], v[134:135], v[172:173]
	ds_write_b128 v164, v[132:135] offset:768
	s_waitcnt lgkmcnt(0)
	s_barrier
	s_and_saveexec_b64 s[12:13], s[4:5]
	s_cbranch_execz .LBB58_143
; %bb.147:                              ;   in Loop: Header=BB58_144 Depth=1
	ds_read_b128 v[132:135], v162
	ds_read_b128 v[136:139], v162 offset:16
	ds_read_b128 v[140:143], v162 offset:32
	;; [unrolled: 1-line block ×3, first 2 shown]
	s_waitcnt lgkmcnt(2)
	v_add_f64 v[132:133], v[136:137], v[132:133]
	v_add_f64 v[136:137], v[138:139], v[134:135]
	s_waitcnt lgkmcnt(1)
	v_add_f64 v[138:139], v[132:133], v[140:141]
	ds_read_b128 v[132:135], v162 offset:64
	v_add_f64 v[140:141], v[136:137], v[142:143]
	s_waitcnt lgkmcnt(1)
	v_add_f64 v[142:143], v[138:139], v[144:145]
	ds_read_b128 v[136:139], v162 offset:80
	;; [unrolled: 4-line block ×9, first 2 shown]
	v_add_f64 v[134:135], v[144:145], v[134:135]
	s_waitcnt lgkmcnt(1)
	v_add_f64 v[136:137], v[132:133], v[136:137]
	v_add_f64 v[144:145], v[134:135], v[138:139]
	ds_read_b128 v[132:135], v162 offset:208
	s_waitcnt lgkmcnt(1)
	v_add_f64 v[146:147], v[136:137], v[140:141]
	ds_read_b128 v[136:139], v162 offset:224
	v_add_f64 v[144:145], v[144:145], v[142:143]
	ds_read_b128 v[140:143], v163
	s_waitcnt lgkmcnt(2)
	v_add_f64 v[132:133], v[146:147], v[132:133]
	v_add_f64 v[134:135], v[144:145], v[134:135]
	s_waitcnt lgkmcnt(1)
	v_add_f64 v[132:133], v[132:133], v[136:137]
	v_add_f64 v[134:135], v[134:135], v[138:139]
	;; [unrolled: 3-line block ×3, first 2 shown]
	v_lshl_add_u64 v[136:137], v[150:151], 4, s[6:7]
	global_store_dwordx4 v[136:137], v[132:135], off
	s_branch .LBB58_143
.LBB58_148:
	s_movk_i32 s0, 0x430
	v_mad_u32_u24 v4, v149, s0, v156
	s_nor_b64 s[0:1], s[16:17], vcc
	ds_write_b128 v4, v[0:3]
	s_waitcnt lgkmcnt(0)
	s_barrier
	s_and_saveexec_b64 s[2:3], s[0:1]
	s_cbranch_execz .LBB58_150
; %bb.149:
	ds_read_b128 v[0:3], v156 offset:1072
	ds_read_b128 v[4:7], v156
	ds_read_b128 v[8:11], v156 offset:2144
	ds_read_b128 v[12:15], v156 offset:3216
	v_ashrrev_i32_e32 v149, 31, v148
	s_waitcnt lgkmcnt(2)
	v_add_f64 v[0:1], v[0:1], v[4:5]
	v_add_f64 v[2:3], v[2:3], v[6:7]
	s_waitcnt lgkmcnt(1)
	v_add_f64 v[0:1], v[0:1], v[8:9]
	v_add_f64 v[2:3], v[2:3], v[10:11]
	;; [unrolled: 3-line block ×3, first 2 shown]
	v_lshl_add_u64 v[4:5], v[148:149], 4, s[6:7]
	global_store_dwordx4 v[4:5], v[0:3], off
.LBB58_150:
	s_endpgm
	.section	.rodata,"a",@progbits
	.p2align	6, 0x0
	.amdhsa_kernel _ZL26rocblas_hemvn_kernel_lowerILb1ELi64ELi4ELi33ELi32ELi16EiPK19rocblas_complex_numIdEPKS3_PS1_EviT6_lT7_lT5_lS8_lS9_lS7_lT8_i
		.amdhsa_group_segment_fixed_size 19200
		.amdhsa_private_segment_fixed_size 0
		.amdhsa_kernarg_size 376
		.amdhsa_user_sgpr_count 2
		.amdhsa_user_sgpr_dispatch_ptr 0
		.amdhsa_user_sgpr_queue_ptr 0
		.amdhsa_user_sgpr_kernarg_segment_ptr 1
		.amdhsa_user_sgpr_dispatch_id 0
		.amdhsa_user_sgpr_kernarg_preload_length 0
		.amdhsa_user_sgpr_kernarg_preload_offset 0
		.amdhsa_user_sgpr_private_segment_size 0
		.amdhsa_uses_dynamic_stack 0
		.amdhsa_enable_private_segment 0
		.amdhsa_system_sgpr_workgroup_id_x 1
		.amdhsa_system_sgpr_workgroup_id_y 0
		.amdhsa_system_sgpr_workgroup_id_z 1
		.amdhsa_system_sgpr_workgroup_info 0
		.amdhsa_system_vgpr_workitem_id 1
		.amdhsa_next_free_vgpr 186
		.amdhsa_next_free_sgpr 41
		.amdhsa_accum_offset 188
		.amdhsa_reserve_vcc 1
		.amdhsa_float_round_mode_32 0
		.amdhsa_float_round_mode_16_64 0
		.amdhsa_float_denorm_mode_32 3
		.amdhsa_float_denorm_mode_16_64 3
		.amdhsa_dx10_clamp 1
		.amdhsa_ieee_mode 1
		.amdhsa_fp16_overflow 0
		.amdhsa_tg_split 0
		.amdhsa_exception_fp_ieee_invalid_op 0
		.amdhsa_exception_fp_denorm_src 0
		.amdhsa_exception_fp_ieee_div_zero 0
		.amdhsa_exception_fp_ieee_overflow 0
		.amdhsa_exception_fp_ieee_underflow 0
		.amdhsa_exception_fp_ieee_inexact 0
		.amdhsa_exception_int_div_zero 0
	.end_amdhsa_kernel
	.section	.text._ZL26rocblas_hemvn_kernel_lowerILb1ELi64ELi4ELi33ELi32ELi16EiPK19rocblas_complex_numIdEPKS3_PS1_EviT6_lT7_lT5_lS8_lS9_lS7_lT8_i,"axG",@progbits,_ZL26rocblas_hemvn_kernel_lowerILb1ELi64ELi4ELi33ELi32ELi16EiPK19rocblas_complex_numIdEPKS3_PS1_EviT6_lT7_lT5_lS8_lS9_lS7_lT8_i,comdat
.Lfunc_end58:
	.size	_ZL26rocblas_hemvn_kernel_lowerILb1ELi64ELi4ELi33ELi32ELi16EiPK19rocblas_complex_numIdEPKS3_PS1_EviT6_lT7_lT5_lS8_lS9_lS7_lT8_i, .Lfunc_end58-_ZL26rocblas_hemvn_kernel_lowerILb1ELi64ELi4ELi33ELi32ELi16EiPK19rocblas_complex_numIdEPKS3_PS1_EviT6_lT7_lT5_lS8_lS9_lS7_lT8_i
                                        ; -- End function
	.set _ZL26rocblas_hemvn_kernel_lowerILb1ELi64ELi4ELi33ELi32ELi16EiPK19rocblas_complex_numIdEPKS3_PS1_EviT6_lT7_lT5_lS8_lS9_lS7_lT8_i.num_vgpr, 186
	.set _ZL26rocblas_hemvn_kernel_lowerILb1ELi64ELi4ELi33ELi32ELi16EiPK19rocblas_complex_numIdEPKS3_PS1_EviT6_lT7_lT5_lS8_lS9_lS7_lT8_i.num_agpr, 0
	.set _ZL26rocblas_hemvn_kernel_lowerILb1ELi64ELi4ELi33ELi32ELi16EiPK19rocblas_complex_numIdEPKS3_PS1_EviT6_lT7_lT5_lS8_lS9_lS7_lT8_i.numbered_sgpr, 41
	.set _ZL26rocblas_hemvn_kernel_lowerILb1ELi64ELi4ELi33ELi32ELi16EiPK19rocblas_complex_numIdEPKS3_PS1_EviT6_lT7_lT5_lS8_lS9_lS7_lT8_i.num_named_barrier, 0
	.set _ZL26rocblas_hemvn_kernel_lowerILb1ELi64ELi4ELi33ELi32ELi16EiPK19rocblas_complex_numIdEPKS3_PS1_EviT6_lT7_lT5_lS8_lS9_lS7_lT8_i.private_seg_size, 0
	.set _ZL26rocblas_hemvn_kernel_lowerILb1ELi64ELi4ELi33ELi32ELi16EiPK19rocblas_complex_numIdEPKS3_PS1_EviT6_lT7_lT5_lS8_lS9_lS7_lT8_i.uses_vcc, 1
	.set _ZL26rocblas_hemvn_kernel_lowerILb1ELi64ELi4ELi33ELi32ELi16EiPK19rocblas_complex_numIdEPKS3_PS1_EviT6_lT7_lT5_lS8_lS9_lS7_lT8_i.uses_flat_scratch, 0
	.set _ZL26rocblas_hemvn_kernel_lowerILb1ELi64ELi4ELi33ELi32ELi16EiPK19rocblas_complex_numIdEPKS3_PS1_EviT6_lT7_lT5_lS8_lS9_lS7_lT8_i.has_dyn_sized_stack, 0
	.set _ZL26rocblas_hemvn_kernel_lowerILb1ELi64ELi4ELi33ELi32ELi16EiPK19rocblas_complex_numIdEPKS3_PS1_EviT6_lT7_lT5_lS8_lS9_lS7_lT8_i.has_recursion, 0
	.set _ZL26rocblas_hemvn_kernel_lowerILb1ELi64ELi4ELi33ELi32ELi16EiPK19rocblas_complex_numIdEPKS3_PS1_EviT6_lT7_lT5_lS8_lS9_lS7_lT8_i.has_indirect_call, 0
	.section	.AMDGPU.csdata,"",@progbits
; Kernel info:
; codeLenInByte = 9692
; TotalNumSgprs: 47
; NumVgprs: 186
; NumAgprs: 0
; TotalNumVgprs: 186
; ScratchSize: 0
; MemoryBound: 0
; FloatMode: 240
; IeeeMode: 1
; LDSByteSize: 19200 bytes/workgroup (compile time only)
; SGPRBlocks: 5
; VGPRBlocks: 23
; NumSGPRsForWavesPerEU: 47
; NumVGPRsForWavesPerEU: 186
; AccumOffset: 188
; Occupancy: 2
; WaveLimiterHint : 1
; COMPUTE_PGM_RSRC2:SCRATCH_EN: 0
; COMPUTE_PGM_RSRC2:USER_SGPR: 2
; COMPUTE_PGM_RSRC2:TRAP_HANDLER: 0
; COMPUTE_PGM_RSRC2:TGID_X_EN: 1
; COMPUTE_PGM_RSRC2:TGID_Y_EN: 0
; COMPUTE_PGM_RSRC2:TGID_Z_EN: 1
; COMPUTE_PGM_RSRC2:TIDIG_COMP_CNT: 1
; COMPUTE_PGM_RSRC3_GFX90A:ACCUM_OFFSET: 46
; COMPUTE_PGM_RSRC3_GFX90A:TG_SPLIT: 0
	.section	.text._ZL36rocblas_hemvn_kernel_lower_block_sumILi64EiPK19rocblas_complex_numIdEPKPS1_S1_EviT1_lS7_lT2_lT0_lPT3_i,"axG",@progbits,_ZL36rocblas_hemvn_kernel_lower_block_sumILi64EiPK19rocblas_complex_numIdEPKPS1_S1_EviT1_lS7_lT2_lT0_lPT3_i,comdat
	.globl	_ZL36rocblas_hemvn_kernel_lower_block_sumILi64EiPK19rocblas_complex_numIdEPKPS1_S1_EviT1_lS7_lT2_lT0_lPT3_i ; -- Begin function _ZL36rocblas_hemvn_kernel_lower_block_sumILi64EiPK19rocblas_complex_numIdEPKPS1_S1_EviT1_lS7_lT2_lT0_lPT3_i
	.p2align	8
	.type	_ZL36rocblas_hemvn_kernel_lower_block_sumILi64EiPK19rocblas_complex_numIdEPKPS1_S1_EviT1_lS7_lT2_lT0_lPT3_i,@function
_ZL36rocblas_hemvn_kernel_lower_block_sumILi64EiPK19rocblas_complex_numIdEPKPS1_S1_EviT1_lS7_lT2_lT0_lPT3_i: ; @_ZL36rocblas_hemvn_kernel_lower_block_sumILi64EiPK19rocblas_complex_numIdEPKPS1_S1_EviT1_lS7_lT2_lT0_lPT3_i
; %bb.0:
	s_load_dwordx8 s[4:11], s[0:1], 0x8
	s_mov_b32 s18, s3
	s_waitcnt lgkmcnt(0)
	s_mul_i32 s3, s7, s3
	s_mul_hi_u32 s7, s6, s18
	s_add_i32 s7, s7, s3
	s_mul_i32 s6, s6, s18
	s_lshl_b64 s[6:7], s[6:7], 4
	s_add_u32 s4, s4, s6
	s_addc_u32 s5, s5, s7
	s_load_dwordx4 s[12:15], s[4:5], 0x0
	s_mul_i32 s3, s11, s18
	s_mul_hi_u32 s4, s10, s18
	s_add_i32 s5, s4, s3
	s_mul_i32 s4, s10, s18
	s_lshl_b64 s[4:5], s[4:5], 4
	s_add_u32 s4, s8, s4
	s_addc_u32 s5, s9, s5
	s_load_dwordx4 s[8:11], s[4:5], 0x0
	s_waitcnt lgkmcnt(0)
	v_cmp_neq_f64_e64 s[4:5], s[12:13], 0
	v_cmp_neq_f64_e64 s[6:7], s[14:15], 0
	s_or_b64 s[4:5], s[4:5], s[6:7]
	s_mov_b64 s[6:7], -1
	s_and_b64 vcc, exec, s[4:5]
	s_cbranch_vccnz .LBB59_2
; %bb.1:
	v_cmp_neq_f64_e64 s[6:7], s[8:9], 1.0
	v_cmp_neq_f64_e64 s[16:17], s[10:11], 0
	s_or_b64 s[6:7], s[6:7], s[16:17]
.LBB59_2:
	s_andn2_b64 vcc, exec, s[6:7]
	s_cbranch_vccnz .LBB59_22
; %bb.3:
	s_load_dwordx4 s[24:27], s[0:1], 0x28
	s_mov_b32 s19, 0
	s_xor_b64 s[4:5], s[4:5], -1
	s_lshl_b64 s[6:7], s[18:19], 3
	s_load_dword s3, s[0:1], 0x38
	s_load_dword s20, s[0:1], 0x0
	s_waitcnt lgkmcnt(0)
	s_add_u32 s6, s24, s6
	s_addc_u32 s7, s25, s7
	s_load_dwordx2 s[6:7], s[6:7], 0x0
	s_lshl_b64 s[16:17], s[26:27], 4
	v_lshl_or_b32 v8, s2, 6, v0
	s_waitcnt lgkmcnt(0)
	s_add_u32 s6, s6, s16
	s_addc_u32 s7, s7, s17
	s_andn2_b64 vcc, exec, s[4:5]
	v_cmp_gt_i32_e64 s[4:5], s20, v8
	s_cbranch_vccnz .LBB59_8
; %bb.4:
	s_mov_b64 s[22:23], 0
	s_mov_b64 s[16:17], 0
                                        ; implicit-def: $vgpr2_vgpr3
                                        ; implicit-def: $vgpr4_vgpr5
	s_and_saveexec_b64 s[24:25], s[4:5]
	s_cbranch_execz .LBB59_9
; %bb.5:
	v_cmp_neq_f64_e64 s[4:5], s[8:9], 0
	v_cmp_neq_f64_e64 s[16:17], s[10:11], 0
	v_mul_lo_u32 v4, s3, v8
	s_or_b64 s[4:5], s[4:5], s[16:17]
	v_mov_b64_e32 v[2:3], 0
	v_ashrrev_i32_e32 v5, 31, v4
	s_andn2_b64 vcc, exec, s[4:5]
	v_mov_b64_e32 v[0:1], 0
	s_cbranch_vccnz .LBB59_7
; %bb.6:
	v_lshl_add_u64 v[0:1], v[4:5], 4, s[6:7]
	flat_load_dwordx4 v[10:13], v[0:1]
	s_waitcnt vmcnt(0) lgkmcnt(0)
	v_mul_f64 v[0:1], s[10:11], v[12:13]
	v_mul_f64 v[2:3], s[8:9], v[12:13]
	v_fma_f64 v[0:1], s[8:9], v[10:11], -v[0:1]
	v_fmac_f64_e32 v[2:3], s[10:11], v[10:11]
.LBB59_7:
	s_mov_b64 s[16:17], exec
	s_or_b64 exec, exec, s[24:25]
	s_and_b64 vcc, exec, s[22:23]
	s_cbranch_vccnz .LBB59_10
	s_branch .LBB59_20
.LBB59_8:
	s_mov_b64 s[16:17], 0
                                        ; implicit-def: $vgpr2_vgpr3
                                        ; implicit-def: $vgpr4_vgpr5
	s_cbranch_execnz .LBB59_10
	s_branch .LBB59_20
.LBB59_9:
	s_or_b64 exec, exec, s[24:25]
	s_and_b64 vcc, exec, s[22:23]
	s_cbranch_vccz .LBB59_20
.LBB59_10:
	v_cmp_gt_i32_e32 vcc, s20, v8
                                        ; implicit-def: $vgpr2_vgpr3
                                        ; implicit-def: $vgpr4_vgpr5
	s_and_saveexec_b64 s[4:5], vcc
	s_cbranch_execz .LBB59_19
; %bb.11:
	s_load_dword s19, s[0:1], 0x58
	v_mov_b64_e32 v[0:1], 0
	v_mov_b64_e32 v[6:7], 0
	s_waitcnt lgkmcnt(0)
	s_cmp_ge_i32 s2, s19
	s_cbranch_scc1 .LBB59_14
; %bb.12:
	s_ashr_i32 s21, s20, 31
	s_mul_i32 s22, s20, s2
	s_load_dwordx2 s[0:1], s[0:1], 0x48
	v_add_u32_e32 v0, s22, v8
	s_mul_hi_u32 s22, s20, s18
	s_mul_i32 s23, s21, s18
	s_add_i32 s22, s22, s23
	s_mul_i32 s18, s20, s18
	s_mul_i32 s22, s22, s19
	s_mul_hi_u32 s23, s18, s19
	s_add_i32 s23, s23, s22
	s_mul_i32 s22, s18, s19
	s_lshl_b64 s[22:23], s[22:23], 4
	s_waitcnt lgkmcnt(0)
	s_add_u32 s0, s0, s22
	v_ashrrev_i32_e32 v1, 31, v0
	s_addc_u32 s1, s1, s23
	v_lshl_add_u64 v[0:1], v[0:1], 4, s[0:1]
	v_lshl_add_u64 v[2:3], v[0:1], 0, 8
	s_lshl_b64 s[0:1], s[20:21], 4
	v_mov_b64_e32 v[0:1], 0
	v_mov_b64_e32 v[6:7], 0
.LBB59_13:                              ; =>This Inner Loop Header: Depth=1
	global_load_dwordx4 v[10:13], v[2:3], off offset:-8
	s_add_i32 s2, s2, 1
	v_lshl_add_u64 v[2:3], v[2:3], 0, s[0:1]
	s_cmp_ge_i32 s2, s19
	s_waitcnt vmcnt(0)
	v_add_f64 v[6:7], v[6:7], v[10:11]
	v_add_f64 v[0:1], v[0:1], v[12:13]
	s_cbranch_scc0 .LBB59_13
.LBB59_14:
	v_cmp_neq_f64_e64 s[18:19], s[8:9], 0
	v_cmp_neq_f64_e64 s[20:21], s[10:11], 0
	s_or_b64 s[18:19], s[18:19], s[20:21]
	v_mul_f64 v[10:11], s[14:15], v[0:1]
	v_mul_f64 v[2:3], s[12:13], v[0:1]
	v_mul_lo_u32 v4, s3, v8
	s_mov_b64 s[0:1], 0
	s_andn2_b64 vcc, exec, s[18:19]
	v_fma_f64 v[0:1], s[12:13], v[6:7], -v[10:11]
	v_fmac_f64_e32 v[2:3], s[14:15], v[6:7]
	v_ashrrev_i32_e32 v5, 31, v4
	s_cbranch_vccnz .LBB59_16
; %bb.15:
	s_mov_b64 s[0:1], -1
.LBB59_16:
	s_andn2_b64 vcc, exec, s[0:1]
	s_cbranch_vccnz .LBB59_18
; %bb.17:
	v_lshl_add_u64 v[6:7], v[4:5], 4, s[6:7]
	flat_load_dwordx4 v[6:9], v[6:7]
	s_waitcnt vmcnt(0) lgkmcnt(0)
	v_mul_f64 v[10:11], s[10:11], v[8:9]
	v_mul_f64 v[8:9], s[8:9], v[8:9]
	v_fma_f64 v[10:11], s[8:9], v[6:7], -v[10:11]
	v_fmac_f64_e32 v[8:9], s[10:11], v[6:7]
	v_add_f64 v[0:1], v[0:1], v[10:11]
	v_add_f64 v[2:3], v[2:3], v[8:9]
.LBB59_18:
	s_or_b64 s[16:17], s[16:17], exec
.LBB59_19:
	s_or_b64 exec, exec, s[4:5]
.LBB59_20:
	s_and_saveexec_b64 s[0:1], s[16:17]
	s_cbranch_execz .LBB59_22
; %bb.21:
	v_lshl_add_u64 v[4:5], v[4:5], 4, s[6:7]
	flat_store_dwordx4 v[4:5], v[0:3]
.LBB59_22:
	s_endpgm
	.section	.rodata,"a",@progbits
	.p2align	6, 0x0
	.amdhsa_kernel _ZL36rocblas_hemvn_kernel_lower_block_sumILi64EiPK19rocblas_complex_numIdEPKPS1_S1_EviT1_lS7_lT2_lT0_lPT3_i
		.amdhsa_group_segment_fixed_size 0
		.amdhsa_private_segment_fixed_size 0
		.amdhsa_kernarg_size 344
		.amdhsa_user_sgpr_count 2
		.amdhsa_user_sgpr_dispatch_ptr 0
		.amdhsa_user_sgpr_queue_ptr 0
		.amdhsa_user_sgpr_kernarg_segment_ptr 1
		.amdhsa_user_sgpr_dispatch_id 0
		.amdhsa_user_sgpr_kernarg_preload_length 0
		.amdhsa_user_sgpr_kernarg_preload_offset 0
		.amdhsa_user_sgpr_private_segment_size 0
		.amdhsa_uses_dynamic_stack 0
		.amdhsa_enable_private_segment 0
		.amdhsa_system_sgpr_workgroup_id_x 1
		.amdhsa_system_sgpr_workgroup_id_y 0
		.amdhsa_system_sgpr_workgroup_id_z 1
		.amdhsa_system_sgpr_workgroup_info 0
		.amdhsa_system_vgpr_workitem_id 0
		.amdhsa_next_free_vgpr 14
		.amdhsa_next_free_sgpr 28
		.amdhsa_accum_offset 16
		.amdhsa_reserve_vcc 1
		.amdhsa_float_round_mode_32 0
		.amdhsa_float_round_mode_16_64 0
		.amdhsa_float_denorm_mode_32 3
		.amdhsa_float_denorm_mode_16_64 3
		.amdhsa_dx10_clamp 1
		.amdhsa_ieee_mode 1
		.amdhsa_fp16_overflow 0
		.amdhsa_tg_split 0
		.amdhsa_exception_fp_ieee_invalid_op 0
		.amdhsa_exception_fp_denorm_src 0
		.amdhsa_exception_fp_ieee_div_zero 0
		.amdhsa_exception_fp_ieee_overflow 0
		.amdhsa_exception_fp_ieee_underflow 0
		.amdhsa_exception_fp_ieee_inexact 0
		.amdhsa_exception_int_div_zero 0
	.end_amdhsa_kernel
	.section	.text._ZL36rocblas_hemvn_kernel_lower_block_sumILi64EiPK19rocblas_complex_numIdEPKPS1_S1_EviT1_lS7_lT2_lT0_lPT3_i,"axG",@progbits,_ZL36rocblas_hemvn_kernel_lower_block_sumILi64EiPK19rocblas_complex_numIdEPKPS1_S1_EviT1_lS7_lT2_lT0_lPT3_i,comdat
.Lfunc_end59:
	.size	_ZL36rocblas_hemvn_kernel_lower_block_sumILi64EiPK19rocblas_complex_numIdEPKPS1_S1_EviT1_lS7_lT2_lT0_lPT3_i, .Lfunc_end59-_ZL36rocblas_hemvn_kernel_lower_block_sumILi64EiPK19rocblas_complex_numIdEPKPS1_S1_EviT1_lS7_lT2_lT0_lPT3_i
                                        ; -- End function
	.set _ZL36rocblas_hemvn_kernel_lower_block_sumILi64EiPK19rocblas_complex_numIdEPKPS1_S1_EviT1_lS7_lT2_lT0_lPT3_i.num_vgpr, 14
	.set _ZL36rocblas_hemvn_kernel_lower_block_sumILi64EiPK19rocblas_complex_numIdEPKPS1_S1_EviT1_lS7_lT2_lT0_lPT3_i.num_agpr, 0
	.set _ZL36rocblas_hemvn_kernel_lower_block_sumILi64EiPK19rocblas_complex_numIdEPKPS1_S1_EviT1_lS7_lT2_lT0_lPT3_i.numbered_sgpr, 28
	.set _ZL36rocblas_hemvn_kernel_lower_block_sumILi64EiPK19rocblas_complex_numIdEPKPS1_S1_EviT1_lS7_lT2_lT0_lPT3_i.num_named_barrier, 0
	.set _ZL36rocblas_hemvn_kernel_lower_block_sumILi64EiPK19rocblas_complex_numIdEPKPS1_S1_EviT1_lS7_lT2_lT0_lPT3_i.private_seg_size, 0
	.set _ZL36rocblas_hemvn_kernel_lower_block_sumILi64EiPK19rocblas_complex_numIdEPKPS1_S1_EviT1_lS7_lT2_lT0_lPT3_i.uses_vcc, 1
	.set _ZL36rocblas_hemvn_kernel_lower_block_sumILi64EiPK19rocblas_complex_numIdEPKPS1_S1_EviT1_lS7_lT2_lT0_lPT3_i.uses_flat_scratch, 0
	.set _ZL36rocblas_hemvn_kernel_lower_block_sumILi64EiPK19rocblas_complex_numIdEPKPS1_S1_EviT1_lS7_lT2_lT0_lPT3_i.has_dyn_sized_stack, 0
	.set _ZL36rocblas_hemvn_kernel_lower_block_sumILi64EiPK19rocblas_complex_numIdEPKPS1_S1_EviT1_lS7_lT2_lT0_lPT3_i.has_recursion, 0
	.set _ZL36rocblas_hemvn_kernel_lower_block_sumILi64EiPK19rocblas_complex_numIdEPKPS1_S1_EviT1_lS7_lT2_lT0_lPT3_i.has_indirect_call, 0
	.section	.AMDGPU.csdata,"",@progbits
; Kernel info:
; codeLenInByte = 776
; TotalNumSgprs: 34
; NumVgprs: 14
; NumAgprs: 0
; TotalNumVgprs: 14
; ScratchSize: 0
; MemoryBound: 0
; FloatMode: 240
; IeeeMode: 1
; LDSByteSize: 0 bytes/workgroup (compile time only)
; SGPRBlocks: 4
; VGPRBlocks: 1
; NumSGPRsForWavesPerEU: 34
; NumVGPRsForWavesPerEU: 14
; AccumOffset: 16
; Occupancy: 8
; WaveLimiterHint : 1
; COMPUTE_PGM_RSRC2:SCRATCH_EN: 0
; COMPUTE_PGM_RSRC2:USER_SGPR: 2
; COMPUTE_PGM_RSRC2:TRAP_HANDLER: 0
; COMPUTE_PGM_RSRC2:TGID_X_EN: 1
; COMPUTE_PGM_RSRC2:TGID_Y_EN: 0
; COMPUTE_PGM_RSRC2:TGID_Z_EN: 1
; COMPUTE_PGM_RSRC2:TIDIG_COMP_CNT: 0
; COMPUTE_PGM_RSRC3_GFX90A:ACCUM_OFFSET: 3
; COMPUTE_PGM_RSRC3_GFX90A:TG_SPLIT: 0
	.section	.text._ZL26rocblas_hemvn_kernel_lowerILb1ELi64ELi4ELi33ELi32ELi16El19rocblas_complex_numIdEPKPKS1_PS1_EviT6_lT7_lT5_lS8_lS9_lS7_lT8_i,"axG",@progbits,_ZL26rocblas_hemvn_kernel_lowerILb1ELi64ELi4ELi33ELi32ELi16El19rocblas_complex_numIdEPKPKS1_PS1_EviT6_lT7_lT5_lS8_lS9_lS7_lT8_i,comdat
	.globl	_ZL26rocblas_hemvn_kernel_lowerILb1ELi64ELi4ELi33ELi32ELi16El19rocblas_complex_numIdEPKPKS1_PS1_EviT6_lT7_lT5_lS8_lS9_lS7_lT8_i ; -- Begin function _ZL26rocblas_hemvn_kernel_lowerILb1ELi64ELi4ELi33ELi32ELi16El19rocblas_complex_numIdEPKPKS1_PS1_EviT6_lT7_lT5_lS8_lS9_lS7_lT8_i
	.p2align	8
	.type	_ZL26rocblas_hemvn_kernel_lowerILb1ELi64ELi4ELi33ELi32ELi16El19rocblas_complex_numIdEPKPKS1_PS1_EviT6_lT7_lT5_lS8_lS9_lS7_lT8_i,@function
_ZL26rocblas_hemvn_kernel_lowerILb1ELi64ELi4ELi33ELi32ELi16El19rocblas_complex_numIdEPKPKS1_PS1_EviT6_lT7_lT5_lS8_lS9_lS7_lT8_i: ; @_ZL26rocblas_hemvn_kernel_lowerILb1ELi64ELi4ELi33ELi32ELi16El19rocblas_complex_numIdEPKPKS1_PS1_EviT6_lT7_lT5_lS8_lS9_lS7_lT8_i
; %bb.0:
	s_load_dwordx2 s[4:5], s[0:1], 0x94
	s_add_u32 s8, s0, 0x88
	s_mov_b32 s26, s3
	s_addc_u32 s9, s1, 0
	s_waitcnt lgkmcnt(0)
	s_and_b32 s3, s5, 0xffff
	s_lshr_b32 s5, s4, 16
	s_and_b32 s4, s4, 0xffff
	s_mul_i32 s4, s5, s4
	s_mul_i32 s4, s4, s3
	s_cmpk_lg_i32 s4, 0x100
	s_cbranch_scc1 .LBB60_150
; %bb.1:
	s_load_dwordx4 s[4:7], s[0:1], 0x8
	s_waitcnt lgkmcnt(0)
	v_cmp_neq_f64_e64 s[4:5], s[4:5], 0
	v_cmp_neq_f64_e64 s[6:7], s[6:7], 0
	s_or_b64 s[6:7], s[4:5], s[6:7]
	s_mov_b64 s[4:5], -1
	s_and_b64 vcc, exec, s[6:7]
	s_cbranch_vccnz .LBB60_3
; %bb.2:
	s_load_dwordx4 s[4:7], s[0:1], 0x60
	s_waitcnt lgkmcnt(0)
	v_cmp_eq_f64_e64 s[4:5], s[4:5], 1.0
	v_cmp_eq_f64_e64 s[6:7], s[6:7], 0
	s_and_b64 s[4:5], s[4:5], s[6:7]
	s_andn2_b64 vcc, exec, s[4:5]
	s_mov_b64 s[4:5], 0
.LBB60_3:
	s_andn2_b64 vcc, exec, s[4:5]
	s_cbranch_vccnz .LBB60_150
; %bb.4:
	s_load_dword s3, s[0:1], 0x0
	s_load_dwordx4 s[4:7], s[0:1], 0x20
	s_load_dwordx2 s[24:25], s[0:1], 0x30
	s_load_dwordx4 s[12:15], s[0:1], 0x40
	s_mov_b32 s27, 0
	s_lshl_b64 s[10:11], s[26:27], 3
	s_waitcnt lgkmcnt(0)
	s_add_u32 s4, s4, s10
	s_addc_u32 s5, s5, s11
	s_add_u32 s12, s12, s10
	s_addc_u32 s13, s13, s11
	s_load_dwordx2 s[16:17], s[12:13], 0x0
	s_load_dword s27, s[8:9], 0x0
	s_load_dwordx2 s[22:23], s[0:1], 0x50
	s_load_dwordx2 s[10:11], s[4:5], 0x0
	s_lshl_b64 s[4:5], s[14:15], 4
	s_waitcnt lgkmcnt(0)
	s_add_u32 s4, s16, s4
	s_addc_u32 s5, s17, s5
	s_ashr_i32 s33, s3, 31
	s_lshr_b32 s9, s33, 26
	s_add_i32 s9, s3, s9
	v_and_b32_e32 v159, 0x3ff, v0
	s_lshl_b32 s30, s2, 6
	s_andn2_b32 s9, s9, 63
	s_add_i32 s8, s27, -1
	s_sub_i32 s9, s3, s9
	v_add_u32_e32 v148, s30, v159
	s_cmp_eq_u32 s2, s8
	v_ashrrev_i32_e32 v149, 31, v148
	v_bfe_u32 v158, v0, 10, 10
	s_cselect_b32 s28, s9, 0
	v_mul_lo_u32 v2, s22, v149
	v_mul_lo_u32 v3, s23, v148
	v_mad_u64_u32 v[0:1], s[8:9], s22, v148, 0
	v_add3_u32 v1, v1, v2, v3
	v_lshl_add_u64 v[36:37], v[0:1], 4, s[4:5]
	v_cmp_ne_u32_e64 s[4:5], 0, v158
	v_cmp_eq_u32_e64 s[18:19], 0, v158
	s_and_saveexec_b64 s[8:9], s[18:19]
	s_cbranch_execz .LBB60_9
; %bb.5:
	s_cmp_lg_u32 s28, 0
	s_cselect_b64 s[12:13], -1, 0
	v_cmp_le_i32_e32 vcc, s28, v159
	v_mov_b32_e32 v0, 0x4700
	s_and_b64 s[12:13], s[12:13], vcc
	v_lshl_add_u32 v0, v159, 4, v0
	s_and_saveexec_b64 s[14:15], s[12:13]
	s_xor_b64 s[12:13], exec, s[14:15]
; %bb.6:
	v_mov_b32_e32 v2, 0
	v_mov_b32_e32 v3, v2
	;; [unrolled: 1-line block ×4, first 2 shown]
	ds_write_b128 v0, v[2:5]
                                        ; implicit-def: $vgpr0
; %bb.7:
	s_andn2_saveexec_b64 s[12:13], s[12:13]
	s_cbranch_execz .LBB60_9
; %bb.8:
	flat_load_dwordx4 v[2:5], v[36:37]
	s_waitcnt vmcnt(0) lgkmcnt(0)
	ds_write2_b64 v0, v[2:3], v[4:5] offset1:1
.LBB60_9:
	s_or_b64 exec, exec, s[8:9]
	s_lshl_b64 s[6:7], s[6:7], 4
	s_add_u32 s8, s10, s6
	s_addc_u32 s9, s11, s7
	s_ashr_i32 s31, s30, 31
	v_lshl_add_u32 v42, v158, 6, v159
	s_lshl_b64 s[6:7], s[30:31], 4
	v_and_b32_e32 v8, 31, v159
	v_lshrrev_b32_e32 v12, 5, v42
	s_add_u32 s6, s8, s6
	v_mov_b32_e32 v9, 0
	s_addc_u32 s7, s9, s7
	v_mad_u64_u32 v[38:39], s[8:9], s24, v12, v[8:9]
	v_mov_b32_e32 v0, v39
	v_mad_u64_u32 v[0:1], s[8:9], s25, v12, v[0:1]
	v_mov_b32_e32 v39, v0
	v_lshl_add_u64 v[0:1], v[38:39], 4, s[6:7]
	s_mul_hi_u32 s6, s24, s30
	s_mul_i32 s7, s24, s31
	s_add_i32 s6, s6, s7
	s_mul_i32 s7, s25, s30
	s_add_i32 s35, s6, s7
	s_cmp_lg_u32 s28, 0
	s_mul_i32 s34, s24, s30
	s_cselect_b64 s[36:37], -1, 0
	s_cmp_eq_u32 s28, 0
	v_lshl_add_u64 v[4:5], s[34:35], 4, v[0:1]
	s_cselect_b64 s[20:21], -1, 0
	s_mov_b64 s[6:7], -1
	s_and_b64 vcc, exec, s[36:37]
	s_cbranch_vccnz .LBB60_11
; %bb.10:
	flat_load_dwordx4 v[0:3], v[4:5]
	v_mul_u32_u24_e32 v6, 0x210, v12
	s_lshl_b64 s[6:7], s[24:25], 7
	v_lshl_add_u32 v9, v8, 4, v6
	v_lshl_add_u64 v[6:7], v[4:5], 0, s[6:7]
	v_add_u32_e32 v10, 0x1080, v9
	s_waitcnt vmcnt(0) lgkmcnt(0)
	ds_write2_b64 v9, v[0:1], v[2:3] offset1:1
	flat_load_dwordx4 v[0:3], v[6:7]
	v_lshl_add_u64 v[6:7], v[6:7], 0, s[6:7]
	s_waitcnt vmcnt(0) lgkmcnt(0)
	ds_write2_b64 v10, v[0:1], v[2:3] offset1:1
	flat_load_dwordx4 v[0:3], v[6:7]
	v_add_u32_e32 v10, 0x2100, v9
	v_lshl_add_u64 v[6:7], v[6:7], 0, s[6:7]
	s_mov_b64 s[6:7], 0
	s_waitcnt vmcnt(0) lgkmcnt(0)
	ds_write2_b64 v10, v[0:1], v[2:3] offset1:1
	flat_load_dwordx4 v[0:3], v[6:7]
	v_add_u32_e32 v6, 0x3180, v9
	s_waitcnt vmcnt(0) lgkmcnt(0)
	ds_write2_b64 v6, v[0:1], v[2:3] offset1:1
.LBB60_11:
	s_andn2_b64 vcc, exec, s[6:7]
	v_lshlrev_b32_e32 v9, 4, v8
	s_cbranch_vccnz .LBB60_29
; %bb.12:
	v_lshlrev_b32_e32 v0, 4, v8
	v_sub_co_u32_e32 v2, vcc, v4, v0
	s_ashr_i32 s29, s28, 31
	s_nop 0
	v_subbrev_co_u32_e32 v3, vcc, 0, v5, vcc
	v_lshl_add_u64 v[2:3], s[28:29], 4, v[2:3]
	v_lshl_add_u64 v[2:3], v[2:3], 0, -16
	v_cmp_gt_i32_e32 vcc, s28, v8
	s_movk_i32 s8, 0x210
	v_cmp_le_i32_e64 s[6:7], s28, v12
	v_cndmask_b32_e32 v3, v3, v5, vcc
	v_cndmask_b32_e32 v2, v2, v4, vcc
	v_mad_u32_u24 v1, v12, s8, v9
	s_and_saveexec_b64 s[8:9], s[6:7]
	s_xor_b64 s[6:7], exec, s[8:9]
; %bb.13:
	v_mov_b32_e32 v14, 0
	v_mov_b32_e32 v15, v14
	;; [unrolled: 1-line block ×4, first 2 shown]
	ds_write_b128 v1, v[14:17]
                                        ; implicit-def: $vgpr1
; %bb.14:
	s_andn2_saveexec_b64 s[6:7], s[6:7]
	s_cbranch_execz .LBB60_16
; %bb.15:
	flat_load_dwordx4 v[14:17], v[2:3]
	s_waitcnt vmcnt(0) lgkmcnt(0)
	ds_write2_b64 v1, v[14:15], v[16:17] offset1:1
.LBB60_16:
	s_or_b64 exec, exec, s[6:7]
	v_add_u32_e32 v6, 8, v12
	v_mul_u32_u24_e32 v1, 0x210, v12
	v_cmp_le_i32_e64 s[6:7], s28, v6
	s_and_saveexec_b64 s[8:9], s[6:7]
	s_xor_b64 s[6:7], exec, s[8:9]
	s_cbranch_execz .LBB60_18
; %bb.17:
	v_mov_b32_e32 v14, 0
	v_add_u32_e32 v6, v1, v9
	v_mov_b32_e32 v15, v14
	v_mov_b32_e32 v16, v14
	;; [unrolled: 1-line block ×3, first 2 shown]
	ds_write_b128 v6, v[14:17] offset:4224
.LBB60_18:
	s_andn2_saveexec_b64 s[6:7], s[6:7]
	s_cbranch_execz .LBB60_20
; %bb.19:
	s_lshl_b64 s[8:9], s[24:25], 7
	v_lshl_add_u64 v[6:7], v[2:3], 0, s[8:9]
	flat_load_dwordx4 v[14:17], v[6:7]
	s_movk_i32 s8, 0x1080
	v_add3_u32 v6, v1, v9, s8
	s_waitcnt vmcnt(0) lgkmcnt(0)
	ds_write2_b64 v6, v[14:15], v[16:17] offset1:1
.LBB60_20:
	s_or_b64 exec, exec, s[6:7]
	v_add_u32_e32 v6, 16, v12
	v_cmp_le_i32_e64 s[6:7], s28, v6
	s_and_saveexec_b64 s[8:9], s[6:7]
	s_xor_b64 s[6:7], exec, s[8:9]
	s_cbranch_execz .LBB60_22
; %bb.21:
	v_mov_b32_e32 v14, 0
	v_add_u32_e32 v6, v1, v9
	v_mov_b32_e32 v15, v14
	v_mov_b32_e32 v16, v14
	;; [unrolled: 1-line block ×3, first 2 shown]
	ds_write_b128 v6, v[14:17] offset:8448
.LBB60_22:
	s_andn2_saveexec_b64 s[6:7], s[6:7]
	s_cbranch_execz .LBB60_24
; %bb.23:
	s_lshl_b64 s[8:9], s[24:25], 8
	v_lshl_add_u64 v[6:7], v[2:3], 0, s[8:9]
	flat_load_dwordx4 v[14:17], v[6:7]
	s_movk_i32 s8, 0x2100
	v_add3_u32 v6, v1, v9, s8
	s_waitcnt vmcnt(0) lgkmcnt(0)
	ds_write2_b64 v6, v[14:15], v[16:17] offset1:1
.LBB60_24:
	s_or_b64 exec, exec, s[6:7]
	v_add_u32_e32 v6, 24, v12
	v_cmp_le_i32_e64 s[6:7], s28, v6
	s_and_saveexec_b64 s[8:9], s[6:7]
	s_xor_b64 s[6:7], exec, s[8:9]
	s_cbranch_execz .LBB60_26
; %bb.25:
	v_mov_b32_e32 v14, 0
	v_add_u32_e32 v1, v1, v9
	v_mov_b32_e32 v15, v14
	v_mov_b32_e32 v16, v14
	;; [unrolled: 1-line block ×3, first 2 shown]
	ds_write_b128 v1, v[14:17] offset:12672
                                        ; implicit-def: $vgpr1
.LBB60_26:
	s_andn2_saveexec_b64 s[6:7], s[6:7]
	s_cbranch_execz .LBB60_28
; %bb.27:
	v_mov_b32_e32 v6, 0x180
	v_mad_u64_u32 v[6:7], s[8:9], s24, v6, v[2:3]
	s_mul_i32 s8, s25, 0x180
	s_nop 0
	v_add_u32_e32 v7, s8, v7
	flat_load_dwordx4 v[14:17], v[6:7]
	s_movk_i32 s8, 0x3180
	v_add3_u32 v1, v1, v9, s8
	s_waitcnt vmcnt(0) lgkmcnt(0)
	ds_write2_b64 v1, v[14:15], v[16:17] offset1:1
.LBB60_28:
	s_or_b64 exec, exec, s[6:7]
	v_mov_b32_e32 v1, 0
	v_lshl_add_u64 v[0:1], v[2:3], 0, v[0:1]
	s_lshl_b64 s[6:7], s[28:29], 4
	v_mov_b32_e32 v2, s7
	v_subrev_co_u32_e64 v0, s[6:7], s6, v0
	s_nop 1
	v_subb_co_u32_e64 v1, s[6:7], v1, v2, s[6:7]
	v_lshl_add_u64 v[0:1], v[0:1], 0, 16
	v_cndmask_b32_e32 v5, v1, v5, vcc
	v_cndmask_b32_e32 v4, v0, v4, vcc
.LBB60_29:
	v_lshlrev_b32_e32 v13, 2, v12
	v_mul_u32_u24_e32 v15, 0x210, v8
	v_cmp_ge_u32_e64 s[8:9], v13, v8
	s_mov_b64 s[6:7], 0
	s_waitcnt lgkmcnt(0)
	s_barrier
                                        ; implicit-def: $vgpr7
	s_and_saveexec_b64 s[10:11], s[8:9]
	s_xor_b64 s[10:11], exec, s[10:11]
	s_cbranch_execz .LBB60_33
; %bb.30:
	v_cmp_eq_u32_e32 vcc, v13, v8
                                        ; implicit-def: $vgpr7
	s_and_saveexec_b64 s[12:13], vcc
	s_xor_b64 s[12:13], exec, s[12:13]
; %bb.31:
	s_mov_b64 s[6:7], exec
	v_add_u32_e32 v7, v9, v15
; %bb.32:
	s_or_b64 exec, exec, s[12:13]
	s_and_b64 s[6:7], s[6:7], exec
.LBB60_33:
	s_or_saveexec_b64 s[10:11], s[10:11]
	v_lshl_or_b32 v6, v8, 9, v9
	v_mov_b64_e32 v[2:3], 0
	s_xor_b64 exec, exec, s[10:11]
	s_cbranch_execz .LBB60_35
; %bb.34:
	s_movk_i32 s12, 0x840
	v_mad_u32_u24 v0, v12, s12, v9
	ds_read_b128 v[0:3], v0
	v_lshl_add_u32 v7, v13, 4, v6
	s_or_b64 s[6:7], s[6:7], exec
	s_waitcnt lgkmcnt(0)
	v_xor_b32_e32 v3, 0x80000000, v3
	ds_write_b64 v7, v[0:1]
.LBB60_35:
	s_or_b64 exec, exec, s[10:11]
	s_and_saveexec_b64 s[10:11], s[6:7]
; %bb.36:
	ds_write_b64 v7, v[2:3] offset:8
; %bb.37:
	s_or_b64 exec, exec, s[10:11]
	v_or_b32_e32 v16, 1, v13
	v_cmp_ge_u32_e64 s[10:11], v16, v8
	s_mov_b64 s[6:7], 0
                                        ; implicit-def: $vgpr7
	s_and_saveexec_b64 s[12:13], s[10:11]
	s_xor_b64 s[12:13], exec, s[12:13]
	s_cbranch_execnz .LBB60_99
; %bb.38:
	s_or_saveexec_b64 s[12:13], s[12:13]
	v_mov_b64_e32 v[2:3], 0
	s_xor_b64 exec, exec, s[12:13]
	s_cbranch_execnz .LBB60_102
.LBB60_39:
	s_or_b64 exec, exec, s[12:13]
	s_and_saveexec_b64 s[12:13], s[6:7]
.LBB60_40:
	ds_write_b64 v7, v[2:3] offset:8
.LBB60_41:
	s_or_b64 exec, exec, s[12:13]
	v_or_b32_e32 v17, 2, v13
	v_cmp_ge_u32_e64 s[12:13], v17, v8
	s_mov_b64 s[6:7], 0
                                        ; implicit-def: $vgpr7
	s_and_saveexec_b64 s[14:15], s[12:13]
	s_xor_b64 s[14:15], exec, s[14:15]
	s_cbranch_execnz .LBB60_103
; %bb.42:
	s_or_saveexec_b64 s[14:15], s[14:15]
	v_mov_b64_e32 v[2:3], 0
	s_xor_b64 exec, exec, s[14:15]
	s_cbranch_execnz .LBB60_106
.LBB60_43:
	s_or_b64 exec, exec, s[14:15]
	s_and_saveexec_b64 s[14:15], s[6:7]
.LBB60_44:
	ds_write_b64 v7, v[2:3] offset:8
.LBB60_45:
	s_or_b64 exec, exec, s[14:15]
	v_or_b32_e32 v18, 3, v13
	v_cmp_ge_u32_e64 s[14:15], v18, v8
	s_mov_b64 s[6:7], 0
                                        ; implicit-def: $vgpr7
	s_and_saveexec_b64 s[16:17], s[14:15]
	s_xor_b64 s[16:17], exec, s[16:17]
	s_cbranch_execnz .LBB60_107
; %bb.46:
	s_or_saveexec_b64 s[16:17], s[16:17]
	v_mov_b64_e32 v[2:3], 0
	s_xor_b64 exec, exec, s[16:17]
	s_cbranch_execnz .LBB60_110
.LBB60_47:
	s_or_b64 exec, exec, s[16:17]
	s_and_saveexec_b64 s[16:17], s[6:7]
.LBB60_48:
	ds_write_b64 v7, v[2:3] offset:8
.LBB60_49:
	s_or_b64 exec, exec, s[16:17]
	s_movk_i32 s6, 0x840
	v_lshlrev_b32_e32 v19, 4, v13
	s_waitcnt lgkmcnt(0)
	s_barrier
	v_mad_u32_u24 v6, v12, s6, v9
	ds_read_b128 v[0:3], v19 offset:18176
	ds_read_b128 v[20:23], v6
	ds_read_b128 v[24:27], v19 offset:18192
	ds_read_b128 v[28:31], v19 offset:18208
	s_movk_i32 s29, 0x210
	v_mad_u32_u24 v14, v16, s29, v9
	s_waitcnt lgkmcnt(2)
	v_mul_f64 v[6:7], v[2:3], v[22:23]
	v_mul_f64 v[10:11], v[0:1], v[22:23]
	v_fma_f64 v[6:7], v[0:1], v[20:21], -v[6:7]
	v_fmac_f64_e32 v[10:11], v[2:3], v[20:21]
	ds_read_b128 v[20:23], v19 offset:18224
	ds_read_b128 v[32:35], v14
	v_add_f64 v[2:3], v[6:7], 0
	v_add_f64 v[6:7], v[10:11], 0
	ds_read_b128 v[44:47], v14 offset:528
	v_mov_b64_e32 v[0:1], 0
	s_waitcnt lgkmcnt(1)
	v_mul_f64 v[10:11], v[26:27], v[34:35]
	v_fma_f64 v[10:11], v[24:25], v[32:33], -v[10:11]
	v_mul_f64 v[24:25], v[24:25], v[34:35]
	v_fmac_f64_e32 v[24:25], v[26:27], v[32:33]
	v_add_f64 v[6:7], v[6:7], v[24:25]
	ds_read_b128 v[24:27], v14 offset:1056
	v_add_f64 v[2:3], v[2:3], v[10:11]
	s_waitcnt lgkmcnt(1)
	v_mul_f64 v[10:11], v[30:31], v[46:47]
	v_fma_f64 v[10:11], v[28:29], v[44:45], -v[10:11]
	v_add_f64 v[2:3], v[2:3], v[10:11]
	s_waitcnt lgkmcnt(0)
	v_mul_f64 v[10:11], v[22:23], v[26:27]
	v_mul_f64 v[28:29], v[28:29], v[46:47]
	v_fma_f64 v[10:11], v[20:21], v[24:25], -v[10:11]
	v_fmac_f64_e32 v[28:29], v[30:31], v[44:45]
	v_mul_f64 v[26:27], v[20:21], v[26:27]
	v_add_f64 v[20:21], v[2:3], v[10:11]
	v_mul_u32_u24_e32 v2, 33, v8
	v_add_f64 v[6:7], v[6:7], v[28:29]
	v_fmac_f64_e32 v[26:27], v[22:23], v[24:25]
	v_lshlrev_b32_e32 v43, 4, v2
	v_add_f64 v[22:23], v[6:7], v[26:27]
	v_lshl_add_u32 v44, v12, 4, v43
	v_cmp_gt_u32_e64 s[6:7], 32, v42
	v_mov_b64_e32 v[2:3], 0
	s_barrier
	ds_write_b128 v44, v[20:23]
	s_waitcnt lgkmcnt(0)
	s_barrier
	s_and_saveexec_b64 s[16:17], s[6:7]
	s_cbranch_execz .LBB60_51
; %bb.50:
	ds_read_b128 v[0:3], v43
	ds_read_b128 v[20:23], v43 offset:16
	ds_read_b128 v[24:27], v43 offset:32
	;; [unrolled: 1-line block ×3, first 2 shown]
	s_waitcnt lgkmcnt(2)
	v_add_f64 v[0:1], v[20:21], v[0:1]
	v_add_f64 v[6:7], v[22:23], v[2:3]
	s_waitcnt lgkmcnt(1)
	v_add_f64 v[10:11], v[0:1], v[24:25]
	ds_read_b128 v[0:3], v43 offset:64
	ds_read_b128 v[20:23], v43 offset:80
	v_add_f64 v[6:7], v[6:7], v[26:27]
	s_waitcnt lgkmcnt(2)
	v_add_f64 v[10:11], v[10:11], v[28:29]
	v_add_f64 v[6:7], v[6:7], v[30:31]
	ds_read_b128 v[24:27], v43 offset:96
	s_waitcnt lgkmcnt(2)
	v_add_f64 v[10:11], v[10:11], v[0:1]
	v_add_f64 v[6:7], v[6:7], v[2:3]
	ds_read_b128 v[0:3], v43 offset:112
	s_waitcnt lgkmcnt(2)
	v_add_f64 v[10:11], v[10:11], v[20:21]
	v_add_f64 v[6:7], v[6:7], v[22:23]
	s_waitcnt lgkmcnt(1)
	v_add_f64 v[10:11], v[10:11], v[24:25]
	v_add_f64 v[6:7], v[6:7], v[26:27]
	;; [unrolled: 3-line block ×3, first 2 shown]
.LBB60_51:
	s_or_b64 exec, exec, s[16:17]
	s_lshl_b64 s[16:17], s[24:25], 9
	v_lshl_add_u64 v[6:7], v[4:5], 0, s[16:17]
	s_mov_b64 s[16:17], 0x200
	v_cndmask_b32_e64 v4, 0, 1, s[20:21]
	v_lshl_add_u64 v[10:11], v[6:7], 0, s[16:17]
	v_mad_u32_u24 v14, v12, s29, v9
	v_cmp_ne_u32_e64 s[16:17], 1, v4
	s_andn2_b64 vcc, exec, s[20:21]
	s_mov_b64 s[20:21], -1
	s_barrier
	s_cbranch_vccnz .LBB60_53
; %bb.52:
	flat_load_dwordx4 v[20:23], v[10:11]
	s_lshl_b64 s[20:21], s[24:25], 7
	v_lshl_add_u64 v[4:5], v[6:7], 0, s[20:21]
	v_add_u32_e32 v24, 0x1080, v14
	s_waitcnt vmcnt(0) lgkmcnt(0)
	ds_write2_b64 v14, v[20:21], v[22:23] offset1:1
	flat_load_dwordx4 v[20:23], v[4:5] offset:512
	v_lshl_add_u64 v[4:5], v[4:5], 0, s[20:21]
	s_waitcnt vmcnt(0) lgkmcnt(0)
	ds_write2_b64 v24, v[20:21], v[22:23] offset1:1
	flat_load_dwordx4 v[20:23], v[4:5] offset:512
	v_add_u32_e32 v24, 0x2100, v14
	v_lshl_add_u64 v[4:5], v[4:5], 0, s[20:21]
	s_mov_b64 s[20:21], 0
	s_waitcnt vmcnt(0) lgkmcnt(0)
	ds_write2_b64 v24, v[20:21], v[22:23] offset1:1
	flat_load_dwordx4 v[20:23], v[4:5] offset:512
	v_add_u32_e32 v4, 0x3180, v14
	s_waitcnt vmcnt(0) lgkmcnt(0)
	ds_write2_b64 v4, v[20:21], v[22:23] offset1:1
.LBB60_53:
	s_andn2_b64 vcc, exec, s[20:21]
	s_cbranch_vccnz .LBB60_71
; %bb.54:
	v_lshlrev_b32_e32 v4, 4, v8
	v_sub_co_u32_e32 v6, vcc, v6, v4
	s_ashr_i32 s29, s28, 31
	s_nop 0
	v_subbrev_co_u32_e32 v7, vcc, 0, v7, vcc
	v_or_b32_e32 v5, 32, v8
	v_lshl_add_u64 v[6:7], s[28:29], 4, v[6:7]
	v_lshl_add_u64 v[6:7], v[6:7], 0, -16
	v_cmp_gt_i32_e32 vcc, s28, v5
	s_sub_i32 s38, s28, 32
	v_cmp_le_i32_e64 s[20:21], s38, v12
	v_cndmask_b32_e32 v7, v7, v11, vcc
	v_cndmask_b32_e32 v6, v6, v10, vcc
	s_and_saveexec_b64 s[40:41], s[20:21]
	s_xor_b64 s[20:21], exec, s[40:41]
; %bb.55:
	v_mov_b32_e32 v20, 0
	v_mov_b32_e32 v21, v20
	;; [unrolled: 1-line block ×4, first 2 shown]
	ds_write_b128 v14, v[20:23]
; %bb.56:
	s_andn2_saveexec_b64 s[20:21], s[20:21]
	s_cbranch_execz .LBB60_58
; %bb.57:
	flat_load_dwordx4 v[20:23], v[6:7]
	s_waitcnt vmcnt(0) lgkmcnt(0)
	ds_write2_b64 v14, v[20:21], v[22:23] offset1:1
.LBB60_58:
	s_or_b64 exec, exec, s[20:21]
	v_add_u32_e32 v20, 8, v12
	v_mul_u32_u24_e32 v5, 0x210, v12
	v_cmp_le_i32_e64 s[20:21], s38, v20
	s_and_saveexec_b64 s[40:41], s[20:21]
	s_xor_b64 s[20:21], exec, s[40:41]
	s_cbranch_execz .LBB60_60
; %bb.59:
	v_mov_b32_e32 v22, 0
	v_add_u32_e32 v20, v5, v9
	v_mov_b32_e32 v23, v22
	v_mov_b32_e32 v24, v22
	;; [unrolled: 1-line block ×3, first 2 shown]
	ds_write_b128 v20, v[22:25] offset:4224
.LBB60_60:
	s_andn2_saveexec_b64 s[20:21], s[20:21]
	s_cbranch_execz .LBB60_62
; %bb.61:
	s_lshl_b64 s[40:41], s[24:25], 7
	v_lshl_add_u64 v[20:21], v[6:7], 0, s[40:41]
	flat_load_dwordx4 v[20:23], v[20:21]
	s_movk_i32 s39, 0x1080
	v_add3_u32 v24, v5, v9, s39
	s_waitcnt vmcnt(0) lgkmcnt(0)
	ds_write2_b64 v24, v[20:21], v[22:23] offset1:1
.LBB60_62:
	s_or_b64 exec, exec, s[20:21]
	v_add_u32_e32 v20, 16, v12
	v_cmp_le_i32_e64 s[20:21], s38, v20
	s_and_saveexec_b64 s[40:41], s[20:21]
	s_xor_b64 s[20:21], exec, s[40:41]
	s_cbranch_execz .LBB60_64
; %bb.63:
	v_mov_b32_e32 v22, 0
	v_add_u32_e32 v20, v5, v9
	v_mov_b32_e32 v23, v22
	v_mov_b32_e32 v24, v22
	;; [unrolled: 1-line block ×3, first 2 shown]
	ds_write_b128 v20, v[22:25] offset:8448
.LBB60_64:
	s_andn2_saveexec_b64 s[20:21], s[20:21]
	s_cbranch_execz .LBB60_66
; %bb.65:
	s_lshl_b64 s[40:41], s[24:25], 8
	v_lshl_add_u64 v[20:21], v[6:7], 0, s[40:41]
	flat_load_dwordx4 v[20:23], v[20:21]
	s_movk_i32 s39, 0x2100
	v_add3_u32 v24, v5, v9, s39
	s_waitcnt vmcnt(0) lgkmcnt(0)
	ds_write2_b64 v24, v[20:21], v[22:23] offset1:1
.LBB60_66:
	s_or_b64 exec, exec, s[20:21]
	v_add_u32_e32 v20, 24, v12
	v_cmp_le_i32_e64 s[20:21], s38, v20
	s_and_saveexec_b64 s[38:39], s[20:21]
	s_xor_b64 s[20:21], exec, s[38:39]
	s_cbranch_execz .LBB60_68
; %bb.67:
	v_mov_b32_e32 v20, 0
	v_add_u32_e32 v5, v5, v9
	v_mov_b32_e32 v21, v20
	v_mov_b32_e32 v22, v20
	;; [unrolled: 1-line block ×3, first 2 shown]
	ds_write_b128 v5, v[20:23] offset:12672
                                        ; implicit-def: $vgpr5
.LBB60_68:
	s_andn2_saveexec_b64 s[20:21], s[20:21]
	s_cbranch_execz .LBB60_70
; %bb.69:
	v_mov_b32_e32 v20, 0x180
	v_mad_u64_u32 v[20:21], s[38:39], s24, v20, v[6:7]
	s_mul_i32 s38, s25, 0x180
	s_nop 0
	v_add_u32_e32 v21, s38, v21
	flat_load_dwordx4 v[20:23], v[20:21]
	s_movk_i32 s38, 0x3180
	v_add3_u32 v5, v5, v9, s38
	s_waitcnt vmcnt(0) lgkmcnt(0)
	ds_write2_b64 v5, v[20:21], v[22:23] offset1:1
.LBB60_70:
	s_or_b64 exec, exec, s[20:21]
	v_mov_b32_e32 v5, 0
	v_lshl_add_u64 v[4:5], v[6:7], 0, v[4:5]
	s_lshl_b64 s[20:21], s[28:29], 4
	v_mov_b32_e32 v6, s21
	v_subrev_co_u32_e64 v4, s[20:21], s20, v4
	s_nop 1
	v_subb_co_u32_e64 v5, s[20:21], v5, v6, s[20:21]
	s_mov_b64 s[20:21], 0x210
	s_nop 0
	v_lshl_add_u64 v[4:5], v[4:5], 0, s[20:21]
	v_cndmask_b32_e32 v11, v5, v11, vcc
	v_cndmask_b32_e32 v10, v4, v10, vcc
.LBB60_71:
	v_mul_u32_u24_e32 v4, 0x840, v12
	v_add_u32_e32 v45, 0x4700, v19
	v_mul_u32_u24_e32 v20, 0x210, v16
	s_lshl_b64 s[20:21], s[24:25], 5
	s_mov_b64 s[38:39], 0
	s_waitcnt lgkmcnt(0)
	s_barrier
                                        ; implicit-def: $vgpr21
	s_and_saveexec_b64 s[40:41], s[8:9]
	s_xor_b64 s[8:9], exec, s[40:41]
	s_cbranch_execz .LBB60_75
; %bb.72:
	v_cmp_eq_u32_e32 vcc, v13, v8
                                        ; implicit-def: $vgpr21
	s_and_saveexec_b64 s[40:41], vcc
	s_xor_b64 s[40:41], exec, s[40:41]
; %bb.73:
	s_mov_b64 s[38:39], exec
	v_add_u32_e32 v21, v9, v15
; %bb.74:
	s_or_b64 exec, exec, s[40:41]
	s_and_b64 s[38:39], s[38:39], exec
.LBB60_75:
	s_or_saveexec_b64 s[8:9], s[8:9]
	v_mov_b64_e32 v[6:7], 0
	v_add_u32_e32 v19, v9, v4
	s_xor_b64 exec, exec, s[8:9]
	s_cbranch_execz .LBB60_77
; %bb.76:
	ds_read_b128 v[4:7], v19
	v_lshl_add_u32 v21, v13, 4, v43
	s_or_b64 s[38:39], s[38:39], exec
	s_waitcnt lgkmcnt(0)
	v_xor_b32_e32 v7, 0x80000000, v7
	ds_write_b64 v21, v[4:5]
.LBB60_77:
	s_or_b64 exec, exec, s[8:9]
	s_and_saveexec_b64 s[8:9], s[38:39]
; %bb.78:
	ds_write_b64 v21, v[6:7] offset:8
; %bb.79:
	s_or_b64 exec, exec, s[8:9]
	s_mov_b64 s[8:9], 0
                                        ; implicit-def: $vgpr21
	s_and_saveexec_b64 s[38:39], s[10:11]
	s_xor_b64 s[10:11], exec, s[38:39]
	s_cbranch_execz .LBB60_83
; %bb.80:
	v_cmp_eq_u32_e32 vcc, v16, v8
                                        ; implicit-def: $vgpr21
	s_and_saveexec_b64 s[38:39], vcc
; %bb.81:
	s_mov_b64 s[8:9], exec
	v_add_u32_e32 v21, v9, v15
; %bb.82:
	s_or_b64 exec, exec, s[38:39]
	s_and_b64 s[8:9], s[8:9], exec
.LBB60_83:
	s_or_saveexec_b64 s[10:11], s[10:11]
	v_mov_b64_e32 v[6:7], 0
	v_add_u32_e32 v16, v9, v20
	s_xor_b64 exec, exec, s[10:11]
	s_cbranch_execz .LBB60_85
; %bb.84:
	ds_read_b128 v[4:7], v16
	v_lshl_add_u32 v20, v13, 4, v43
	v_add_u32_e32 v21, 16, v20
	s_or_b64 s[8:9], s[8:9], exec
	s_waitcnt lgkmcnt(0)
	v_xor_b32_e32 v7, 0x80000000, v7
	ds_write_b64 v20, v[4:5] offset:16
.LBB60_85:
	s_or_b64 exec, exec, s[10:11]
	s_and_saveexec_b64 s[10:11], s[8:9]
; %bb.86:
	ds_write_b64 v21, v[6:7] offset:8
; %bb.87:
	s_or_b64 exec, exec, s[10:11]
	s_mov_b64 s[8:9], 0
                                        ; implicit-def: $vgpr20
	s_and_saveexec_b64 s[10:11], s[12:13]
	s_xor_b64 s[10:11], exec, s[10:11]
	s_cbranch_execnz .LBB60_111
; %bb.88:
	s_or_saveexec_b64 s[10:11], s[10:11]
	v_mov_b64_e32 v[6:7], 0
	s_xor_b64 exec, exec, s[10:11]
	s_cbranch_execnz .LBB60_114
.LBB60_89:
	s_or_b64 exec, exec, s[10:11]
	s_and_saveexec_b64 s[10:11], s[8:9]
.LBB60_90:
	ds_write_b64 v20, v[6:7] offset:8
.LBB60_91:
	s_or_b64 exec, exec, s[10:11]
	s_mov_b64 s[8:9], 0
                                        ; implicit-def: $vgpr17
	s_and_saveexec_b64 s[10:11], s[14:15]
	s_xor_b64 s[10:11], exec, s[10:11]
	s_cbranch_execnz .LBB60_115
; %bb.92:
	s_or_saveexec_b64 s[10:11], s[10:11]
	v_mov_b64_e32 v[6:7], 0
	s_xor_b64 exec, exec, s[10:11]
	s_cbranch_execnz .LBB60_118
.LBB60_93:
	s_or_b64 exec, exec, s[10:11]
	s_and_saveexec_b64 s[10:11], s[8:9]
.LBB60_94:
	ds_write_b64 v17, v[6:7] offset:8
.LBB60_95:
	s_or_b64 exec, exec, s[10:11]
	s_waitcnt lgkmcnt(0)
	s_barrier
	ds_read_b128 v[4:7], v19
	ds_read_b128 v[18:21], v45 offset:512
	ds_read_b128 v[22:25], v45 offset:528
	;; [unrolled: 1-line block ×5, first 2 shown]
	ds_read_b128 v[50:53], v16
	s_waitcnt lgkmcnt(5)
	v_mul_f64 v[34:35], v[20:21], v[6:7]
	v_mul_f64 v[6:7], v[18:19], v[6:7]
	v_fmac_f64_e32 v[6:7], v[20:21], v[4:5]
	v_fma_f64 v[34:35], v[18:19], v[4:5], -v[34:35]
	v_add_f64 v[20:21], v[6:7], 0
	ds_read_b128 v[4:7], v16 offset:528
	s_waitcnt lgkmcnt(1)
	v_mul_f64 v[16:17], v[24:25], v[52:53]
	v_fma_f64 v[16:17], v[22:23], v[50:51], -v[16:17]
	v_mul_f64 v[22:23], v[22:23], v[52:53]
	v_add_f64 v[18:19], v[34:35], 0
	v_fmac_f64_e32 v[22:23], v[24:25], v[50:51]
	v_add_f64 v[16:17], v[18:19], v[16:17]
	v_add_f64 v[18:19], v[20:21], v[22:23]
	s_waitcnt lgkmcnt(0)
	v_mul_f64 v[20:21], v[28:29], v[6:7]
	v_mul_f64 v[6:7], v[26:27], v[6:7]
	v_fma_f64 v[20:21], v[26:27], v[4:5], -v[20:21]
	v_fmac_f64_e32 v[6:7], v[28:29], v[4:5]
	v_add_f64 v[4:5], v[16:17], v[20:21]
	v_add_f64 v[6:7], v[18:19], v[6:7]
	v_mul_f64 v[16:17], v[32:33], v[48:49]
	v_mul_f64 v[18:19], v[30:31], v[48:49]
	v_fma_f64 v[16:17], v[30:31], v[46:47], -v[16:17]
	v_fmac_f64_e32 v[18:19], v[32:33], v[46:47]
	v_add_f64 v[4:5], v[4:5], v[16:17]
	v_add_f64 v[6:7], v[6:7], v[18:19]
	v_cmp_eq_u32_e64 s[8:9], 1, v12
	s_barrier
	ds_write_b128 v44, v[4:7]
	s_waitcnt lgkmcnt(0)
	s_barrier
	s_and_saveexec_b64 s[10:11], s[8:9]
	s_cbranch_execz .LBB60_97
; %bb.96:
	ds_read_b128 v[0:3], v43
	ds_read_b128 v[4:7], v43 offset:16
	ds_read_b128 v[16:19], v43 offset:32
	;; [unrolled: 1-line block ×3, first 2 shown]
	s_waitcnt lgkmcnt(2)
	v_add_f64 v[0:1], v[4:5], v[0:1]
	v_add_f64 v[4:5], v[6:7], v[2:3]
	s_waitcnt lgkmcnt(1)
	v_add_f64 v[6:7], v[0:1], v[16:17]
	ds_read_b128 v[0:3], v43 offset:64
	v_add_f64 v[4:5], v[4:5], v[18:19]
	s_waitcnt lgkmcnt(1)
	v_add_f64 v[16:17], v[6:7], v[20:21]
	v_add_f64 v[20:21], v[4:5], v[22:23]
	ds_read_b128 v[4:7], v43 offset:80
	s_waitcnt lgkmcnt(1)
	v_add_f64 v[22:23], v[16:17], v[0:1]
	ds_read_b128 v[16:19], v43 offset:96
	v_add_f64 v[20:21], v[20:21], v[2:3]
	ds_read_b128 v[0:3], v43 offset:112
	s_waitcnt lgkmcnt(2)
	v_add_f64 v[4:5], v[22:23], v[4:5]
	v_add_f64 v[6:7], v[20:21], v[6:7]
	s_waitcnt lgkmcnt(1)
	v_add_f64 v[4:5], v[4:5], v[16:17]
	v_add_f64 v[6:7], v[6:7], v[18:19]
	s_waitcnt lgkmcnt(0)
	v_add_f64 v[0:1], v[4:5], v[0:1]
	v_add_f64 v[2:3], v[6:7], v[2:3]
.LBB60_97:
	s_or_b64 exec, exec, s[10:11]
	s_lshl_b64 s[10:11], s[20:21], 4
	v_mov_b32_e32 v4, s11
	v_subrev_co_u32_e64 v40, s[10:11], s10, v10
	s_and_b64 vcc, exec, s[16:17]
	s_nop 0
	v_subb_co_u32_e64 v41, s[10:11], v11, v4, s[10:11]
	s_barrier
	s_cbranch_vccnz .LBB60_119
; %bb.98:
	flat_load_dwordx4 v[4:7], v[40:41]
	s_lshl_b64 s[10:11], s[24:25], 7
	v_lshl_add_u64 v[10:11], v[40:41], 0, s[10:11]
	s_movk_i32 s12, 0x210
	s_waitcnt vmcnt(0) lgkmcnt(0)
	ds_write2_b64 v14, v[4:5], v[6:7] offset1:1
	flat_load_dwordx4 v[16:19], v[10:11]
	v_add_u32_e32 v6, 8, v12
	v_mad_u32_u24 v4, v6, s12, v9
	v_lshl_add_u64 v[10:11], v[10:11], 0, s[10:11]
	v_add_u32_e32 v7, 16, v12
	s_waitcnt vmcnt(0) lgkmcnt(0)
	ds_write2_b64 v4, v[16:17], v[18:19] offset1:1
	flat_load_dwordx4 v[16:19], v[10:11]
	v_mov_b32_e32 v4, 0x1080
	v_mad_u32_u24 v4, v6, s12, v4
	v_add_u32_e32 v5, v9, v4
	v_lshl_add_u64 v[10:11], v[10:11], 0, s[10:11]
	s_waitcnt vmcnt(0) lgkmcnt(0)
	ds_write2_b64 v5, v[16:17], v[18:19] offset1:1
	flat_load_dwordx4 v[16:19], v[10:11]
	v_mov_b32_e32 v11, 0x2100
	v_mad_u32_u24 v11, v6, s12, v11
	v_add_u32_e32 v10, 24, v12
	v_mul_u32_u24_e32 v5, 0x210, v6
	v_add_u32_e32 v15, v9, v11
	s_waitcnt vmcnt(0) lgkmcnt(0)
	ds_write2_b64 v15, v[16:17], v[18:19] offset1:1
	s_cbranch_execz .LBB60_120
	s_branch .LBB60_137
.LBB60_99:
	v_cmp_eq_u32_e32 vcc, v16, v8
                                        ; implicit-def: $vgpr7
	s_and_saveexec_b64 s[14:15], vcc
; %bb.100:
	s_mov_b64 s[6:7], exec
	v_add_u32_e32 v7, v9, v15
; %bb.101:
	s_or_b64 exec, exec, s[14:15]
	s_and_b64 s[6:7], s[6:7], exec
	s_or_saveexec_b64 s[12:13], s[12:13]
	v_mov_b64_e32 v[2:3], 0
	s_xor_b64 exec, exec, s[12:13]
	s_cbranch_execz .LBB60_39
.LBB60_102:
	s_movk_i32 s14, 0x210
	v_mad_u32_u24 v0, v16, s14, v9
	ds_read_b128 v[0:3], v0
	v_lshl_add_u32 v10, v13, 4, v6
	v_add_u32_e32 v7, 16, v10
	s_or_b64 s[6:7], s[6:7], exec
	s_waitcnt lgkmcnt(0)
	v_xor_b32_e32 v3, 0x80000000, v3
	ds_write_b64 v10, v[0:1] offset:16
	s_or_b64 exec, exec, s[12:13]
	s_and_saveexec_b64 s[12:13], s[6:7]
	s_cbranch_execnz .LBB60_40
	s_branch .LBB60_41
.LBB60_103:
	v_cmp_eq_u32_e32 vcc, v17, v8
                                        ; implicit-def: $vgpr7
	s_and_saveexec_b64 s[16:17], vcc
; %bb.104:
	s_mov_b64 s[6:7], exec
	v_add_u32_e32 v7, v9, v15
; %bb.105:
	s_or_b64 exec, exec, s[16:17]
	s_and_b64 s[6:7], s[6:7], exec
	s_or_saveexec_b64 s[14:15], s[14:15]
	v_mov_b64_e32 v[2:3], 0
	s_xor_b64 exec, exec, s[14:15]
	s_cbranch_execz .LBB60_43
.LBB60_106:
	s_movk_i32 s16, 0x210
	v_mad_u32_u24 v0, v17, s16, v9
	ds_read_b128 v[0:3], v0
	v_lshl_add_u32 v10, v13, 4, v6
	v_add_u32_e32 v7, 32, v10
	s_or_b64 s[6:7], s[6:7], exec
	s_waitcnt lgkmcnt(0)
	v_xor_b32_e32 v3, 0x80000000, v3
	ds_write_b64 v10, v[0:1] offset:32
	s_or_b64 exec, exec, s[14:15]
	s_and_saveexec_b64 s[14:15], s[6:7]
	s_cbranch_execnz .LBB60_44
	s_branch .LBB60_45
.LBB60_107:
	v_cmp_eq_u32_e32 vcc, v18, v8
                                        ; implicit-def: $vgpr7
	s_and_saveexec_b64 s[38:39], vcc
; %bb.108:
	s_mov_b64 s[6:7], exec
	v_add_u32_e32 v7, v9, v15
; %bb.109:
	s_or_b64 exec, exec, s[38:39]
	s_and_b64 s[6:7], s[6:7], exec
                                        ; implicit-def: $vgpr6
	s_or_saveexec_b64 s[16:17], s[16:17]
	v_mov_b64_e32 v[2:3], 0
	s_xor_b64 exec, exec, s[16:17]
	s_cbranch_execz .LBB60_47
.LBB60_110:
	s_movk_i32 s29, 0x210
	v_mad_u32_u24 v0, v18, s29, v9
	ds_read_b128 v[0:3], v0
	v_lshl_add_u32 v6, v13, 4, v6
	v_add_u32_e32 v7, 48, v6
	s_or_b64 s[6:7], s[6:7], exec
	s_waitcnt lgkmcnt(0)
	v_xor_b32_e32 v3, 0x80000000, v3
	ds_write_b64 v6, v[0:1] offset:48
	s_or_b64 exec, exec, s[16:17]
	s_and_saveexec_b64 s[16:17], s[6:7]
	s_cbranch_execnz .LBB60_48
	s_branch .LBB60_49
.LBB60_111:
	v_cmp_eq_u32_e32 vcc, v17, v8
                                        ; implicit-def: $vgpr20
	s_and_saveexec_b64 s[12:13], vcc
; %bb.112:
	s_mov_b64 s[8:9], exec
	v_add_u32_e32 v20, v9, v15
; %bb.113:
	s_or_b64 exec, exec, s[12:13]
	s_and_b64 s[8:9], s[8:9], exec
	s_or_saveexec_b64 s[10:11], s[10:11]
	v_mov_b64_e32 v[6:7], 0
	s_xor_b64 exec, exec, s[10:11]
	s_cbranch_execz .LBB60_89
.LBB60_114:
	ds_read_b128 v[4:7], v16 offset:528
	v_lshl_add_u32 v17, v13, 4, v43
	v_add_u32_e32 v20, 32, v17
	s_or_b64 s[8:9], s[8:9], exec
	s_waitcnt lgkmcnt(0)
	v_xor_b32_e32 v7, 0x80000000, v7
	ds_write_b64 v17, v[4:5] offset:32
	s_or_b64 exec, exec, s[10:11]
	s_and_saveexec_b64 s[10:11], s[8:9]
	s_cbranch_execnz .LBB60_90
	s_branch .LBB60_91
.LBB60_115:
	v_cmp_eq_u32_e32 vcc, v18, v8
                                        ; implicit-def: $vgpr17
	s_and_saveexec_b64 s[12:13], vcc
; %bb.116:
	s_mov_b64 s[8:9], exec
	v_add_u32_e32 v17, v9, v15
; %bb.117:
	s_or_b64 exec, exec, s[12:13]
	s_and_b64 s[8:9], s[8:9], exec
	s_or_saveexec_b64 s[10:11], s[10:11]
	v_mov_b64_e32 v[6:7], 0
	s_xor_b64 exec, exec, s[10:11]
	s_cbranch_execz .LBB60_93
.LBB60_118:
	ds_read_b128 v[4:7], v16 offset:1056
	v_lshl_add_u32 v15, v13, 4, v43
	v_add_u32_e32 v17, 48, v15
	s_or_b64 s[8:9], s[8:9], exec
	s_waitcnt lgkmcnt(0)
	v_xor_b32_e32 v7, 0x80000000, v7
	ds_write_b64 v15, v[4:5] offset:48
	s_or_b64 exec, exec, s[10:11]
	s_and_saveexec_b64 s[10:11], s[8:9]
	s_cbranch_execnz .LBB60_94
	s_branch .LBB60_95
.LBB60_119:
                                        ; implicit-def: $vgpr6
                                        ; implicit-def: $vgpr5
                                        ; implicit-def: $vgpr7
                                        ; implicit-def: $vgpr4
                                        ; implicit-def: $vgpr10
                                        ; implicit-def: $vgpr11
.LBB60_120:
	v_or_b32_e32 v6, 32, v8
	v_lshlrev_b32_e32 v4, 4, v6
	v_sub_co_u32_e32 v4, vcc, v40, v4
	s_ashr_i32 s29, s28, 31
	s_nop 0
	v_subbrev_co_u32_e32 v5, vcc, 0, v41, vcc
	v_lshl_add_u64 v[4:5], s[28:29], 4, v[4:5]
	v_lshl_add_u64 v[4:5], v[4:5], 0, -16
	v_cmp_gt_i32_e32 vcc, s28, v6
	v_cmp_le_i32_e64 s[10:11], s28, v12
	s_nop 0
	v_cndmask_b32_e32 v5, v5, v41, vcc
	v_cndmask_b32_e32 v4, v4, v40, vcc
	s_and_saveexec_b64 s[12:13], s[10:11]
	s_xor_b64 s[10:11], exec, s[12:13]
; %bb.121:
	v_mov_b32_e32 v16, 0
	v_mov_b32_e32 v17, v16
	;; [unrolled: 1-line block ×4, first 2 shown]
	ds_write_b128 v14, v[16:19]
; %bb.122:
	s_andn2_saveexec_b64 s[10:11], s[10:11]
	s_cbranch_execz .LBB60_124
; %bb.123:
	flat_load_dwordx4 v[16:19], v[4:5]
	s_waitcnt vmcnt(0) lgkmcnt(0)
	ds_write2_b64 v14, v[16:17], v[18:19] offset1:1
.LBB60_124:
	s_or_b64 exec, exec, s[10:11]
	v_add_u32_e32 v6, 8, v12
	v_cmp_le_i32_e64 s[10:11], s28, v6
	s_and_saveexec_b64 s[12:13], s[10:11]
	s_xor_b64 s[10:11], exec, s[12:13]
	s_cbranch_execz .LBB60_126
; %bb.125:
	s_movk_i32 s12, 0x210
	v_mov_b32_e32 v16, 0
	v_mad_u32_u24 v7, v6, s12, v9
	v_mov_b32_e32 v17, v16
	v_mov_b32_e32 v18, v16
	;; [unrolled: 1-line block ×3, first 2 shown]
	ds_write_b128 v7, v[16:19]
.LBB60_126:
	s_andn2_saveexec_b64 s[10:11], s[10:11]
	s_cbranch_execz .LBB60_128
; %bb.127:
	s_lshl_b64 s[12:13], s[24:25], 7
	v_lshl_add_u64 v[10:11], v[4:5], 0, s[12:13]
	flat_load_dwordx4 v[16:19], v[10:11]
	s_movk_i32 s12, 0x210
	v_mad_u32_u24 v7, v6, s12, v9
	s_waitcnt vmcnt(0) lgkmcnt(0)
	ds_write2_b64 v7, v[16:17], v[18:19] offset1:1
.LBB60_128:
	s_or_b64 exec, exec, s[10:11]
	v_add_u32_e32 v7, 16, v12
	v_cmp_le_i32_e64 s[10:11], s28, v7
	s_and_saveexec_b64 s[12:13], s[10:11]
	s_xor_b64 s[10:11], exec, s[12:13]
	s_cbranch_execz .LBB60_130
; %bb.129:
	s_movk_i32 s12, 0x210
	v_mov_b32_e32 v16, 0
	v_mad_u32_u24 v10, v7, s12, v9
	v_mov_b32_e32 v17, v16
	v_mov_b32_e32 v18, v16
	;; [unrolled: 1-line block ×3, first 2 shown]
	ds_write_b128 v10, v[16:19]
.LBB60_130:
	s_andn2_saveexec_b64 s[10:11], s[10:11]
	s_cbranch_execz .LBB60_132
; %bb.131:
	s_lshl_b64 s[12:13], s[24:25], 8
	v_lshl_add_u64 v[10:11], v[4:5], 0, s[12:13]
	flat_load_dwordx4 v[16:19], v[10:11]
	s_movk_i32 s12, 0x210
	v_mad_u32_u24 v10, v7, s12, v9
	s_waitcnt vmcnt(0) lgkmcnt(0)
	ds_write2_b64 v10, v[16:17], v[18:19] offset1:1
.LBB60_132:
	s_or_b64 exec, exec, s[10:11]
	v_add_u32_e32 v10, 24, v12
	v_cmp_le_i32_e64 s[10:11], s28, v10
                                        ; implicit-def: $vgpr11
	s_and_saveexec_b64 s[12:13], s[10:11]
	s_xor_b64 s[10:11], exec, s[12:13]
	s_cbranch_execz .LBB60_134
; %bb.133:
	s_movk_i32 s12, 0x210
	v_mov_b32_e32 v16, 0
	v_mul_u32_u24_e32 v11, 0x210, v10
	v_mad_u32_u24 v15, v10, s12, v9
	v_mov_b32_e32 v17, v16
	v_mov_b32_e32 v18, v16
	;; [unrolled: 1-line block ×3, first 2 shown]
	ds_write_b128 v15, v[16:19]
.LBB60_134:
	s_andn2_saveexec_b64 s[10:11], s[10:11]
	s_cbranch_execz .LBB60_136
; %bb.135:
	v_mov_b32_e32 v11, 0x180
	v_mad_u64_u32 v[16:17], s[12:13], s24, v11, v[4:5]
	s_mul_i32 s12, s25, 0x180
	s_nop 0
	v_add_u32_e32 v17, s12, v17
	flat_load_dwordx4 v[16:19], v[16:17]
	s_movk_i32 s12, 0x210
	v_mul_u32_u24_e32 v11, 0x210, v10
	v_mad_u32_u24 v15, v10, s12, v9
	s_waitcnt vmcnt(0) lgkmcnt(0)
	ds_write2_b64 v15, v[16:17], v[18:19] offset1:1
.LBB60_136:
	s_or_b64 exec, exec, s[10:11]
	v_lshlrev_b32_e32 v16, 4, v8
	v_mov_b32_e32 v17, 0
	v_lshl_add_u64 v[4:5], v[4:5], 0, v[16:17]
	s_lshl_b64 s[10:11], s[28:29], 4
	v_mov_b32_e32 v8, s11
	v_subrev_co_u32_e64 v4, s[10:11], s10, v4
	s_nop 1
	v_subb_co_u32_e64 v5, s[10:11], v5, v8, s[10:11]
	s_mov_b64 s[10:11], 0x210
	s_nop 0
	v_lshl_add_u64 v[4:5], v[4:5], 0, s[10:11]
	v_cndmask_b32_e32 v40, v4, v40, vcc
	s_movk_i32 s10, 0x210
	v_mov_b32_e32 v4, 0x1080
	v_cndmask_b32_e32 v41, v5, v41, vcc
	v_mul_u32_u24_e32 v5, 0x210, v6
	v_mad_u32_u24 v4, v6, s10, v4
.LBB60_137:
	v_lshlrev_b32_e32 v8, 4, v12
	s_waitcnt lgkmcnt(0)
	s_barrier
	ds_read_b128 v[20:23], v8 offset:18176
	ds_read_b128 v[24:27], v14
	v_add_u32_e32 v5, v9, v5
	v_lshlrev_b32_e32 v6, 4, v6
	ds_read_b128 v[46:49], v6 offset:18176
	ds_read_b128 v[50:53], v5
	v_lshlrev_b32_e32 v5, 4, v7
	v_add_u32_e32 v4, v9, v4
	ds_read_b128 v[54:57], v5 offset:18176
	ds_read_b128 v[58:61], v4
	v_lshlrev_b32_e32 v5, 4, v10
	v_add_u32_e32 v4, v9, v11
	ds_read_b128 v[62:65], v5 offset:18176
	ds_read2_b64 v[66:69], v4 offset1:1
	s_waitcnt lgkmcnt(6)
	v_mul_f64 v[14:15], v[22:23], v[26:27]
	v_fma_f64 v[14:15], v[20:21], v[24:25], -v[14:15]
	s_waitcnt lgkmcnt(4)
	v_mul_f64 v[16:17], v[48:49], v[52:53]
	v_add_f64 v[14:15], v[14:15], 0
	v_fma_f64 v[16:17], v[46:47], v[50:51], -v[16:17]
	s_waitcnt lgkmcnt(2)
	v_mul_f64 v[6:7], v[56:57], v[60:61]
	v_add_f64 v[4:5], v[14:15], v[16:17]
	v_fma_f64 v[6:7], v[54:55], v[58:59], -v[6:7]
	v_add_f64 v[4:5], v[4:5], v[6:7]
	s_waitcnt lgkmcnt(0)
	v_mul_f64 v[6:7], v[64:65], v[68:69]
	v_fma_f64 v[6:7], v[62:63], v[66:67], -v[6:7]
	v_add_f64 v[70:71], v[4:5], v[6:7]
	v_lshl_add_u32 v4, v13, 4, v43
	v_mul_f64 v[72:73], v[20:21], v[26:27]
	ds_read_b128 v[28:31], v4
	ds_read_b128 v[16:19], v4 offset:16
	ds_read_b128 v[8:11], v4 offset:32
	;; [unrolled: 1-line block ×3, first 2 shown]
	v_fmac_f64_e32 v[72:73], v[22:23], v[24:25]
	v_mul_f64 v[46:47], v[46:47], v[52:53]
	v_fmac_f64_e32 v[46:47], v[48:49], v[50:51]
	v_add_f64 v[48:49], v[72:73], 0
	ds_read_b128 v[32:35], v45 offset:512
	ds_read_b128 v[24:27], v45 offset:528
	;; [unrolled: 1-line block ×4, first 2 shown]
	v_add_f64 v[46:47], v[48:49], v[46:47]
	v_mul_f64 v[48:49], v[54:55], v[60:61]
	v_fmac_f64_e32 v[48:49], v[56:57], v[58:59]
	v_add_f64 v[46:47], v[46:47], v[48:49]
	v_mul_f64 v[48:49], v[62:63], v[68:69]
	v_fmac_f64_e32 v[48:49], v[64:65], v[66:67]
	v_add_f64 v[72:73], v[46:47], v[48:49]
	s_waitcnt lgkmcnt(0)
	s_barrier
	ds_write_b128 v44, v[70:73]
	s_waitcnt lgkmcnt(0)
	s_barrier
	s_and_saveexec_b64 s[10:11], s[8:9]
	s_cbranch_execz .LBB60_139
; %bb.138:
	ds_read_b128 v[46:49], v43
	ds_read_b128 v[50:53], v43 offset:16
	ds_read_b128 v[54:57], v43 offset:32
	;; [unrolled: 1-line block ×3, first 2 shown]
	s_waitcnt lgkmcnt(3)
	v_add_f64 v[0:1], v[0:1], v[46:47]
	v_add_f64 v[2:3], v[2:3], v[48:49]
	s_waitcnt lgkmcnt(2)
	v_add_f64 v[0:1], v[0:1], v[50:51]
	v_add_f64 v[46:47], v[2:3], v[52:53]
	s_waitcnt lgkmcnt(1)
	v_add_f64 v[48:49], v[0:1], v[54:55]
	ds_read_b128 v[0:3], v43 offset:64
	v_add_f64 v[46:47], v[46:47], v[56:57]
	s_waitcnt lgkmcnt(1)
	v_add_f64 v[50:51], v[48:49], v[58:59]
	v_add_f64 v[54:55], v[46:47], v[60:61]
	ds_read_b128 v[46:49], v43 offset:80
	s_waitcnt lgkmcnt(1)
	v_add_f64 v[56:57], v[50:51], v[0:1]
	ds_read_b128 v[50:53], v43 offset:96
	v_add_f64 v[54:55], v[54:55], v[2:3]
	ds_read_b128 v[0:3], v43 offset:112
	s_waitcnt lgkmcnt(2)
	v_add_f64 v[46:47], v[56:57], v[46:47]
	v_add_f64 v[48:49], v[54:55], v[48:49]
	s_waitcnt lgkmcnt(1)
	v_add_f64 v[46:47], v[46:47], v[50:51]
	v_add_f64 v[48:49], v[48:49], v[52:53]
	;; [unrolled: 3-line block ×3, first 2 shown]
.LBB60_139:
	s_or_b64 exec, exec, s[10:11]
	v_mul_f64 v[46:47], v[30:31], v[34:35]
	v_mul_f64 v[30:31], v[30:31], v[32:33]
	v_fmac_f64_e32 v[46:47], v[28:29], v[32:33]
	v_fma_f64 v[28:29], v[28:29], v[34:35], -v[30:31]
	v_mul_f64 v[32:33], v[18:19], v[26:27]
	v_mul_f64 v[18:19], v[18:19], v[24:25]
	v_add_f64 v[28:29], v[28:29], 0
	v_fmac_f64_e32 v[32:33], v[16:17], v[24:25]
	v_fma_f64 v[16:17], v[16:17], v[26:27], -v[18:19]
	v_mul_f64 v[24:25], v[10:11], v[22:23]
	v_mul_f64 v[10:11], v[10:11], v[20:21]
	v_add_f64 v[30:31], v[46:47], 0
	v_add_f64 v[16:17], v[28:29], v[16:17]
	v_fmac_f64_e32 v[24:25], v[8:9], v[20:21]
	v_fma_f64 v[8:9], v[8:9], v[22:23], -v[10:11]
	v_add_f64 v[18:19], v[30:31], v[32:33]
	v_add_f64 v[8:9], v[16:17], v[8:9]
	v_mul_f64 v[16:17], v[6:7], v[14:15]
	v_mul_f64 v[6:7], v[6:7], v[12:13]
	v_add_f64 v[10:11], v[18:19], v[24:25]
	v_fmac_f64_e32 v[16:17], v[4:5], v[12:13]
	v_fma_f64 v[6:7], v[4:5], v[14:15], -v[6:7]
	v_add_f64 v[4:5], v[10:11], v[16:17]
	v_add_f64 v[6:7], v[8:9], v[6:7]
	s_barrier
	ds_write_b128 v44, v[4:7]
	s_waitcnt lgkmcnt(0)
	s_barrier
	s_and_saveexec_b64 s[8:9], s[6:7]
	s_cbranch_execz .LBB60_141
; %bb.140:
	ds_read_b128 v[4:7], v43
	ds_read_b128 v[8:11], v43 offset:16
	ds_read_b128 v[12:15], v43 offset:32
	ds_read_b128 v[16:19], v43 offset:48
	s_waitcnt lgkmcnt(3)
	v_add_f64 v[0:1], v[0:1], v[4:5]
	v_add_f64 v[2:3], v[2:3], v[6:7]
	s_waitcnt lgkmcnt(2)
	v_add_f64 v[0:1], v[0:1], v[8:9]
	v_add_f64 v[4:5], v[2:3], v[10:11]
	s_waitcnt lgkmcnt(1)
	v_add_f64 v[6:7], v[0:1], v[12:13]
	ds_read_b128 v[0:3], v43 offset:64
	v_add_f64 v[4:5], v[4:5], v[14:15]
	s_waitcnt lgkmcnt(1)
	v_add_f64 v[8:9], v[6:7], v[16:17]
	v_add_f64 v[12:13], v[4:5], v[18:19]
	ds_read_b128 v[4:7], v43 offset:80
	s_waitcnt lgkmcnt(1)
	v_add_f64 v[14:15], v[8:9], v[0:1]
	ds_read_b128 v[8:11], v43 offset:96
	v_add_f64 v[12:13], v[12:13], v[2:3]
	ds_read_b128 v[0:3], v43 offset:112
	s_waitcnt lgkmcnt(2)
	v_add_f64 v[4:5], v[14:15], v[4:5]
	v_add_f64 v[6:7], v[12:13], v[6:7]
	s_waitcnt lgkmcnt(1)
	v_add_f64 v[4:5], v[4:5], v[8:9]
	v_add_f64 v[6:7], v[6:7], v[10:11]
	;; [unrolled: 3-line block ×3, first 2 shown]
.LBB60_141:
	s_or_b64 exec, exec, s[8:9]
	s_load_dwordx2 s[0:1], s[0:1], 0x78
	s_mul_hi_u32 s6, s3, s26
	s_mul_i32 s33, s33, s26
	s_add_i32 s6, s6, s33
	s_mul_i32 s8, s3, s26
	s_mul_i32 s6, s6, s27
	s_mul_hi_u32 s7, s8, s27
	s_add_i32 s7, s7, s6
	s_mul_i32 s6, s8, s27
	s_lshl_b64 s[6:7], s[6:7], 4
	s_waitcnt lgkmcnt(0)
	s_add_u32 s6, s0, s6
	s_mul_i32 s0, s3, s2
	s_addc_u32 s7, s1, s7
	s_ashr_i32 s1, s0, 31
	s_lshl_b64 s[0:1], s[0:1], 4
	s_add_u32 s6, s6, s0
	v_cmp_le_i32_e32 vcc, s28, v159
	s_addc_u32 s7, s7, s1
	s_and_b64 vcc, s[36:37], vcc
	s_cmp_lt_i32 s2, 1
	v_lshlrev_b32_e32 v150, 4, v159
	s_barrier
	s_cbranch_scc1 .LBB60_148
; %bb.142:
	s_mul_i32 s0, s22, s31
	s_mul_hi_u32 s1, s22, s30
	s_add_i32 s0, s1, s0
	s_mul_i32 s1, s23, s30
	s_add_i32 s1, s0, s1
	s_mul_i32 s0, s22, s30
	s_lshl_b64 s[0:1], s[0:1], 4
	v_mov_b32_e32 v4, s1
	v_subrev_co_u32_e64 v152, s[0:1], s0, v36
	v_lshlrev_b64 v[6:7], 4, v[38:39]
	s_nop 0
	v_subb_co_u32_e64 v153, s[0:1], v37, v4, s[0:1]
	s_lshl_b64 s[0:1], s[34:35], 4
	s_nop 0
	v_mov_b32_e32 v5, s1
	v_subrev_co_u32_e64 v4, s[0:1], s0, v40
	v_lshlrev_b32_e32 v9, 2, v158
	s_nop 0
	v_subb_co_u32_e64 v5, s[0:1], v41, v5, s[0:1]
	s_movk_i32 s0, 0xfe00
	s_mov_b32 s1, -1
	v_lshl_add_u64 v[4:5], v[4:5], 0, s[0:1]
	v_sub_co_u32_e64 v4, s[0:1], v4, v6
	s_ashr_i32 s29, s28, 31
	s_nop 0
	v_subb_co_u32_e64 v5, s[0:1], v5, v7, s[0:1]
	v_mad_u64_u32 v[6:7], s[0:1], s24, v9, 0
	v_mov_b32_e32 v8, v7
	v_mad_u64_u32 v[8:9], s[0:1], s25, v9, v[8:9]
	v_mov_b32_e32 v7, v8
	v_lshl_add_u64 v[4:5], v[6:7], 4, v[4:5]
	v_mov_b32_e32 v155, 0
	v_lshl_add_u64 v[6:7], s[28:29], 4, v[4:5]
	v_mov_b32_e32 v151, v155
	v_lshl_add_u64 v[6:7], v[6:7], 0, -16
	v_lshl_add_u64 v[4:5], v[4:5], 0, v[150:151]
	v_cndmask_b32_e32 v9, v5, v7, vcc
	v_and_b32_e32 v5, 48, v159
	v_lshrrev_b32_e32 v10, 4, v42
	v_and_b32_e32 v11, 15, v159
	v_cndmask_b32_e32 v8, v4, v6, vcc
	v_mov_b32_e32 v4, 0x4300
	s_movk_i32 s3, 0x430
	v_lshlrev_b32_e32 v5, 4, v5
	v_lshl_add_u32 v160, v158, 6, v4
	v_lshlrev_b32_e32 v4, 6, v10
	v_mad_u32_u24 v164, v11, s3, v5
	v_or_b32_e32 v5, 0xf0, v150
	s_movk_i32 s0, 0x10c0
	v_mad_u32_u24 v163, v11, s3, v4
	v_mul_i32_i24_e32 v4, 0xffffffd0, v10
	v_mad_u32_u24 v165, v11, s3, v5
	s_mul_i32 s3, s25, 0xd0
	s_mul_hi_u32 s10, s24, 0xd0
	v_add_u32_e32 v151, 0x4300, v150
	v_add_u32_e32 v161, 0x4700, v150
	v_mad_u32_u24 v162, v158, s0, v150
	v_cmp_gt_u32_e64 s[0:1], 64, v42
	s_lshl_b64 s[8:9], s[24:25], 4
	s_add_i32 s11, s10, s3
	s_mul_i32 s10, s24, 0xd0
	s_mov_b32 s3, 0
	v_add_u32_e32 v166, v163, v4
	s_branch .LBB60_144
.LBB60_143:                             ;   in Loop: Header=BB60_144 Depth=1
	s_or_b64 exec, exec, s[12:13]
	v_mul_f64 v[132:133], v[6:7], v[34:35]
	v_fma_f64 v[132:133], v[4:5], v[32:33], -v[132:133]
	v_mul_f64 v[4:5], v[4:5], v[34:35]
	v_mul_f64 v[34:35], v[10:11], v[30:31]
	v_add_f64 v[0:1], v[0:1], v[132:133]
	v_fma_f64 v[34:35], v[8:9], v[28:29], -v[34:35]
	v_mul_f64 v[8:9], v[8:9], v[30:31]
	v_mul_f64 v[30:31], v[14:15], v[26:27]
	v_add_f64 v[0:1], v[0:1], v[34:35]
	v_fma_f64 v[30:31], v[12:13], v[24:25], -v[30:31]
	v_mul_f64 v[12:13], v[12:13], v[26:27]
	v_mul_f64 v[26:27], v[18:19], v[22:23]
	v_fmac_f64_e32 v[4:5], v[6:7], v[32:33]
	v_add_f64 v[0:1], v[0:1], v[30:31]
	v_fma_f64 v[26:27], v[16:17], v[20:21], -v[26:27]
	v_add_f64 v[2:3], v[2:3], v[4:5]
	v_mul_f64 v[4:5], v[38:39], v[70:71]
	v_add_f64 v[0:1], v[0:1], v[26:27]
	v_fma_f64 v[4:5], v[36:37], v[68:69], -v[4:5]
	v_add_f64 v[0:1], v[0:1], v[4:5]
	v_mul_f64 v[4:5], v[42:43], v[66:67]
	v_fma_f64 v[4:5], v[40:41], v[64:65], -v[4:5]
	v_add_f64 v[0:1], v[0:1], v[4:5]
	v_mul_f64 v[4:5], v[46:47], v[58:59]
	;; [unrolled: 3-line block ×4, first 2 shown]
	v_fmac_f64_e32 v[8:9], v[10:11], v[28:29]
	v_fma_f64 v[4:5], v[60:61], v[108:109], -v[4:5]
	v_mul_f64 v[16:17], v[16:17], v[22:23]
	v_add_f64 v[2:3], v[2:3], v[8:9]
	v_fmac_f64_e32 v[12:13], v[14:15], v[24:25]
	v_add_f64 v[0:1], v[0:1], v[4:5]
	v_mul_f64 v[4:5], v[74:75], v[106:107]
	v_add_f64 v[2:3], v[2:3], v[12:13]
	v_fmac_f64_e32 v[16:17], v[18:19], v[20:21]
	v_mul_f64 v[6:7], v[36:37], v[70:71]
	v_fma_f64 v[4:5], v[72:73], v[104:105], -v[4:5]
	v_add_f64 v[2:3], v[2:3], v[16:17]
	v_mul_f64 v[8:9], v[40:41], v[66:67]
	v_fmac_f64_e32 v[6:7], v[38:39], v[68:69]
	v_add_f64 v[0:1], v[0:1], v[4:5]
	v_mul_f64 v[4:5], v[78:79], v[98:99]
	v_mul_f64 v[10:11], v[44:45], v[58:59]
	v_add_f64 v[2:3], v[2:3], v[6:7]
	v_fmac_f64_e32 v[8:9], v[42:43], v[64:65]
	v_fma_f64 v[4:5], v[76:77], v[96:97], -v[4:5]
	v_mul_f64 v[12:13], v[48:49], v[54:55]
	v_add_f64 v[2:3], v[2:3], v[8:9]
	v_fmac_f64_e32 v[10:11], v[46:47], v[56:57]
	v_add_f64 v[0:1], v[0:1], v[4:5]
	v_mul_f64 v[4:5], v[82:83], v[86:87]
	v_add_f64 v[2:3], v[2:3], v[10:11]
	v_fmac_f64_e32 v[12:13], v[50:51], v[52:53]
	v_mul_f64 v[6:7], v[60:61], v[110:111]
	v_fma_f64 v[4:5], v[80:81], v[84:85], -v[4:5]
	v_add_f64 v[2:3], v[2:3], v[12:13]
	v_mul_f64 v[8:9], v[72:73], v[106:107]
	v_add_f64 v[0:1], v[0:1], v[4:5]
	v_fmac_f64_e32 v[6:7], v[62:63], v[108:109]
	v_mul_f64 v[4:5], v[90:91], v[118:119]
	v_mul_f64 v[10:11], v[76:77], v[98:99]
	v_add_f64 v[2:3], v[2:3], v[6:7]
	v_fmac_f64_e32 v[8:9], v[74:75], v[104:105]
	v_fma_f64 v[4:5], v[88:89], v[116:117], -v[4:5]
	v_mul_f64 v[12:13], v[80:81], v[86:87]
	v_add_f64 v[2:3], v[2:3], v[8:9]
	v_fmac_f64_e32 v[10:11], v[78:79], v[96:97]
	v_add_f64 v[0:1], v[0:1], v[4:5]
	v_mul_f64 v[4:5], v[94:95], v[122:123]
	v_add_f64 v[2:3], v[2:3], v[10:11]
	v_fmac_f64_e32 v[12:13], v[82:83], v[84:85]
	v_mul_f64 v[6:7], v[88:89], v[118:119]
	v_fma_f64 v[4:5], v[92:93], v[120:121], -v[4:5]
	v_add_f64 v[2:3], v[2:3], v[12:13]
	v_mul_f64 v[8:9], v[92:93], v[122:123]
	v_add_f64 v[0:1], v[0:1], v[4:5]
	v_mul_f64 v[4:5], v[102:103], v[126:127]
	v_fmac_f64_e32 v[6:7], v[90:91], v[116:117]
	v_fma_f64 v[4:5], v[100:101], v[124:125], -v[4:5]
	v_mul_f64 v[10:11], v[100:101], v[126:127]
	v_fmac_f64_e32 v[8:9], v[94:95], v[120:121]
	v_add_f64 v[2:3], v[2:3], v[6:7]
	v_add_f64 v[0:1], v[0:1], v[4:5]
	v_mul_f64 v[4:5], v[114:115], v[130:131]
	v_mul_f64 v[12:13], v[112:113], v[130:131]
	v_fmac_f64_e32 v[10:11], v[102:103], v[124:125]
	v_add_f64 v[2:3], v[2:3], v[8:9]
	v_fma_f64 v[4:5], v[112:113], v[128:129], -v[4:5]
	v_fmac_f64_e32 v[12:13], v[114:115], v[128:129]
	v_add_f64 v[2:3], v[2:3], v[10:11]
	s_add_i32 s3, s3, 64
	s_add_i32 s2, s2, -1
	v_add_f64 v[0:1], v[0:1], v[4:5]
	v_add_f64 v[2:3], v[2:3], v[12:13]
	s_cmp_eq_u32 s2, 0
	v_lshl_add_u64 v[8:9], v[156:157], 0, s[10:11]
	s_barrier
	s_cbranch_scc1 .LBB60_148
.LBB60_144:                             ; =>This Inner Loop Header: Depth=1
	s_and_saveexec_b64 s[12:13], s[18:19]
	s_cbranch_execz .LBB60_146
; %bb.145:                              ;   in Loop: Header=BB60_144 Depth=1
	s_mul_i32 s14, s23, s3
	s_mul_hi_u32 s15, s22, s3
	s_add_i32 s15, s15, s14
	s_mul_i32 s14, s22, s3
	v_lshl_add_u64 v[4:5], s[14:15], 4, v[152:153]
	flat_load_dwordx4 v[4:7], v[4:5]
	s_waitcnt vmcnt(0) lgkmcnt(0)
	ds_write2_b64 v151, v[4:5], v[6:7] offset1:1
.LBB60_146:                             ;   in Loop: Header=BB60_144 Depth=1
	s_or_b64 exec, exec, s[12:13]
	v_lshl_add_u64 v[12:13], v[8:9], 0, s[8:9]
	s_waitcnt lgkmcnt(0)
	s_barrier
	flat_load_dwordx4 v[4:7], v[8:9]
	v_lshl_add_u64 v[16:17], v[12:13], 0, s[8:9]
	flat_load_dwordx4 v[8:11], v[12:13]
	v_lshl_add_u64 v[40:41], v[16:17], 0, s[8:9]
	;; [unrolled: 2-line block ×3, first 2 shown]
	flat_load_dwordx4 v[16:19], v[40:41]
	ds_read_b128 v[36:39], v161
	ds_read_b128 v[32:35], v160
	ds_read_b128 v[28:31], v160 offset:16
	ds_read_b128 v[24:27], v160 offset:32
	;; [unrolled: 1-line block ×3, first 2 shown]
	s_waitcnt vmcnt(0) lgkmcnt(0)
	v_mul_f64 v[40:41], v[6:7], v[38:39]
	v_mul_f64 v[42:43], v[6:7], v[36:37]
	;; [unrolled: 1-line block ×4, first 2 shown]
	v_fmac_f64_e32 v[44:45], v[8:9], v[36:37]
	v_fma_f64 v[46:47], v[8:9], v[38:39], -v[46:47]
	v_fmac_f64_e32 v[40:41], v[4:5], v[36:37]
	v_fma_f64 v[42:43], v[4:5], v[38:39], -v[42:43]
	ds_write_b128 v162, v[44:47] offset:1072
	v_mul_f64 v[44:45], v[18:19], v[38:39]
	v_mul_f64 v[46:47], v[18:19], v[36:37]
	ds_write_b128 v162, v[40:43]
	v_mul_f64 v[40:41], v[14:15], v[38:39]
	v_mul_f64 v[42:43], v[14:15], v[36:37]
	v_fmac_f64_e32 v[44:45], v[16:17], v[36:37]
	v_fma_f64 v[46:47], v[16:17], v[38:39], -v[46:47]
	v_fmac_f64_e32 v[40:41], v[12:13], v[36:37]
	v_fma_f64 v[42:43], v[12:13], v[38:39], -v[42:43]
	ds_write_b128 v162, v[44:47] offset:3216
	v_lshl_add_u64 v[44:45], v[48:49], 0, s[8:9]
	ds_write_b128 v162, v[40:43] offset:2144
	s_waitcnt lgkmcnt(0)
	s_barrier
	ds_read_b128 v[128:131], v163
	ds_read_b128 v[124:127], v163 offset:16
	ds_read_b128 v[120:123], v163 offset:32
	;; [unrolled: 1-line block ×3, first 2 shown]
	s_waitcnt lgkmcnt(0)
	s_barrier
	flat_load_dwordx4 v[36:39], v[48:49]
	flat_load_dwordx4 v[40:43], v[44:45]
	v_lshl_add_u64 v[48:49], v[44:45], 0, s[8:9]
	v_lshl_add_u64 v[52:53], v[48:49], 0, s[8:9]
	flat_load_dwordx4 v[44:47], v[48:49]
	v_lshl_add_u64 v[88:89], v[52:53], 0, s[10:11]
	flat_load_dwordx4 v[48:51], v[52:53]
	ds_read_b128 v[60:63], v161
	ds_read_b128 v[68:71], v160 offset:256
	ds_read_b128 v[64:67], v160 offset:272
	;; [unrolled: 1-line block ×4, first 2 shown]
	v_add_f64 v[128:129], v[128:129], 0
	v_add_f64 v[130:131], v[130:131], 0
	;; [unrolled: 1-line block ×8, first 2 shown]
	s_waitcnt vmcnt(0) lgkmcnt(0)
	v_mul_f64 v[72:73], v[38:39], v[62:63]
	v_mul_f64 v[74:75], v[38:39], v[60:61]
	;; [unrolled: 1-line block ×8, first 2 shown]
	v_fma_f64 v[74:75], v[36:37], v[62:63], -v[74:75]
	v_fmac_f64_e32 v[72:73], v[36:37], v[60:61]
	v_fmac_f64_e32 v[76:77], v[40:41], v[60:61]
	v_fma_f64 v[78:79], v[40:41], v[62:63], -v[78:79]
	v_fma_f64 v[82:83], v[44:45], v[62:63], -v[82:83]
	;; [unrolled: 1-line block ×3, first 2 shown]
	v_fmac_f64_e32 v[80:81], v[44:45], v[60:61]
	v_fmac_f64_e32 v[84:85], v[48:49], v[60:61]
	ds_write_b128 v162, v[72:75]
	ds_write_b128 v162, v[76:79] offset:1072
	ds_write_b128 v162, v[80:83] offset:2144
	;; [unrolled: 1-line block ×3, first 2 shown]
	v_lshl_add_u64 v[76:77], v[88:89], 0, s[8:9]
	v_lshl_add_u64 v[80:81], v[76:77], 0, s[8:9]
	s_waitcnt lgkmcnt(0)
	s_barrier
	ds_read_b128 v[144:147], v163
	ds_read_b128 v[140:143], v163 offset:16
	ds_read_b128 v[136:139], v163 offset:32
	ds_read_b128 v[132:135], v163 offset:48
	s_waitcnt lgkmcnt(0)
	s_barrier
	flat_load_dwordx4 v[60:63], v[88:89]
	flat_load_dwordx4 v[72:75], v[76:77]
	v_lshl_add_u64 v[84:85], v[80:81], 0, s[8:9]
	flat_load_dwordx4 v[76:79], v[80:81]
	v_lshl_add_u64 v[156:157], v[84:85], 0, s[10:11]
	flat_load_dwordx4 v[80:83], v[84:85]
	ds_read_b128 v[88:91], v161
	ds_read_b128 v[108:111], v160 offset:512
	ds_read_b128 v[104:107], v160 offset:528
	;; [unrolled: 1-line block ×4, first 2 shown]
	v_add_f64 v[116:117], v[144:145], 0
	v_add_f64 v[118:119], v[146:147], 0
	;; [unrolled: 1-line block ×8, first 2 shown]
	s_waitcnt vmcnt(0) lgkmcnt(0)
	v_mul_f64 v[94:95], v[62:63], v[88:89]
	v_mul_f64 v[92:93], v[62:63], v[90:91]
	;; [unrolled: 1-line block ×8, first 2 shown]
	v_fma_f64 v[94:95], v[60:61], v[90:91], -v[94:95]
	v_fmac_f64_e32 v[92:93], v[60:61], v[88:89]
	v_fmac_f64_e32 v[100:101], v[72:73], v[88:89]
	v_fma_f64 v[102:103], v[72:73], v[90:91], -v[102:103]
	v_fma_f64 v[114:115], v[76:77], v[90:91], -v[114:115]
	;; [unrolled: 1-line block ×3, first 2 shown]
	v_fmac_f64_e32 v[112:113], v[76:77], v[88:89]
	v_fmac_f64_e32 v[168:169], v[80:81], v[88:89]
	ds_write_b128 v162, v[92:95]
	ds_write_b128 v162, v[100:103] offset:1072
	ds_write_b128 v162, v[112:115] offset:2144
	;; [unrolled: 1-line block ×3, first 2 shown]
	v_lshl_add_u64 v[100:101], v[156:157], 0, s[8:9]
	v_lshl_add_u64 v[112:113], v[100:101], 0, s[8:9]
	s_waitcnt lgkmcnt(0)
	s_barrier
	ds_read_b128 v[168:171], v163
	ds_read_b128 v[172:175], v163 offset:16
	ds_read_b128 v[176:179], v163 offset:32
	ds_read_b128 v[180:183], v163 offset:48
	s_waitcnt lgkmcnt(0)
	s_barrier
	flat_load_dwordx4 v[88:91], v[156:157]
	flat_load_dwordx4 v[92:95], v[100:101]
	v_lshl_add_u64 v[156:157], v[112:113], 0, s[8:9]
	flat_load_dwordx4 v[100:103], v[112:113]
	v_add_f64 v[140:141], v[168:169], 0
	flat_load_dwordx4 v[112:115], v[156:157]
	ds_read_b128 v[136:139], v161
	ds_read_b128 v[116:119], v160 offset:768
	ds_read_b128 v[120:123], v160 offset:784
	;; [unrolled: 1-line block ×4, first 2 shown]
	v_add_f64 v[142:143], v[170:171], 0
	v_add_f64 v[140:141], v[140:141], v[172:173]
	;; [unrolled: 1-line block ×7, first 2 shown]
	s_waitcnt vmcnt(0) lgkmcnt(0)
	v_mul_f64 v[146:147], v[90:91], v[136:137]
	v_mul_f64 v[144:145], v[90:91], v[138:139]
	;; [unrolled: 1-line block ×8, first 2 shown]
	v_fma_f64 v[146:147], v[88:89], v[138:139], -v[146:147]
	v_fma_f64 v[170:171], v[92:93], v[138:139], -v[170:171]
	;; [unrolled: 1-line block ×3, first 2 shown]
	v_fmac_f64_e32 v[144:145], v[88:89], v[136:137]
	v_fmac_f64_e32 v[168:169], v[92:93], v[136:137]
	;; [unrolled: 1-line block ×3, first 2 shown]
	v_fma_f64 v[178:179], v[112:113], v[138:139], -v[178:179]
	v_fmac_f64_e32 v[176:177], v[112:113], v[136:137]
	ds_write_b128 v162, v[144:147]
	ds_write_b128 v162, v[168:171] offset:1072
	ds_write_b128 v162, v[172:175] offset:2144
	;; [unrolled: 1-line block ×3, first 2 shown]
	s_waitcnt lgkmcnt(0)
	s_barrier
	ds_read_b128 v[136:139], v163
	ds_read_b128 v[144:147], v163 offset:16
	ds_read_b128 v[168:171], v163 offset:32
	;; [unrolled: 1-line block ×3, first 2 shown]
	s_waitcnt lgkmcnt(0)
	s_barrier
	ds_write_b128 v166, v[184:187]
	ds_write_b128 v166, v[132:135] offset:256
	ds_write_b128 v166, v[140:143] offset:512
	v_add_f64 v[132:133], v[136:137], 0
	v_add_f64 v[134:135], v[138:139], 0
	;; [unrolled: 1-line block ×8, first 2 shown]
	ds_write_b128 v166, v[132:135] offset:768
	s_waitcnt lgkmcnt(0)
	s_barrier
	s_and_saveexec_b64 s[12:13], s[0:1]
	s_cbranch_execz .LBB60_143
; %bb.147:                              ;   in Loop: Header=BB60_144 Depth=1
	ds_read_b128 v[132:135], v164
	ds_read_b128 v[136:139], v164 offset:16
	ds_read_b128 v[140:143], v164 offset:32
	;; [unrolled: 1-line block ×3, first 2 shown]
	v_add_u32_e32 v154, s3, v159
	s_waitcnt lgkmcnt(2)
	v_add_f64 v[132:133], v[136:137], v[132:133]
	v_add_f64 v[136:137], v[138:139], v[134:135]
	s_waitcnt lgkmcnt(1)
	v_add_f64 v[138:139], v[132:133], v[140:141]
	ds_read_b128 v[132:135], v164 offset:64
	v_add_f64 v[140:141], v[136:137], v[142:143]
	s_waitcnt lgkmcnt(1)
	v_add_f64 v[142:143], v[138:139], v[144:145]
	ds_read_b128 v[136:139], v164 offset:80
	;; [unrolled: 4-line block ×9, first 2 shown]
	v_add_f64 v[134:135], v[144:145], v[134:135]
	s_waitcnt lgkmcnt(1)
	v_add_f64 v[136:137], v[132:133], v[136:137]
	v_add_f64 v[144:145], v[134:135], v[138:139]
	ds_read_b128 v[132:135], v164 offset:208
	s_waitcnt lgkmcnt(1)
	v_add_f64 v[146:147], v[136:137], v[140:141]
	ds_read_b128 v[136:139], v164 offset:224
	v_add_f64 v[144:145], v[144:145], v[142:143]
	ds_read_b128 v[140:143], v165
	s_waitcnt lgkmcnt(2)
	v_add_f64 v[132:133], v[146:147], v[132:133]
	v_add_f64 v[134:135], v[144:145], v[134:135]
	s_waitcnt lgkmcnt(1)
	v_add_f64 v[132:133], v[132:133], v[136:137]
	v_add_f64 v[134:135], v[134:135], v[138:139]
	;; [unrolled: 3-line block ×3, first 2 shown]
	v_lshl_add_u64 v[136:137], v[154:155], 4, s[6:7]
	global_store_dwordx4 v[136:137], v[132:135], off
	s_branch .LBB60_143
.LBB60_148:
	s_movk_i32 s0, 0x430
	v_mad_u32_u24 v4, v158, s0, v150
	s_nor_b64 s[0:1], s[4:5], vcc
	ds_write_b128 v4, v[0:3]
	s_waitcnt lgkmcnt(0)
	s_barrier
	s_and_saveexec_b64 s[2:3], s[0:1]
	s_cbranch_execz .LBB60_150
; %bb.149:
	ds_read_b128 v[0:3], v150 offset:1072
	ds_read_b128 v[4:7], v150
	ds_read_b128 v[8:11], v150 offset:2144
	ds_read_b128 v[12:15], v150 offset:3216
	s_waitcnt lgkmcnt(2)
	v_add_f64 v[0:1], v[0:1], v[4:5]
	v_add_f64 v[2:3], v[2:3], v[6:7]
	s_waitcnt lgkmcnt(1)
	v_add_f64 v[0:1], v[0:1], v[8:9]
	v_add_f64 v[2:3], v[2:3], v[10:11]
	;; [unrolled: 3-line block ×3, first 2 shown]
	v_lshl_add_u64 v[4:5], v[148:149], 4, s[6:7]
	global_store_dwordx4 v[4:5], v[0:3], off
.LBB60_150:
	s_endpgm
	.section	.rodata,"a",@progbits
	.p2align	6, 0x0
	.amdhsa_kernel _ZL26rocblas_hemvn_kernel_lowerILb1ELi64ELi4ELi33ELi32ELi16El19rocblas_complex_numIdEPKPKS1_PS1_EviT6_lT7_lT5_lS8_lS9_lS7_lT8_i
		.amdhsa_group_segment_fixed_size 19200
		.amdhsa_private_segment_fixed_size 0
		.amdhsa_kernarg_size 392
		.amdhsa_user_sgpr_count 2
		.amdhsa_user_sgpr_dispatch_ptr 0
		.amdhsa_user_sgpr_queue_ptr 0
		.amdhsa_user_sgpr_kernarg_segment_ptr 1
		.amdhsa_user_sgpr_dispatch_id 0
		.amdhsa_user_sgpr_kernarg_preload_length 0
		.amdhsa_user_sgpr_kernarg_preload_offset 0
		.amdhsa_user_sgpr_private_segment_size 0
		.amdhsa_uses_dynamic_stack 0
		.amdhsa_enable_private_segment 0
		.amdhsa_system_sgpr_workgroup_id_x 1
		.amdhsa_system_sgpr_workgroup_id_y 0
		.amdhsa_system_sgpr_workgroup_id_z 1
		.amdhsa_system_sgpr_workgroup_info 0
		.amdhsa_system_vgpr_workitem_id 1
		.amdhsa_next_free_vgpr 188
		.amdhsa_next_free_sgpr 42
		.amdhsa_accum_offset 188
		.amdhsa_reserve_vcc 1
		.amdhsa_float_round_mode_32 0
		.amdhsa_float_round_mode_16_64 0
		.amdhsa_float_denorm_mode_32 3
		.amdhsa_float_denorm_mode_16_64 3
		.amdhsa_dx10_clamp 1
		.amdhsa_ieee_mode 1
		.amdhsa_fp16_overflow 0
		.amdhsa_tg_split 0
		.amdhsa_exception_fp_ieee_invalid_op 0
		.amdhsa_exception_fp_denorm_src 0
		.amdhsa_exception_fp_ieee_div_zero 0
		.amdhsa_exception_fp_ieee_overflow 0
		.amdhsa_exception_fp_ieee_underflow 0
		.amdhsa_exception_fp_ieee_inexact 0
		.amdhsa_exception_int_div_zero 0
	.end_amdhsa_kernel
	.section	.text._ZL26rocblas_hemvn_kernel_lowerILb1ELi64ELi4ELi33ELi32ELi16El19rocblas_complex_numIdEPKPKS1_PS1_EviT6_lT7_lT5_lS8_lS9_lS7_lT8_i,"axG",@progbits,_ZL26rocblas_hemvn_kernel_lowerILb1ELi64ELi4ELi33ELi32ELi16El19rocblas_complex_numIdEPKPKS1_PS1_EviT6_lT7_lT5_lS8_lS9_lS7_lT8_i,comdat
.Lfunc_end60:
	.size	_ZL26rocblas_hemvn_kernel_lowerILb1ELi64ELi4ELi33ELi32ELi16El19rocblas_complex_numIdEPKPKS1_PS1_EviT6_lT7_lT5_lS8_lS9_lS7_lT8_i, .Lfunc_end60-_ZL26rocblas_hemvn_kernel_lowerILb1ELi64ELi4ELi33ELi32ELi16El19rocblas_complex_numIdEPKPKS1_PS1_EviT6_lT7_lT5_lS8_lS9_lS7_lT8_i
                                        ; -- End function
	.set _ZL26rocblas_hemvn_kernel_lowerILb1ELi64ELi4ELi33ELi32ELi16El19rocblas_complex_numIdEPKPKS1_PS1_EviT6_lT7_lT5_lS8_lS9_lS7_lT8_i.num_vgpr, 188
	.set _ZL26rocblas_hemvn_kernel_lowerILb1ELi64ELi4ELi33ELi32ELi16El19rocblas_complex_numIdEPKPKS1_PS1_EviT6_lT7_lT5_lS8_lS9_lS7_lT8_i.num_agpr, 0
	.set _ZL26rocblas_hemvn_kernel_lowerILb1ELi64ELi4ELi33ELi32ELi16El19rocblas_complex_numIdEPKPKS1_PS1_EviT6_lT7_lT5_lS8_lS9_lS7_lT8_i.numbered_sgpr, 42
	.set _ZL26rocblas_hemvn_kernel_lowerILb1ELi64ELi4ELi33ELi32ELi16El19rocblas_complex_numIdEPKPKS1_PS1_EviT6_lT7_lT5_lS8_lS9_lS7_lT8_i.num_named_barrier, 0
	.set _ZL26rocblas_hemvn_kernel_lowerILb1ELi64ELi4ELi33ELi32ELi16El19rocblas_complex_numIdEPKPKS1_PS1_EviT6_lT7_lT5_lS8_lS9_lS7_lT8_i.private_seg_size, 0
	.set _ZL26rocblas_hemvn_kernel_lowerILb1ELi64ELi4ELi33ELi32ELi16El19rocblas_complex_numIdEPKPKS1_PS1_EviT6_lT7_lT5_lS8_lS9_lS7_lT8_i.uses_vcc, 1
	.set _ZL26rocblas_hemvn_kernel_lowerILb1ELi64ELi4ELi33ELi32ELi16El19rocblas_complex_numIdEPKPKS1_PS1_EviT6_lT7_lT5_lS8_lS9_lS7_lT8_i.uses_flat_scratch, 0
	.set _ZL26rocblas_hemvn_kernel_lowerILb1ELi64ELi4ELi33ELi32ELi16El19rocblas_complex_numIdEPKPKS1_PS1_EviT6_lT7_lT5_lS8_lS9_lS7_lT8_i.has_dyn_sized_stack, 0
	.set _ZL26rocblas_hemvn_kernel_lowerILb1ELi64ELi4ELi33ELi32ELi16El19rocblas_complex_numIdEPKPKS1_PS1_EviT6_lT7_lT5_lS8_lS9_lS7_lT8_i.has_recursion, 0
	.set _ZL26rocblas_hemvn_kernel_lowerILb1ELi64ELi4ELi33ELi32ELi16El19rocblas_complex_numIdEPKPKS1_PS1_EviT6_lT7_lT5_lS8_lS9_lS7_lT8_i.has_indirect_call, 0
	.section	.AMDGPU.csdata,"",@progbits
; Kernel info:
; codeLenInByte = 9700
; TotalNumSgprs: 48
; NumVgprs: 188
; NumAgprs: 0
; TotalNumVgprs: 188
; ScratchSize: 0
; MemoryBound: 0
; FloatMode: 240
; IeeeMode: 1
; LDSByteSize: 19200 bytes/workgroup (compile time only)
; SGPRBlocks: 5
; VGPRBlocks: 23
; NumSGPRsForWavesPerEU: 48
; NumVGPRsForWavesPerEU: 188
; AccumOffset: 188
; Occupancy: 2
; WaveLimiterHint : 0
; COMPUTE_PGM_RSRC2:SCRATCH_EN: 0
; COMPUTE_PGM_RSRC2:USER_SGPR: 2
; COMPUTE_PGM_RSRC2:TRAP_HANDLER: 0
; COMPUTE_PGM_RSRC2:TGID_X_EN: 1
; COMPUTE_PGM_RSRC2:TGID_Y_EN: 0
; COMPUTE_PGM_RSRC2:TGID_Z_EN: 1
; COMPUTE_PGM_RSRC2:TIDIG_COMP_CNT: 1
; COMPUTE_PGM_RSRC3_GFX90A:ACCUM_OFFSET: 46
; COMPUTE_PGM_RSRC3_GFX90A:TG_SPLIT: 0
	.section	.text._ZL36rocblas_hemvn_kernel_lower_block_sumILi64El19rocblas_complex_numIdEPKPS1_S1_EviT1_lS5_lT2_lT0_lPT3_i,"axG",@progbits,_ZL36rocblas_hemvn_kernel_lower_block_sumILi64El19rocblas_complex_numIdEPKPS1_S1_EviT1_lS5_lT2_lT0_lPT3_i,comdat
	.globl	_ZL36rocblas_hemvn_kernel_lower_block_sumILi64El19rocblas_complex_numIdEPKPS1_S1_EviT1_lS5_lT2_lT0_lPT3_i ; -- Begin function _ZL36rocblas_hemvn_kernel_lower_block_sumILi64El19rocblas_complex_numIdEPKPS1_S1_EviT1_lS5_lT2_lT0_lPT3_i
	.p2align	8
	.type	_ZL36rocblas_hemvn_kernel_lower_block_sumILi64El19rocblas_complex_numIdEPKPS1_S1_EviT1_lS5_lT2_lT0_lPT3_i,@function
_ZL36rocblas_hemvn_kernel_lower_block_sumILi64El19rocblas_complex_numIdEPKPS1_S1_EviT1_lS5_lT2_lT0_lPT3_i: ; @_ZL36rocblas_hemvn_kernel_lower_block_sumILi64El19rocblas_complex_numIdEPKPS1_S1_EviT1_lS5_lT2_lT0_lPT3_i
; %bb.0:
	s_load_dwordx4 s[12:15], s[0:1], 0x8
	s_load_dwordx4 s[8:11], s[0:1], 0x20
	s_mov_b32 s20, s3
	s_waitcnt lgkmcnt(0)
	v_cmp_neq_f64_e64 s[4:5], s[12:13], 0
	v_cmp_neq_f64_e64 s[6:7], s[14:15], 0
	s_or_b64 s[4:5], s[4:5], s[6:7]
	s_mov_b64 s[6:7], -1
	s_and_b64 vcc, exec, s[4:5]
	s_cbranch_vccnz .LBB61_2
; %bb.1:
	v_cmp_neq_f64_e64 s[6:7], s[8:9], 1.0
	v_cmp_neq_f64_e64 s[16:17], s[10:11], 0
	s_or_b64 s[6:7], s[6:7], s[16:17]
.LBB61_2:
	s_andn2_b64 vcc, exec, s[6:7]
	s_cbranch_vccnz .LBB61_22
; %bb.3:
	s_xor_b64 s[18:19], s[4:5], -1
	s_load_dwordx2 s[16:17], s[0:1], 0x38
	s_load_dword s22, s[0:1], 0x0
	s_load_dwordx4 s[4:7], s[0:1], 0x40
	s_mov_b32 s21, 0
	s_lshl_b64 s[24:25], s[20:21], 3
	s_waitcnt lgkmcnt(0)
	s_add_u32 s16, s16, s24
	s_addc_u32 s17, s17, s25
	s_load_dwordx2 s[16:17], s[16:17], 0x0
	s_lshl_b64 s[4:5], s[4:5], 4
	v_lshl_or_b32 v6, s2, 6, v0
	s_waitcnt lgkmcnt(0)
	s_add_u32 s16, s16, s4
	s_addc_u32 s17, s17, s5
	s_andn2_b64 vcc, exec, s[18:19]
	v_cmp_gt_i32_e64 s[4:5], s22, v6
	s_cbranch_vccnz .LBB61_8
; %bb.4:
	s_mov_b64 s[24:25], 0
	s_mov_b64 s[18:19], 0
                                        ; implicit-def: $vgpr2_vgpr3
                                        ; implicit-def: $vgpr4_vgpr5
	s_and_saveexec_b64 s[26:27], s[4:5]
	s_cbranch_execz .LBB61_9
; %bb.5:
	v_cmp_neq_f64_e64 s[4:5], s[8:9], 0
	v_cmp_neq_f64_e64 s[18:19], s[10:11], 0
	v_ashrrev_i32_e32 v0, 31, v6
	v_mul_lo_u32 v1, s7, v6
	v_mul_lo_u32 v0, s6, v0
	v_mad_u64_u32 v[4:5], s[28:29], s6, v6, 0
	s_or_b64 s[4:5], s[4:5], s[18:19]
	v_mov_b64_e32 v[2:3], 0
	v_add3_u32 v5, v5, v0, v1
	s_andn2_b64 vcc, exec, s[4:5]
	v_mov_b64_e32 v[0:1], 0
	s_cbranch_vccnz .LBB61_7
; %bb.6:
	v_lshl_add_u64 v[0:1], v[4:5], 4, s[16:17]
	flat_load_dwordx4 v[8:11], v[0:1]
	s_waitcnt vmcnt(0) lgkmcnt(0)
	v_mul_f64 v[0:1], s[10:11], v[10:11]
	v_mul_f64 v[2:3], s[8:9], v[10:11]
	v_fma_f64 v[0:1], s[8:9], v[8:9], -v[0:1]
	v_fmac_f64_e32 v[2:3], s[10:11], v[8:9]
.LBB61_7:
	s_mov_b64 s[18:19], exec
	s_or_b64 exec, exec, s[26:27]
	s_and_b64 vcc, exec, s[24:25]
	s_cbranch_vccnz .LBB61_10
	s_branch .LBB61_20
.LBB61_8:
	s_mov_b64 s[18:19], 0
                                        ; implicit-def: $vgpr2_vgpr3
                                        ; implicit-def: $vgpr4_vgpr5
	s_cbranch_execnz .LBB61_10
	s_branch .LBB61_20
.LBB61_9:
	s_or_b64 exec, exec, s[26:27]
	s_and_b64 vcc, exec, s[24:25]
	s_cbranch_vccz .LBB61_20
.LBB61_10:
	v_cmp_gt_i32_e32 vcc, s22, v6
                                        ; implicit-def: $vgpr2_vgpr3
                                        ; implicit-def: $vgpr4_vgpr5
	s_and_saveexec_b64 s[4:5], vcc
	s_cbranch_execz .LBB61_19
; %bb.11:
	s_load_dword s3, s[0:1], 0x68
	v_mov_b64_e32 v[0:1], 0
	v_mov_b64_e32 v[4:5], 0
	s_waitcnt lgkmcnt(0)
	s_cmp_ge_i32 s2, s3
	s_cbranch_scc1 .LBB61_14
; %bb.12:
	s_ashr_i32 s23, s22, 31
	s_mul_i32 s21, s22, s2
	s_load_dwordx2 s[0:1], s[0:1], 0x58
	v_add_u32_e32 v0, s21, v6
	s_mul_hi_u32 s21, s22, s20
	s_mul_i32 s24, s23, s20
	s_add_i32 s21, s21, s24
	s_mul_i32 s20, s22, s20
	s_mul_i32 s21, s21, s3
	s_mul_hi_u32 s24, s20, s3
	s_add_i32 s21, s24, s21
	s_mul_i32 s20, s20, s3
	s_lshl_b64 s[20:21], s[20:21], 4
	s_waitcnt lgkmcnt(0)
	s_add_u32 s0, s0, s20
	v_ashrrev_i32_e32 v1, 31, v0
	s_addc_u32 s1, s1, s21
	v_lshl_add_u64 v[0:1], v[0:1], 4, s[0:1]
	v_lshl_add_u64 v[2:3], v[0:1], 0, 8
	s_lshl_b64 s[0:1], s[22:23], 4
	v_mov_b64_e32 v[0:1], 0
	v_mov_b64_e32 v[4:5], 0
.LBB61_13:                              ; =>This Inner Loop Header: Depth=1
	global_load_dwordx4 v[8:11], v[2:3], off offset:-8
	s_add_i32 s2, s2, 1
	v_lshl_add_u64 v[2:3], v[2:3], 0, s[0:1]
	s_cmp_ge_i32 s2, s3
	s_waitcnt vmcnt(0)
	v_add_f64 v[4:5], v[4:5], v[8:9]
	v_add_f64 v[0:1], v[0:1], v[10:11]
	s_cbranch_scc0 .LBB61_13
.LBB61_14:
	v_cmp_neq_f64_e64 s[2:3], s[8:9], 0
	v_cmp_neq_f64_e64 s[20:21], s[10:11], 0
	s_or_b64 s[2:3], s[2:3], s[20:21]
	v_mul_f64 v[8:9], s[14:15], v[0:1]
	v_mul_f64 v[2:3], s[12:13], v[0:1]
	v_ashrrev_i32_e32 v10, 31, v6
	s_mov_b64 s[0:1], 0
	s_andn2_b64 vcc, exec, s[2:3]
	v_fma_f64 v[0:1], s[12:13], v[4:5], -v[8:9]
	v_fmac_f64_e32 v[2:3], s[14:15], v[4:5]
	v_mul_lo_u32 v7, s7, v6
	v_mul_lo_u32 v8, s6, v10
	s_cbranch_vccz .LBB61_16
; %bb.15:
	v_mad_u64_u32 v[4:5], s[2:3], s6, v6, 0
	v_add3_u32 v5, v5, v8, v7
	s_andn2_b64 vcc, exec, s[0:1]
	s_cbranch_vccz .LBB61_17
	s_branch .LBB61_18
.LBB61_16:
                                        ; implicit-def: $vgpr4_vgpr5
.LBB61_17:
	v_mad_u64_u32 v[4:5], s[0:1], s6, v6, 0
	v_add3_u32 v5, v5, v8, v7
	v_lshl_add_u64 v[6:7], v[4:5], 4, s[16:17]
	flat_load_dwordx4 v[6:9], v[6:7]
	s_waitcnt vmcnt(0) lgkmcnt(0)
	v_mul_f64 v[10:11], s[10:11], v[8:9]
	v_mul_f64 v[8:9], s[8:9], v[8:9]
	v_fma_f64 v[10:11], s[8:9], v[6:7], -v[10:11]
	v_fmac_f64_e32 v[8:9], s[10:11], v[6:7]
	v_add_f64 v[0:1], v[0:1], v[10:11]
	v_add_f64 v[2:3], v[2:3], v[8:9]
.LBB61_18:
	s_or_b64 s[18:19], s[18:19], exec
.LBB61_19:
	s_or_b64 exec, exec, s[4:5]
.LBB61_20:
	s_and_saveexec_b64 s[0:1], s[18:19]
	s_cbranch_execz .LBB61_22
; %bb.21:
	v_lshl_add_u64 v[4:5], v[4:5], 4, s[16:17]
	flat_store_dwordx4 v[4:5], v[0:3]
.LBB61_22:
	s_endpgm
	.section	.rodata,"a",@progbits
	.p2align	6, 0x0
	.amdhsa_kernel _ZL36rocblas_hemvn_kernel_lower_block_sumILi64El19rocblas_complex_numIdEPKPS1_S1_EviT1_lS5_lT2_lT0_lPT3_i
		.amdhsa_group_segment_fixed_size 0
		.amdhsa_private_segment_fixed_size 0
		.amdhsa_kernarg_size 360
		.amdhsa_user_sgpr_count 2
		.amdhsa_user_sgpr_dispatch_ptr 0
		.amdhsa_user_sgpr_queue_ptr 0
		.amdhsa_user_sgpr_kernarg_segment_ptr 1
		.amdhsa_user_sgpr_dispatch_id 0
		.amdhsa_user_sgpr_kernarg_preload_length 0
		.amdhsa_user_sgpr_kernarg_preload_offset 0
		.amdhsa_user_sgpr_private_segment_size 0
		.amdhsa_uses_dynamic_stack 0
		.amdhsa_enable_private_segment 0
		.amdhsa_system_sgpr_workgroup_id_x 1
		.amdhsa_system_sgpr_workgroup_id_y 0
		.amdhsa_system_sgpr_workgroup_id_z 1
		.amdhsa_system_sgpr_workgroup_info 0
		.amdhsa_system_vgpr_workitem_id 0
		.amdhsa_next_free_vgpr 12
		.amdhsa_next_free_sgpr 30
		.amdhsa_accum_offset 12
		.amdhsa_reserve_vcc 1
		.amdhsa_float_round_mode_32 0
		.amdhsa_float_round_mode_16_64 0
		.amdhsa_float_denorm_mode_32 3
		.amdhsa_float_denorm_mode_16_64 3
		.amdhsa_dx10_clamp 1
		.amdhsa_ieee_mode 1
		.amdhsa_fp16_overflow 0
		.amdhsa_tg_split 0
		.amdhsa_exception_fp_ieee_invalid_op 0
		.amdhsa_exception_fp_denorm_src 0
		.amdhsa_exception_fp_ieee_div_zero 0
		.amdhsa_exception_fp_ieee_overflow 0
		.amdhsa_exception_fp_ieee_underflow 0
		.amdhsa_exception_fp_ieee_inexact 0
		.amdhsa_exception_int_div_zero 0
	.end_amdhsa_kernel
	.section	.text._ZL36rocblas_hemvn_kernel_lower_block_sumILi64El19rocblas_complex_numIdEPKPS1_S1_EviT1_lS5_lT2_lT0_lPT3_i,"axG",@progbits,_ZL36rocblas_hemvn_kernel_lower_block_sumILi64El19rocblas_complex_numIdEPKPS1_S1_EviT1_lS5_lT2_lT0_lPT3_i,comdat
.Lfunc_end61:
	.size	_ZL36rocblas_hemvn_kernel_lower_block_sumILi64El19rocblas_complex_numIdEPKPS1_S1_EviT1_lS5_lT2_lT0_lPT3_i, .Lfunc_end61-_ZL36rocblas_hemvn_kernel_lower_block_sumILi64El19rocblas_complex_numIdEPKPS1_S1_EviT1_lS5_lT2_lT0_lPT3_i
                                        ; -- End function
	.set _ZL36rocblas_hemvn_kernel_lower_block_sumILi64El19rocblas_complex_numIdEPKPS1_S1_EviT1_lS5_lT2_lT0_lPT3_i.num_vgpr, 12
	.set _ZL36rocblas_hemvn_kernel_lower_block_sumILi64El19rocblas_complex_numIdEPKPS1_S1_EviT1_lS5_lT2_lT0_lPT3_i.num_agpr, 0
	.set _ZL36rocblas_hemvn_kernel_lower_block_sumILi64El19rocblas_complex_numIdEPKPS1_S1_EviT1_lS5_lT2_lT0_lPT3_i.numbered_sgpr, 30
	.set _ZL36rocblas_hemvn_kernel_lower_block_sumILi64El19rocblas_complex_numIdEPKPS1_S1_EviT1_lS5_lT2_lT0_lPT3_i.num_named_barrier, 0
	.set _ZL36rocblas_hemvn_kernel_lower_block_sumILi64El19rocblas_complex_numIdEPKPS1_S1_EviT1_lS5_lT2_lT0_lPT3_i.private_seg_size, 0
	.set _ZL36rocblas_hemvn_kernel_lower_block_sumILi64El19rocblas_complex_numIdEPKPS1_S1_EviT1_lS5_lT2_lT0_lPT3_i.uses_vcc, 1
	.set _ZL36rocblas_hemvn_kernel_lower_block_sumILi64El19rocblas_complex_numIdEPKPS1_S1_EviT1_lS5_lT2_lT0_lPT3_i.uses_flat_scratch, 0
	.set _ZL36rocblas_hemvn_kernel_lower_block_sumILi64El19rocblas_complex_numIdEPKPS1_S1_EviT1_lS5_lT2_lT0_lPT3_i.has_dyn_sized_stack, 0
	.set _ZL36rocblas_hemvn_kernel_lower_block_sumILi64El19rocblas_complex_numIdEPKPS1_S1_EviT1_lS5_lT2_lT0_lPT3_i.has_recursion, 0
	.set _ZL36rocblas_hemvn_kernel_lower_block_sumILi64El19rocblas_complex_numIdEPKPS1_S1_EviT1_lS5_lT2_lT0_lPT3_i.has_indirect_call, 0
	.section	.AMDGPU.csdata,"",@progbits
; Kernel info:
; codeLenInByte = 772
; TotalNumSgprs: 36
; NumVgprs: 12
; NumAgprs: 0
; TotalNumVgprs: 12
; ScratchSize: 0
; MemoryBound: 0
; FloatMode: 240
; IeeeMode: 1
; LDSByteSize: 0 bytes/workgroup (compile time only)
; SGPRBlocks: 4
; VGPRBlocks: 1
; NumSGPRsForWavesPerEU: 36
; NumVGPRsForWavesPerEU: 12
; AccumOffset: 12
; Occupancy: 8
; WaveLimiterHint : 1
; COMPUTE_PGM_RSRC2:SCRATCH_EN: 0
; COMPUTE_PGM_RSRC2:USER_SGPR: 2
; COMPUTE_PGM_RSRC2:TRAP_HANDLER: 0
; COMPUTE_PGM_RSRC2:TGID_X_EN: 1
; COMPUTE_PGM_RSRC2:TGID_Y_EN: 0
; COMPUTE_PGM_RSRC2:TGID_Z_EN: 1
; COMPUTE_PGM_RSRC2:TIDIG_COMP_CNT: 0
; COMPUTE_PGM_RSRC3_GFX90A:ACCUM_OFFSET: 2
; COMPUTE_PGM_RSRC3_GFX90A:TG_SPLIT: 0
	.section	.text._ZL26rocblas_hemvn_kernel_lowerILb1ELi64ELi4ELi33ELi32ELi16Ei19rocblas_complex_numIdEPKPKS1_PS1_EviT6_lT7_lT5_lS8_lS9_lS7_lT8_i,"axG",@progbits,_ZL26rocblas_hemvn_kernel_lowerILb1ELi64ELi4ELi33ELi32ELi16Ei19rocblas_complex_numIdEPKPKS1_PS1_EviT6_lT7_lT5_lS8_lS9_lS7_lT8_i,comdat
	.globl	_ZL26rocblas_hemvn_kernel_lowerILb1ELi64ELi4ELi33ELi32ELi16Ei19rocblas_complex_numIdEPKPKS1_PS1_EviT6_lT7_lT5_lS8_lS9_lS7_lT8_i ; -- Begin function _ZL26rocblas_hemvn_kernel_lowerILb1ELi64ELi4ELi33ELi32ELi16Ei19rocblas_complex_numIdEPKPKS1_PS1_EviT6_lT7_lT5_lS8_lS9_lS7_lT8_i
	.p2align	8
	.type	_ZL26rocblas_hemvn_kernel_lowerILb1ELi64ELi4ELi33ELi32ELi16Ei19rocblas_complex_numIdEPKPKS1_PS1_EviT6_lT7_lT5_lS8_lS9_lS7_lT8_i,@function
_ZL26rocblas_hemvn_kernel_lowerILb1ELi64ELi4ELi33ELi32ELi16Ei19rocblas_complex_numIdEPKPKS1_PS1_EviT6_lT7_lT5_lS8_lS9_lS7_lT8_i: ; @_ZL26rocblas_hemvn_kernel_lowerILb1ELi64ELi4ELi33ELi32ELi16Ei19rocblas_complex_numIdEPKPKS1_PS1_EviT6_lT7_lT5_lS8_lS9_lS7_lT8_i
; %bb.0:
	s_load_dwordx2 s[4:5], s[0:1], 0x94
	s_add_u32 s8, s0, 0x88
	s_mov_b32 s22, s3
	s_addc_u32 s9, s1, 0
	s_waitcnt lgkmcnt(0)
	s_and_b32 s3, s5, 0xffff
	s_lshr_b32 s5, s4, 16
	s_and_b32 s4, s4, 0xffff
	s_mul_i32 s4, s5, s4
	s_mul_i32 s4, s4, s3
	s_cmpk_lg_i32 s4, 0x100
	s_cbranch_scc1 .LBB62_150
; %bb.1:
	s_load_dwordx4 s[4:7], s[0:1], 0x8
	s_waitcnt lgkmcnt(0)
	v_cmp_neq_f64_e64 s[4:5], s[4:5], 0
	v_cmp_neq_f64_e64 s[6:7], s[6:7], 0
	s_or_b64 s[6:7], s[4:5], s[6:7]
	s_mov_b64 s[4:5], -1
	s_and_b64 vcc, exec, s[6:7]
	s_cbranch_vccnz .LBB62_3
; %bb.2:
	s_load_dwordx4 s[4:7], s[0:1], 0x60
	s_waitcnt lgkmcnt(0)
	v_cmp_eq_f64_e64 s[4:5], s[4:5], 1.0
	v_cmp_eq_f64_e64 s[6:7], s[6:7], 0
	s_and_b64 s[4:5], s[4:5], s[6:7]
	s_andn2_b64 vcc, exec, s[4:5]
	s_mov_b64 s[4:5], 0
.LBB62_3:
	s_andn2_b64 vcc, exec, s[4:5]
	s_cbranch_vccnz .LBB62_150
; %bb.4:
	s_load_dwordx4 s[4:7], s[0:1], 0x20
	s_load_dwordx4 s[12:15], s[0:1], 0x40
	s_load_dword s3, s[0:1], 0x50
	s_mov_b32 s23, 0
	s_lshl_b64 s[10:11], s[22:23], 3
	s_waitcnt lgkmcnt(0)
	s_add_u32 s4, s4, s10
	s_addc_u32 s5, s5, s11
	s_add_u32 s12, s12, s10
	s_addc_u32 s13, s13, s11
	s_load_dwordx2 s[16:17], s[12:13], 0x0
	s_load_dword s23, s[0:1], 0x0
	s_load_dword s33, s[8:9], 0x0
	s_load_dwordx2 s[10:11], s[4:5], 0x0
	s_lshl_b64 s[4:5], s[14:15], 4
	s_waitcnt lgkmcnt(0)
	s_add_u32 s4, s16, s4
	s_addc_u32 s5, s17, s5
	s_ashr_i32 s40, s23, 31
	s_lshr_b32 s9, s40, 26
	v_and_b32_e32 v150, 0x3ff, v0
	s_lshl_b32 s28, s2, 6
	s_add_i32 s9, s23, s9
	s_andn2_b32 s9, s9, 63
	v_add_u32_e32 v148, s28, v150
	v_bfe_u32 v149, v0, 10, 10
	s_add_i32 s8, s33, -1
	s_sub_i32 s9, s23, s9
	v_mul_lo_u32 v0, s3, v148
	s_cmp_eq_u32 s2, s8
	v_ashrrev_i32_e32 v1, 31, v0
	s_cselect_b32 s24, s9, 0
	v_lshl_add_u64 v[36:37], v[0:1], 4, s[4:5]
	v_cmp_ne_u32_e64 s[4:5], 0, v149
	v_cmp_eq_u32_e64 s[18:19], 0, v149
	s_and_saveexec_b64 s[8:9], s[18:19]
	s_cbranch_execz .LBB62_9
; %bb.5:
	s_cmp_lg_u32 s24, 0
	s_cselect_b64 s[12:13], -1, 0
	v_cmp_le_i32_e32 vcc, s24, v150
	v_mov_b32_e32 v0, 0x4700
	s_and_b64 s[12:13], s[12:13], vcc
	v_lshl_add_u32 v0, v150, 4, v0
	s_and_saveexec_b64 s[14:15], s[12:13]
	s_xor_b64 s[12:13], exec, s[14:15]
; %bb.6:
	v_mov_b32_e32 v2, 0
	v_mov_b32_e32 v3, v2
	;; [unrolled: 1-line block ×4, first 2 shown]
	ds_write_b128 v0, v[2:5]
                                        ; implicit-def: $vgpr0
; %bb.7:
	s_andn2_saveexec_b64 s[12:13], s[12:13]
	s_cbranch_execz .LBB62_9
; %bb.8:
	flat_load_dwordx4 v[2:5], v[36:37]
	s_waitcnt vmcnt(0) lgkmcnt(0)
	ds_write2_b64 v0, v[2:3], v[4:5] offset1:1
.LBB62_9:
	s_or_b64 exec, exec, s[8:9]
	s_load_dword s26, s[0:1], 0x30
	s_lshl_b64 s[6:7], s[6:7], 4
	s_add_u32 s8, s10, s6
	s_addc_u32 s9, s11, s7
	s_ashr_i32 s29, s28, 31
	v_lshl_add_u32 v42, v149, 6, v150
	s_lshl_b64 s[6:7], s[28:29], 4
	v_and_b32_e32 v10, 31, v150
	v_lshrrev_b32_e32 v11, 5, v42
	s_add_u32 s6, s8, s6
	s_waitcnt lgkmcnt(0)
	s_mul_i32 s30, s26, s28
	s_addc_u32 s7, s9, s7
	v_mad_u64_u32 v[38:39], s[8:9], s26, v11, v[10:11]
	s_ashr_i32 s31, s30, 31
	v_ashrrev_i32_e32 v39, 31, v38
	s_cmp_lg_u32 s24, 0
	v_lshl_add_u64 v[0:1], v[38:39], 4, s[6:7]
	s_cselect_b64 s[34:35], -1, 0
	s_cmp_eq_u32 s24, 0
	v_lshl_add_u64 v[4:5], s[30:31], 4, v[0:1]
	s_cselect_b64 s[20:21], -1, 0
	s_mov_b64 s[6:7], -1
	s_and_b64 vcc, exec, s[34:35]
	s_cbranch_vccnz .LBB62_11
; %bb.10:
	flat_load_dwordx4 v[0:3], v[4:5]
	v_mul_u32_u24_e32 v6, 0x210, v11
	s_lshl_b32 s6, s26, 3
	v_lshl_add_u32 v8, v10, 4, v6
	s_ashr_i32 s7, s6, 31
	v_lshl_add_u64 v[6:7], s[6:7], 4, v[4:5]
	s_ashr_i32 s27, s26, 31
	s_lshl_b64 s[6:7], s[26:27], 7
	v_add_u32_e32 v9, 0x1080, v8
	s_waitcnt vmcnt(0) lgkmcnt(0)
	ds_write2_b64 v8, v[0:1], v[2:3] offset1:1
	flat_load_dwordx4 v[0:3], v[6:7]
	v_lshl_add_u64 v[6:7], v[6:7], 0, s[6:7]
	s_waitcnt vmcnt(0) lgkmcnt(0)
	ds_write2_b64 v9, v[0:1], v[2:3] offset1:1
	flat_load_dwordx4 v[0:3], v[6:7]
	v_add_u32_e32 v9, 0x2100, v8
	v_lshl_add_u64 v[6:7], v[6:7], 0, s[6:7]
	s_mov_b64 s[6:7], 0
	s_waitcnt vmcnt(0) lgkmcnt(0)
	ds_write2_b64 v9, v[0:1], v[2:3] offset1:1
	flat_load_dwordx4 v[0:3], v[6:7]
	v_add_u32_e32 v6, 0x3180, v8
	s_waitcnt vmcnt(0) lgkmcnt(0)
	ds_write2_b64 v6, v[0:1], v[2:3] offset1:1
.LBB62_11:
	s_andn2_b64 vcc, exec, s[6:7]
	v_lshlrev_b32_e32 v8, 4, v10
	s_cbranch_vccnz .LBB62_29
; %bb.12:
	v_sub_co_u32_e32 v0, vcc, v4, v8
	s_ashr_i32 s25, s24, 31
	s_nop 0
	v_subbrev_co_u32_e32 v1, vcc, 0, v5, vcc
	v_lshl_add_u64 v[0:1], s[24:25], 4, v[0:1]
	v_lshl_add_u64 v[0:1], v[0:1], 0, -16
	v_cmp_gt_i32_e32 vcc, s24, v10
	s_movk_i32 s8, 0x210
	v_cmp_le_i32_e64 s[6:7], s24, v11
	v_cndmask_b32_e32 v1, v1, v5, vcc
	v_cndmask_b32_e32 v0, v0, v4, vcc
	v_mad_u32_u24 v2, v11, s8, v8
	s_and_saveexec_b64 s[8:9], s[6:7]
	s_xor_b64 s[6:7], exec, s[8:9]
; %bb.13:
	v_mov_b32_e32 v12, 0
	v_mov_b32_e32 v13, v12
	;; [unrolled: 1-line block ×4, first 2 shown]
	ds_write_b128 v2, v[12:15]
                                        ; implicit-def: $vgpr2
; %bb.14:
	s_andn2_saveexec_b64 s[6:7], s[6:7]
	s_cbranch_execz .LBB62_16
; %bb.15:
	flat_load_dwordx4 v[12:15], v[0:1]
	s_waitcnt vmcnt(0) lgkmcnt(0)
	ds_write2_b64 v2, v[12:13], v[14:15] offset1:1
.LBB62_16:
	s_or_b64 exec, exec, s[6:7]
	v_add_u32_e32 v3, 8, v11
	v_mul_u32_u24_e32 v2, 0x210, v11
	v_cmp_le_i32_e64 s[6:7], s24, v3
	s_and_saveexec_b64 s[8:9], s[6:7]
	s_xor_b64 s[6:7], exec, s[8:9]
	s_cbranch_execz .LBB62_18
; %bb.17:
	v_mov_b32_e32 v12, 0
	v_add_u32_e32 v3, v2, v8
	v_mov_b32_e32 v13, v12
	v_mov_b32_e32 v14, v12
	;; [unrolled: 1-line block ×3, first 2 shown]
	ds_write_b128 v3, v[12:15] offset:4224
.LBB62_18:
	s_andn2_saveexec_b64 s[6:7], s[6:7]
	s_cbranch_execz .LBB62_20
; %bb.19:
	s_lshl_b32 s8, s26, 3
	s_ashr_i32 s9, s8, 31
	v_lshl_add_u64 v[6:7], s[8:9], 4, v[0:1]
	flat_load_dwordx4 v[12:15], v[6:7]
	s_movk_i32 s8, 0x1080
	v_add3_u32 v3, v2, v8, s8
	s_waitcnt vmcnt(0) lgkmcnt(0)
	ds_write2_b64 v3, v[12:13], v[14:15] offset1:1
.LBB62_20:
	s_or_b64 exec, exec, s[6:7]
	v_add_u32_e32 v3, 16, v11
	v_cmp_le_i32_e64 s[6:7], s24, v3
	s_and_saveexec_b64 s[8:9], s[6:7]
	s_xor_b64 s[6:7], exec, s[8:9]
	s_cbranch_execz .LBB62_22
; %bb.21:
	v_mov_b32_e32 v12, 0
	v_add_u32_e32 v3, v2, v8
	v_mov_b32_e32 v13, v12
	v_mov_b32_e32 v14, v12
	;; [unrolled: 1-line block ×3, first 2 shown]
	ds_write_b128 v3, v[12:15] offset:8448
.LBB62_22:
	s_andn2_saveexec_b64 s[6:7], s[6:7]
	s_cbranch_execz .LBB62_24
; %bb.23:
	s_lshl_b32 s8, s26, 4
	s_ashr_i32 s9, s8, 31
	v_lshl_add_u64 v[6:7], s[8:9], 4, v[0:1]
	flat_load_dwordx4 v[12:15], v[6:7]
	s_movk_i32 s8, 0x2100
	v_add3_u32 v3, v2, v8, s8
	s_waitcnt vmcnt(0) lgkmcnt(0)
	ds_write2_b64 v3, v[12:13], v[14:15] offset1:1
.LBB62_24:
	s_or_b64 exec, exec, s[6:7]
	v_add_u32_e32 v3, 24, v11
	v_cmp_le_i32_e64 s[6:7], s24, v3
	s_and_saveexec_b64 s[8:9], s[6:7]
	s_xor_b64 s[6:7], exec, s[8:9]
	s_cbranch_execz .LBB62_26
; %bb.25:
	v_mov_b32_e32 v12, 0
	v_add_u32_e32 v2, v2, v8
	v_mov_b32_e32 v13, v12
	v_mov_b32_e32 v14, v12
	;; [unrolled: 1-line block ×3, first 2 shown]
	ds_write_b128 v2, v[12:15] offset:12672
                                        ; implicit-def: $vgpr2
.LBB62_26:
	s_andn2_saveexec_b64 s[6:7], s[6:7]
	s_cbranch_execz .LBB62_28
; %bb.27:
	s_mul_i32 s8, s26, 24
	s_ashr_i32 s9, s8, 31
	v_lshl_add_u64 v[6:7], s[8:9], 4, v[0:1]
	flat_load_dwordx4 v[12:15], v[6:7]
	s_movk_i32 s8, 0x3180
	v_add3_u32 v2, v2, v8, s8
	s_waitcnt vmcnt(0) lgkmcnt(0)
	ds_write2_b64 v2, v[12:13], v[14:15] offset1:1
.LBB62_28:
	s_or_b64 exec, exec, s[6:7]
	v_mov_b32_e32 v9, 0
	v_lshl_add_u64 v[0:1], v[0:1], 0, v[8:9]
	s_lshl_b64 s[6:7], s[24:25], 4
	v_mov_b32_e32 v2, s7
	v_subrev_co_u32_e64 v0, s[6:7], s6, v0
	s_nop 1
	v_subb_co_u32_e64 v1, s[6:7], v1, v2, s[6:7]
	v_lshl_add_u64 v[0:1], v[0:1], 0, 16
	v_cndmask_b32_e32 v5, v1, v5, vcc
	v_cndmask_b32_e32 v4, v0, v4, vcc
.LBB62_29:
	v_lshlrev_b32_e32 v14, 2, v11
	v_mul_u32_u24_e32 v15, 0x210, v10
	v_cmp_ge_u32_e64 s[8:9], v14, v10
	s_mov_b64 s[6:7], 0
	s_waitcnt lgkmcnt(0)
	s_barrier
                                        ; implicit-def: $vgpr7
	s_and_saveexec_b64 s[10:11], s[8:9]
	s_xor_b64 s[10:11], exec, s[10:11]
	s_cbranch_execz .LBB62_33
; %bb.30:
	v_cmp_eq_u32_e32 vcc, v14, v10
                                        ; implicit-def: $vgpr7
	s_and_saveexec_b64 s[12:13], vcc
	s_xor_b64 s[12:13], exec, s[12:13]
; %bb.31:
	s_mov_b64 s[6:7], exec
	v_add_u32_e32 v7, v8, v15
; %bb.32:
	s_or_b64 exec, exec, s[12:13]
	s_and_b64 s[6:7], s[6:7], exec
.LBB62_33:
	s_or_saveexec_b64 s[10:11], s[10:11]
	v_lshl_or_b32 v6, v10, 9, v8
	v_mov_b64_e32 v[2:3], 0
	s_xor_b64 exec, exec, s[10:11]
	s_cbranch_execz .LBB62_35
; %bb.34:
	s_movk_i32 s12, 0x840
	v_mad_u32_u24 v0, v11, s12, v8
	ds_read_b128 v[0:3], v0
	v_lshl_add_u32 v7, v14, 4, v6
	s_or_b64 s[6:7], s[6:7], exec
	s_waitcnt lgkmcnt(0)
	v_xor_b32_e32 v3, 0x80000000, v3
	ds_write_b64 v7, v[0:1]
.LBB62_35:
	s_or_b64 exec, exec, s[10:11]
	s_and_saveexec_b64 s[10:11], s[6:7]
; %bb.36:
	ds_write_b64 v7, v[2:3] offset:8
; %bb.37:
	s_or_b64 exec, exec, s[10:11]
	v_or_b32_e32 v16, 1, v14
	v_cmp_ge_u32_e64 s[10:11], v16, v10
	s_mov_b64 s[6:7], 0
                                        ; implicit-def: $vgpr7
	s_and_saveexec_b64 s[12:13], s[10:11]
	s_xor_b64 s[12:13], exec, s[12:13]
	s_cbranch_execnz .LBB62_99
; %bb.38:
	s_or_saveexec_b64 s[12:13], s[12:13]
	v_mov_b64_e32 v[2:3], 0
	s_xor_b64 exec, exec, s[12:13]
	s_cbranch_execnz .LBB62_102
.LBB62_39:
	s_or_b64 exec, exec, s[12:13]
	s_and_saveexec_b64 s[12:13], s[6:7]
.LBB62_40:
	ds_write_b64 v7, v[2:3] offset:8
.LBB62_41:
	s_or_b64 exec, exec, s[12:13]
	v_or_b32_e32 v17, 2, v14
	v_cmp_ge_u32_e64 s[12:13], v17, v10
	s_mov_b64 s[6:7], 0
                                        ; implicit-def: $vgpr7
	s_and_saveexec_b64 s[14:15], s[12:13]
	s_xor_b64 s[14:15], exec, s[14:15]
	s_cbranch_execnz .LBB62_103
; %bb.42:
	s_or_saveexec_b64 s[14:15], s[14:15]
	v_mov_b64_e32 v[2:3], 0
	s_xor_b64 exec, exec, s[14:15]
	s_cbranch_execnz .LBB62_106
.LBB62_43:
	s_or_b64 exec, exec, s[14:15]
	s_and_saveexec_b64 s[14:15], s[6:7]
.LBB62_44:
	ds_write_b64 v7, v[2:3] offset:8
.LBB62_45:
	s_or_b64 exec, exec, s[14:15]
	v_or_b32_e32 v18, 3, v14
	v_cmp_ge_u32_e64 s[14:15], v18, v10
	s_mov_b64 s[6:7], 0
                                        ; implicit-def: $vgpr7
	s_and_saveexec_b64 s[16:17], s[14:15]
	s_xor_b64 s[16:17], exec, s[16:17]
	s_cbranch_execnz .LBB62_107
; %bb.46:
	s_or_saveexec_b64 s[16:17], s[16:17]
	v_mov_b64_e32 v[2:3], 0
	s_xor_b64 exec, exec, s[16:17]
	s_cbranch_execnz .LBB62_110
.LBB62_47:
	s_or_b64 exec, exec, s[16:17]
	s_and_saveexec_b64 s[16:17], s[6:7]
.LBB62_48:
	ds_write_b64 v7, v[2:3] offset:8
.LBB62_49:
	s_or_b64 exec, exec, s[16:17]
	s_movk_i32 s6, 0x840
	v_lshlrev_b32_e32 v6, 4, v14
	s_waitcnt lgkmcnt(0)
	s_barrier
	v_mad_u32_u24 v7, v11, s6, v8
	ds_read_b128 v[0:3], v6 offset:18176
	ds_read_b128 v[20:23], v7
	ds_read_b128 v[24:27], v6 offset:18192
	ds_read_b128 v[28:31], v6 offset:18208
	s_movk_i32 s6, 0x210
	v_mad_u32_u24 v7, v16, s6, v8
	s_waitcnt lgkmcnt(2)
	v_mul_f64 v[12:13], v[2:3], v[22:23]
	v_mul_f64 v[40:41], v[0:1], v[22:23]
	v_fma_f64 v[12:13], v[0:1], v[20:21], -v[12:13]
	v_fmac_f64_e32 v[40:41], v[2:3], v[20:21]
	ds_read_b128 v[20:23], v6 offset:18224
	ds_read_b128 v[32:35], v7
	v_add_f64 v[2:3], v[12:13], 0
	v_add_f64 v[12:13], v[40:41], 0
	ds_read_b128 v[44:47], v7 offset:528
	v_mov_b64_e32 v[0:1], 0
	s_waitcnt lgkmcnt(1)
	v_mul_f64 v[40:41], v[26:27], v[34:35]
	v_fma_f64 v[40:41], v[24:25], v[32:33], -v[40:41]
	v_mul_f64 v[24:25], v[24:25], v[34:35]
	v_fmac_f64_e32 v[24:25], v[26:27], v[32:33]
	v_add_f64 v[12:13], v[12:13], v[24:25]
	ds_read_b128 v[24:27], v7 offset:1056
	s_waitcnt lgkmcnt(1)
	v_mul_f64 v[32:33], v[30:31], v[46:47]
	v_fma_f64 v[32:33], v[28:29], v[44:45], -v[32:33]
	v_mul_f64 v[28:29], v[28:29], v[46:47]
	v_fmac_f64_e32 v[28:29], v[30:31], v[44:45]
	v_add_f64 v[2:3], v[2:3], v[40:41]
	v_add_f64 v[12:13], v[12:13], v[28:29]
	s_waitcnt lgkmcnt(0)
	v_mul_f64 v[28:29], v[22:23], v[26:27]
	v_add_f64 v[2:3], v[2:3], v[32:33]
	v_fma_f64 v[28:29], v[20:21], v[24:25], -v[28:29]
	v_mul_f64 v[26:27], v[20:21], v[26:27]
	v_add_f64 v[20:21], v[2:3], v[28:29]
	v_mul_u32_u24_e32 v2, 33, v10
	v_fmac_f64_e32 v[26:27], v[22:23], v[24:25]
	v_lshlrev_b32_e32 v43, 4, v2
	v_add_f64 v[22:23], v[12:13], v[26:27]
	v_lshl_add_u32 v44, v11, 4, v43
	v_cmp_gt_u32_e64 s[6:7], 32, v42
	v_mov_b64_e32 v[2:3], 0
	s_barrier
	ds_write_b128 v44, v[20:23]
	s_waitcnt lgkmcnt(0)
	s_barrier
	s_and_saveexec_b64 s[16:17], s[6:7]
	s_cbranch_execz .LBB62_51
; %bb.50:
	ds_read_b128 v[0:3], v43
	ds_read_b128 v[20:23], v43 offset:16
	ds_read_b128 v[24:27], v43 offset:32
	;; [unrolled: 1-line block ×3, first 2 shown]
	s_waitcnt lgkmcnt(2)
	v_add_f64 v[0:1], v[20:21], v[0:1]
	v_add_f64 v[12:13], v[22:23], v[2:3]
	s_waitcnt lgkmcnt(1)
	v_add_f64 v[20:21], v[0:1], v[24:25]
	ds_read_b128 v[0:3], v43 offset:64
	v_add_f64 v[12:13], v[12:13], v[26:27]
	s_waitcnt lgkmcnt(1)
	v_add_f64 v[24:25], v[20:21], v[28:29]
	ds_read_b128 v[20:23], v43 offset:80
	;; [unrolled: 4-line block ×3, first 2 shown]
	v_add_f64 v[12:13], v[12:13], v[2:3]
	ds_read_b128 v[0:3], v43 offset:112
	s_waitcnt lgkmcnt(2)
	v_add_f64 v[20:21], v[28:29], v[20:21]
	v_add_f64 v[12:13], v[12:13], v[22:23]
	s_waitcnt lgkmcnt(1)
	v_add_f64 v[20:21], v[20:21], v[24:25]
	v_add_f64 v[12:13], v[12:13], v[26:27]
	;; [unrolled: 3-line block ×3, first 2 shown]
.LBB62_51:
	s_or_b64 exec, exec, s[16:17]
	s_lshl_b32 s36, s26, 5
	s_ashr_i32 s37, s36, 31
	v_lshl_add_u64 v[4:5], s[36:37], 4, v[4:5]
	s_mov_b64 s[16:17], 0x200
	v_cndmask_b32_e64 v7, 0, 1, s[20:21]
	v_lshl_add_u64 v[12:13], v[4:5], 0, s[16:17]
	v_cmp_ne_u32_e64 s[16:17], 1, v7
	s_andn2_b64 vcc, exec, s[20:21]
	s_mov_b64 s[20:21], -1
	s_barrier
	s_cbranch_vccnz .LBB62_53
; %bb.52:
	flat_load_dwordx4 v[20:23], v[12:13]
	s_movk_i32 s21, 0x210
	s_lshl_b32 s20, s26, 3
	v_mad_u32_u24 v7, v11, s21, v8
	s_ashr_i32 s21, s20, 31
	v_lshl_add_u64 v[24:25], s[20:21], 4, v[4:5]
	s_ashr_i32 s27, s26, 31
	s_lshl_b64 s[20:21], s[26:27], 7
	v_add_u32_e32 v9, 0x1080, v7
	s_waitcnt vmcnt(0) lgkmcnt(0)
	ds_write2_b64 v7, v[20:21], v[22:23] offset1:1
	flat_load_dwordx4 v[20:23], v[24:25] offset:512
	v_lshl_add_u64 v[24:25], v[24:25], 0, s[20:21]
	s_waitcnt vmcnt(0) lgkmcnt(0)
	ds_write2_b64 v9, v[20:21], v[22:23] offset1:1
	flat_load_dwordx4 v[20:23], v[24:25] offset:512
	v_add_u32_e32 v9, 0x2100, v7
	v_lshl_add_u64 v[24:25], v[24:25], 0, s[20:21]
	v_add_u32_e32 v7, 0x3180, v7
	s_mov_b64 s[20:21], 0
	s_waitcnt vmcnt(0) lgkmcnt(0)
	ds_write2_b64 v9, v[20:21], v[22:23] offset1:1
	flat_load_dwordx4 v[20:23], v[24:25] offset:512
	s_waitcnt vmcnt(0) lgkmcnt(0)
	ds_write2_b64 v7, v[20:21], v[22:23] offset1:1
.LBB62_53:
	s_andn2_b64 vcc, exec, s[20:21]
	s_cbranch_vccnz .LBB62_71
; %bb.54:
	v_sub_co_u32_e32 v4, vcc, v4, v8
	s_ashr_i32 s25, s24, 31
	s_nop 0
	v_subbrev_co_u32_e32 v5, vcc, 0, v5, vcc
	v_or_b32_e32 v7, 32, v10
	v_lshl_add_u64 v[4:5], s[24:25], 4, v[4:5]
	v_lshl_add_u64 v[4:5], v[4:5], 0, -16
	v_cmp_gt_i32_e32 vcc, s24, v7
	s_sub_i32 s27, s24, 32
	s_movk_i32 s29, 0x210
	v_cndmask_b32_e32 v5, v5, v13, vcc
	v_cndmask_b32_e32 v4, v4, v12, vcc
	v_cmp_le_i32_e64 s[20:21], s27, v11
	v_mad_u32_u24 v7, v11, s29, v8
	s_and_saveexec_b64 s[38:39], s[20:21]
	s_xor_b64 s[20:21], exec, s[38:39]
; %bb.55:
	v_mov_b32_e32 v20, 0
	v_mov_b32_e32 v21, v20
	;; [unrolled: 1-line block ×4, first 2 shown]
	ds_write_b128 v7, v[20:23]
                                        ; implicit-def: $vgpr7
; %bb.56:
	s_andn2_saveexec_b64 s[20:21], s[20:21]
	s_cbranch_execz .LBB62_58
; %bb.57:
	flat_load_dwordx4 v[20:23], v[4:5]
	s_waitcnt vmcnt(0) lgkmcnt(0)
	ds_write2_b64 v7, v[20:21], v[22:23] offset1:1
.LBB62_58:
	s_or_b64 exec, exec, s[20:21]
	v_add_u32_e32 v9, 8, v11
	v_mul_u32_u24_e32 v7, 0x210, v11
	v_cmp_le_i32_e64 s[20:21], s27, v9
	s_and_saveexec_b64 s[38:39], s[20:21]
	s_xor_b64 s[20:21], exec, s[38:39]
	s_cbranch_execz .LBB62_60
; %bb.59:
	v_mov_b32_e32 v20, 0
	v_add_u32_e32 v9, v7, v8
	v_mov_b32_e32 v21, v20
	v_mov_b32_e32 v22, v20
	;; [unrolled: 1-line block ×3, first 2 shown]
	ds_write_b128 v9, v[20:23] offset:4224
.LBB62_60:
	s_andn2_saveexec_b64 s[20:21], s[20:21]
	s_cbranch_execz .LBB62_62
; %bb.61:
	s_lshl_b32 s38, s26, 3
	s_ashr_i32 s39, s38, 31
	v_lshl_add_u64 v[20:21], s[38:39], 4, v[4:5]
	flat_load_dwordx4 v[20:23], v[20:21]
	s_movk_i32 s29, 0x1080
	v_add3_u32 v9, v7, v8, s29
	s_waitcnt vmcnt(0) lgkmcnt(0)
	ds_write2_b64 v9, v[20:21], v[22:23] offset1:1
.LBB62_62:
	s_or_b64 exec, exec, s[20:21]
	v_add_u32_e32 v9, 16, v11
	v_cmp_le_i32_e64 s[20:21], s27, v9
	s_and_saveexec_b64 s[38:39], s[20:21]
	s_xor_b64 s[20:21], exec, s[38:39]
	s_cbranch_execz .LBB62_64
; %bb.63:
	v_mov_b32_e32 v20, 0
	v_add_u32_e32 v9, v7, v8
	v_mov_b32_e32 v21, v20
	v_mov_b32_e32 v22, v20
	;; [unrolled: 1-line block ×3, first 2 shown]
	ds_write_b128 v9, v[20:23] offset:8448
.LBB62_64:
	s_andn2_saveexec_b64 s[20:21], s[20:21]
	s_cbranch_execz .LBB62_66
; %bb.65:
	s_lshl_b32 s38, s26, 4
	s_ashr_i32 s39, s38, 31
	v_lshl_add_u64 v[20:21], s[38:39], 4, v[4:5]
	flat_load_dwordx4 v[20:23], v[20:21]
	s_movk_i32 s29, 0x2100
	v_add3_u32 v9, v7, v8, s29
	s_waitcnt vmcnt(0) lgkmcnt(0)
	ds_write2_b64 v9, v[20:21], v[22:23] offset1:1
.LBB62_66:
	s_or_b64 exec, exec, s[20:21]
	v_add_u32_e32 v9, 24, v11
	v_cmp_le_i32_e64 s[20:21], s27, v9
	s_and_saveexec_b64 s[38:39], s[20:21]
	s_xor_b64 s[20:21], exec, s[38:39]
	s_cbranch_execz .LBB62_68
; %bb.67:
	v_mov_b32_e32 v20, 0
	v_add_u32_e32 v7, v7, v8
	v_mov_b32_e32 v21, v20
	v_mov_b32_e32 v22, v20
	;; [unrolled: 1-line block ×3, first 2 shown]
	ds_write_b128 v7, v[20:23] offset:12672
                                        ; implicit-def: $vgpr7
.LBB62_68:
	s_andn2_saveexec_b64 s[20:21], s[20:21]
	s_cbranch_execz .LBB62_70
; %bb.69:
	s_mul_i32 s38, s26, 24
	s_ashr_i32 s39, s38, 31
	v_lshl_add_u64 v[20:21], s[38:39], 4, v[4:5]
	flat_load_dwordx4 v[20:23], v[20:21]
	s_movk_i32 s27, 0x3180
	v_add3_u32 v7, v7, v8, s27
	s_waitcnt vmcnt(0) lgkmcnt(0)
	ds_write2_b64 v7, v[20:21], v[22:23] offset1:1
.LBB62_70:
	s_or_b64 exec, exec, s[20:21]
	v_mov_b32_e32 v9, 0
	v_lshl_add_u64 v[4:5], v[4:5], 0, v[8:9]
	s_lshl_b64 s[20:21], s[24:25], 4
	v_mov_b32_e32 v7, s21
	v_subrev_co_u32_e64 v4, s[20:21], s20, v4
	s_nop 1
	v_subb_co_u32_e64 v5, s[20:21], v5, v7, s[20:21]
	s_mov_b64 s[20:21], 0x210
	s_nop 0
	v_lshl_add_u64 v[4:5], v[4:5], 0, s[20:21]
	v_cndmask_b32_e32 v13, v5, v13, vcc
	v_cndmask_b32_e32 v12, v4, v12, vcc
.LBB62_71:
	v_mul_u32_u24_e32 v4, 0x840, v11
	v_add_u32_e32 v45, 0x4700, v6
	v_mul_u32_u24_e32 v19, 0x210, v16
	s_mov_b64 s[20:21], 0
	s_waitcnt lgkmcnt(0)
	s_barrier
                                        ; implicit-def: $vgpr20
	s_and_saveexec_b64 s[38:39], s[8:9]
	s_xor_b64 s[8:9], exec, s[38:39]
	s_cbranch_execz .LBB62_75
; %bb.72:
	v_cmp_eq_u32_e32 vcc, v14, v10
                                        ; implicit-def: $vgpr20
	s_and_saveexec_b64 s[38:39], vcc
	s_xor_b64 s[38:39], exec, s[38:39]
; %bb.73:
	s_mov_b64 s[20:21], exec
	v_add_u32_e32 v20, v8, v15
; %bb.74:
	s_or_b64 exec, exec, s[38:39]
	s_and_b64 s[20:21], s[20:21], exec
.LBB62_75:
	s_or_saveexec_b64 s[8:9], s[8:9]
	v_mov_b64_e32 v[6:7], 0
	v_add_u32_e32 v9, v8, v4
	s_xor_b64 exec, exec, s[8:9]
	s_cbranch_execz .LBB62_77
; %bb.76:
	ds_read_b128 v[4:7], v9
	v_lshl_add_u32 v20, v14, 4, v43
	s_or_b64 s[20:21], s[20:21], exec
	s_waitcnt lgkmcnt(0)
	v_xor_b32_e32 v7, 0x80000000, v7
	ds_write_b64 v20, v[4:5]
.LBB62_77:
	s_or_b64 exec, exec, s[8:9]
	s_and_saveexec_b64 s[8:9], s[20:21]
; %bb.78:
	ds_write_b64 v20, v[6:7] offset:8
; %bb.79:
	s_or_b64 exec, exec, s[8:9]
	s_mov_b64 s[8:9], 0
                                        ; implicit-def: $vgpr20
	s_and_saveexec_b64 s[20:21], s[10:11]
	s_xor_b64 s[10:11], exec, s[20:21]
	s_cbranch_execz .LBB62_83
; %bb.80:
	v_cmp_eq_u32_e32 vcc, v16, v10
                                        ; implicit-def: $vgpr20
	s_and_saveexec_b64 s[20:21], vcc
; %bb.81:
	s_mov_b64 s[8:9], exec
	v_add_u32_e32 v20, v8, v15
; %bb.82:
	s_or_b64 exec, exec, s[20:21]
	s_and_b64 s[8:9], s[8:9], exec
.LBB62_83:
	s_or_saveexec_b64 s[10:11], s[10:11]
	v_mov_b64_e32 v[6:7], 0
	v_add_u32_e32 v16, v8, v19
	s_xor_b64 exec, exec, s[10:11]
	s_cbranch_execz .LBB62_85
; %bb.84:
	ds_read_b128 v[4:7], v16
	v_lshl_add_u32 v19, v14, 4, v43
	v_add_u32_e32 v20, 16, v19
	s_or_b64 s[8:9], s[8:9], exec
	s_waitcnt lgkmcnt(0)
	v_xor_b32_e32 v7, 0x80000000, v7
	ds_write_b64 v19, v[4:5] offset:16
.LBB62_85:
	s_or_b64 exec, exec, s[10:11]
	s_and_saveexec_b64 s[10:11], s[8:9]
; %bb.86:
	ds_write_b64 v20, v[6:7] offset:8
; %bb.87:
	s_or_b64 exec, exec, s[10:11]
	s_mov_b64 s[8:9], 0
                                        ; implicit-def: $vgpr19
	s_and_saveexec_b64 s[10:11], s[12:13]
	s_xor_b64 s[10:11], exec, s[10:11]
	s_cbranch_execnz .LBB62_111
; %bb.88:
	s_or_saveexec_b64 s[10:11], s[10:11]
	v_mov_b64_e32 v[6:7], 0
	s_xor_b64 exec, exec, s[10:11]
	s_cbranch_execnz .LBB62_114
.LBB62_89:
	s_or_b64 exec, exec, s[10:11]
	s_and_saveexec_b64 s[10:11], s[8:9]
.LBB62_90:
	ds_write_b64 v19, v[6:7] offset:8
.LBB62_91:
	s_or_b64 exec, exec, s[10:11]
	s_mov_b64 s[8:9], 0
                                        ; implicit-def: $vgpr17
	s_and_saveexec_b64 s[10:11], s[14:15]
	s_xor_b64 s[10:11], exec, s[10:11]
	s_cbranch_execnz .LBB62_115
; %bb.92:
	s_or_saveexec_b64 s[10:11], s[10:11]
	v_mov_b64_e32 v[6:7], 0
	s_xor_b64 exec, exec, s[10:11]
	s_cbranch_execnz .LBB62_118
.LBB62_93:
	s_or_b64 exec, exec, s[10:11]
	s_and_saveexec_b64 s[10:11], s[8:9]
.LBB62_94:
	ds_write_b64 v17, v[6:7] offset:8
.LBB62_95:
	s_or_b64 exec, exec, s[10:11]
	s_waitcnt lgkmcnt(0)
	s_barrier
	ds_read_b128 v[4:7], v9
	ds_read_b128 v[18:21], v45 offset:512
	ds_read_b128 v[22:25], v45 offset:528
	;; [unrolled: 1-line block ×5, first 2 shown]
	ds_read_b128 v[50:53], v16
	s_waitcnt lgkmcnt(5)
	v_mul_f64 v[34:35], v[20:21], v[6:7]
	v_mul_f64 v[6:7], v[18:19], v[6:7]
	v_fmac_f64_e32 v[6:7], v[20:21], v[4:5]
	v_fma_f64 v[34:35], v[18:19], v[4:5], -v[34:35]
	v_add_f64 v[20:21], v[6:7], 0
	ds_read_b128 v[4:7], v16 offset:528
	s_waitcnt lgkmcnt(1)
	v_mul_f64 v[16:17], v[24:25], v[52:53]
	v_fma_f64 v[16:17], v[22:23], v[50:51], -v[16:17]
	v_mul_f64 v[22:23], v[22:23], v[52:53]
	v_add_f64 v[18:19], v[34:35], 0
	v_fmac_f64_e32 v[22:23], v[24:25], v[50:51]
	v_add_f64 v[16:17], v[18:19], v[16:17]
	v_add_f64 v[18:19], v[20:21], v[22:23]
	s_waitcnt lgkmcnt(0)
	v_mul_f64 v[20:21], v[28:29], v[6:7]
	v_mul_f64 v[6:7], v[26:27], v[6:7]
	v_fma_f64 v[20:21], v[26:27], v[4:5], -v[20:21]
	v_fmac_f64_e32 v[6:7], v[28:29], v[4:5]
	v_add_f64 v[4:5], v[16:17], v[20:21]
	v_add_f64 v[6:7], v[18:19], v[6:7]
	v_mul_f64 v[16:17], v[32:33], v[48:49]
	v_mul_f64 v[18:19], v[30:31], v[48:49]
	v_fma_f64 v[16:17], v[30:31], v[46:47], -v[16:17]
	v_fmac_f64_e32 v[18:19], v[32:33], v[46:47]
	v_add_f64 v[4:5], v[4:5], v[16:17]
	v_add_f64 v[6:7], v[6:7], v[18:19]
	v_cmp_eq_u32_e64 s[8:9], 1, v11
	s_barrier
	ds_write_b128 v44, v[4:7]
	s_waitcnt lgkmcnt(0)
	s_barrier
	s_and_saveexec_b64 s[10:11], s[8:9]
	s_cbranch_execz .LBB62_97
; %bb.96:
	ds_read_b128 v[0:3], v43
	ds_read_b128 v[4:7], v43 offset:16
	ds_read_b128 v[16:19], v43 offset:32
	ds_read_b128 v[20:23], v43 offset:48
	s_waitcnt lgkmcnt(2)
	v_add_f64 v[0:1], v[4:5], v[0:1]
	v_add_f64 v[4:5], v[6:7], v[2:3]
	s_waitcnt lgkmcnt(1)
	v_add_f64 v[6:7], v[0:1], v[16:17]
	ds_read_b128 v[0:3], v43 offset:64
	v_add_f64 v[4:5], v[4:5], v[18:19]
	s_waitcnt lgkmcnt(1)
	v_add_f64 v[16:17], v[6:7], v[20:21]
	v_add_f64 v[20:21], v[4:5], v[22:23]
	ds_read_b128 v[4:7], v43 offset:80
	s_waitcnt lgkmcnt(1)
	v_add_f64 v[22:23], v[16:17], v[0:1]
	ds_read_b128 v[16:19], v43 offset:96
	v_add_f64 v[20:21], v[20:21], v[2:3]
	ds_read_b128 v[0:3], v43 offset:112
	s_waitcnt lgkmcnt(2)
	v_add_f64 v[4:5], v[22:23], v[4:5]
	v_add_f64 v[6:7], v[20:21], v[6:7]
	s_waitcnt lgkmcnt(1)
	v_add_f64 v[4:5], v[4:5], v[16:17]
	v_add_f64 v[6:7], v[6:7], v[18:19]
	;; [unrolled: 3-line block ×3, first 2 shown]
.LBB62_97:
	s_or_b64 exec, exec, s[10:11]
	s_lshl_b64 s[10:11], s[36:37], 4
	v_mov_b32_e32 v4, s11
	v_subrev_co_u32_e64 v40, s[10:11], s10, v12
	s_and_b64 vcc, exec, s[16:17]
	s_nop 0
	v_subb_co_u32_e64 v41, s[10:11], v13, v4, s[10:11]
	s_barrier
	s_cbranch_vccnz .LBB62_119
; %bb.98:
	flat_load_dwordx4 v[4:7], v[40:41]
	s_movk_i32 s12, 0x210
	s_lshl_b32 s10, s26, 3
	v_mad_u32_u24 v9, v11, s12, v8
	s_ashr_i32 s11, s10, 31
	v_lshl_add_u64 v[12:13], s[10:11], 4, v[40:41]
	s_ashr_i32 s27, s26, 31
	s_lshl_b64 s[10:11], s[26:27], 7
	s_waitcnt vmcnt(0) lgkmcnt(0)
	ds_write2_b64 v9, v[4:5], v[6:7] offset1:1
	flat_load_dwordx4 v[16:19], v[12:13]
	v_mov_b32_e32 v4, 0x1080
	v_mad_u32_u24 v5, v11, s12, v4
	v_add_u32_e32 v4, v8, v5
	v_lshl_add_u64 v[6:7], v[12:13], 0, s[10:11]
	v_add_u32_e32 v12, 16, v11
	v_add_u32_e32 v13, 24, v11
	s_waitcnt vmcnt(0) lgkmcnt(0)
	ds_write2_b64 v4, v[16:17], v[18:19] offset1:1
	flat_load_dwordx4 v[16:19], v[6:7]
	v_mov_b32_e32 v4, 0x2100
	v_mad_u32_u24 v4, v11, s12, v4
	v_add_u32_e32 v9, v8, v4
	v_lshl_add_u64 v[6:7], v[6:7], 0, s[10:11]
	s_waitcnt vmcnt(0) lgkmcnt(0)
	ds_write2_b64 v9, v[16:17], v[18:19] offset1:1
	flat_load_dwordx4 v[16:19], v[6:7]
	v_mov_b32_e32 v9, 0x3180
	v_mad_u32_u24 v15, v11, s12, v9
	v_mul_u32_u24_e32 v7, 0x210, v11
	v_add_u32_e32 v6, 8, v11
	v_add_u32_e32 v9, v8, v15
	s_waitcnt vmcnt(0) lgkmcnt(0)
	ds_write2_b64 v9, v[16:17], v[18:19] offset1:1
	s_cbranch_execz .LBB62_120
	s_branch .LBB62_137
.LBB62_99:
	v_cmp_eq_u32_e32 vcc, v16, v10
                                        ; implicit-def: $vgpr7
	s_and_saveexec_b64 s[14:15], vcc
; %bb.100:
	s_mov_b64 s[6:7], exec
	v_add_u32_e32 v7, v8, v15
; %bb.101:
	s_or_b64 exec, exec, s[14:15]
	s_and_b64 s[6:7], s[6:7], exec
	s_or_saveexec_b64 s[12:13], s[12:13]
	v_mov_b64_e32 v[2:3], 0
	s_xor_b64 exec, exec, s[12:13]
	s_cbranch_execz .LBB62_39
.LBB62_102:
	s_movk_i32 s14, 0x210
	v_mad_u32_u24 v0, v16, s14, v8
	ds_read_b128 v[0:3], v0
	v_lshl_add_u32 v9, v14, 4, v6
	v_add_u32_e32 v7, 16, v9
	s_or_b64 s[6:7], s[6:7], exec
	s_waitcnt lgkmcnt(0)
	v_xor_b32_e32 v3, 0x80000000, v3
	ds_write_b64 v9, v[0:1] offset:16
	s_or_b64 exec, exec, s[12:13]
	s_and_saveexec_b64 s[12:13], s[6:7]
	s_cbranch_execnz .LBB62_40
	s_branch .LBB62_41
.LBB62_103:
	v_cmp_eq_u32_e32 vcc, v17, v10
                                        ; implicit-def: $vgpr7
	s_and_saveexec_b64 s[16:17], vcc
; %bb.104:
	s_mov_b64 s[6:7], exec
	v_add_u32_e32 v7, v8, v15
; %bb.105:
	s_or_b64 exec, exec, s[16:17]
	s_and_b64 s[6:7], s[6:7], exec
	s_or_saveexec_b64 s[14:15], s[14:15]
	v_mov_b64_e32 v[2:3], 0
	s_xor_b64 exec, exec, s[14:15]
	s_cbranch_execz .LBB62_43
.LBB62_106:
	s_movk_i32 s16, 0x210
	v_mad_u32_u24 v0, v17, s16, v8
	ds_read_b128 v[0:3], v0
	v_lshl_add_u32 v9, v14, 4, v6
	v_add_u32_e32 v7, 32, v9
	s_or_b64 s[6:7], s[6:7], exec
	s_waitcnt lgkmcnt(0)
	v_xor_b32_e32 v3, 0x80000000, v3
	ds_write_b64 v9, v[0:1] offset:32
	s_or_b64 exec, exec, s[14:15]
	s_and_saveexec_b64 s[14:15], s[6:7]
	s_cbranch_execnz .LBB62_44
	s_branch .LBB62_45
.LBB62_107:
	v_cmp_eq_u32_e32 vcc, v18, v10
                                        ; implicit-def: $vgpr7
	s_and_saveexec_b64 s[36:37], vcc
; %bb.108:
	s_mov_b64 s[6:7], exec
	v_add_u32_e32 v7, v8, v15
; %bb.109:
	s_or_b64 exec, exec, s[36:37]
	s_and_b64 s[6:7], s[6:7], exec
                                        ; implicit-def: $vgpr6
	s_or_saveexec_b64 s[16:17], s[16:17]
	v_mov_b64_e32 v[2:3], 0
	s_xor_b64 exec, exec, s[16:17]
	s_cbranch_execz .LBB62_47
.LBB62_110:
	s_movk_i32 s25, 0x210
	v_mad_u32_u24 v0, v18, s25, v8
	ds_read_b128 v[0:3], v0
	v_lshl_add_u32 v6, v14, 4, v6
	v_add_u32_e32 v7, 48, v6
	s_or_b64 s[6:7], s[6:7], exec
	s_waitcnt lgkmcnt(0)
	v_xor_b32_e32 v3, 0x80000000, v3
	ds_write_b64 v6, v[0:1] offset:48
	s_or_b64 exec, exec, s[16:17]
	s_and_saveexec_b64 s[16:17], s[6:7]
	s_cbranch_execnz .LBB62_48
	s_branch .LBB62_49
.LBB62_111:
	v_cmp_eq_u32_e32 vcc, v17, v10
                                        ; implicit-def: $vgpr19
	s_and_saveexec_b64 s[12:13], vcc
; %bb.112:
	s_mov_b64 s[8:9], exec
	v_add_u32_e32 v19, v8, v15
; %bb.113:
	s_or_b64 exec, exec, s[12:13]
	s_and_b64 s[8:9], s[8:9], exec
	s_or_saveexec_b64 s[10:11], s[10:11]
	v_mov_b64_e32 v[6:7], 0
	s_xor_b64 exec, exec, s[10:11]
	s_cbranch_execz .LBB62_89
.LBB62_114:
	ds_read_b128 v[4:7], v16 offset:528
	v_lshl_add_u32 v17, v14, 4, v43
	v_add_u32_e32 v19, 32, v17
	s_or_b64 s[8:9], s[8:9], exec
	s_waitcnt lgkmcnt(0)
	v_xor_b32_e32 v7, 0x80000000, v7
	ds_write_b64 v17, v[4:5] offset:32
	s_or_b64 exec, exec, s[10:11]
	s_and_saveexec_b64 s[10:11], s[8:9]
	s_cbranch_execnz .LBB62_90
	s_branch .LBB62_91
.LBB62_115:
	v_cmp_eq_u32_e32 vcc, v18, v10
                                        ; implicit-def: $vgpr17
	s_and_saveexec_b64 s[12:13], vcc
; %bb.116:
	s_mov_b64 s[8:9], exec
	v_add_u32_e32 v17, v8, v15
; %bb.117:
	s_or_b64 exec, exec, s[12:13]
	s_and_b64 s[8:9], s[8:9], exec
	s_or_saveexec_b64 s[10:11], s[10:11]
	v_mov_b64_e32 v[6:7], 0
	s_xor_b64 exec, exec, s[10:11]
	s_cbranch_execz .LBB62_93
.LBB62_118:
	ds_read_b128 v[4:7], v16 offset:1056
	v_lshl_add_u32 v15, v14, 4, v43
	v_add_u32_e32 v17, 48, v15
	s_or_b64 s[8:9], s[8:9], exec
	s_waitcnt lgkmcnt(0)
	v_xor_b32_e32 v7, 0x80000000, v7
	ds_write_b64 v15, v[4:5] offset:48
	s_or_b64 exec, exec, s[10:11]
	s_and_saveexec_b64 s[10:11], s[8:9]
	s_cbranch_execnz .LBB62_94
	s_branch .LBB62_95
.LBB62_119:
                                        ; implicit-def: $vgpr7
                                        ; implicit-def: $vgpr6
                                        ; implicit-def: $vgpr5
                                        ; implicit-def: $vgpr12
                                        ; implicit-def: $vgpr4
                                        ; implicit-def: $vgpr13
                                        ; implicit-def: $vgpr15
.LBB62_120:
	v_or_b32_e32 v6, 32, v10
	v_lshlrev_b32_e32 v4, 4, v6
	v_sub_co_u32_e32 v4, vcc, v40, v4
	s_ashr_i32 s25, s24, 31
	s_nop 0
	v_subbrev_co_u32_e32 v5, vcc, 0, v41, vcc
	v_lshl_add_u64 v[4:5], s[24:25], 4, v[4:5]
	v_lshl_add_u64 v[4:5], v[4:5], 0, -16
	v_cmp_gt_i32_e32 vcc, s24, v6
	s_movk_i32 s12, 0x210
	v_cmp_le_i32_e64 s[10:11], s24, v11
	v_cndmask_b32_e32 v5, v5, v41, vcc
	v_cndmask_b32_e32 v4, v4, v40, vcc
	v_mad_u32_u24 v6, v11, s12, v8
	s_and_saveexec_b64 s[12:13], s[10:11]
	s_xor_b64 s[10:11], exec, s[12:13]
; %bb.121:
	v_mov_b32_e32 v16, 0
	v_mov_b32_e32 v17, v16
	;; [unrolled: 1-line block ×4, first 2 shown]
	ds_write_b128 v6, v[16:19]
                                        ; implicit-def: $vgpr6
; %bb.122:
	s_andn2_saveexec_b64 s[10:11], s[10:11]
	s_cbranch_execz .LBB62_124
; %bb.123:
	flat_load_dwordx4 v[16:19], v[4:5]
	s_waitcnt vmcnt(0) lgkmcnt(0)
	ds_write2_b64 v6, v[16:17], v[18:19] offset1:1
.LBB62_124:
	s_or_b64 exec, exec, s[10:11]
	v_add_u32_e32 v6, 8, v11
	v_mul_u32_u24_e32 v7, 0x210, v11
	v_cmp_le_i32_e64 s[10:11], s24, v6
	s_and_saveexec_b64 s[12:13], s[10:11]
	s_xor_b64 s[10:11], exec, s[12:13]
	s_cbranch_execz .LBB62_126
; %bb.125:
	v_mov_b32_e32 v16, 0
	v_add_u32_e32 v9, v7, v8
	v_mov_b32_e32 v17, v16
	v_mov_b32_e32 v18, v16
	;; [unrolled: 1-line block ×3, first 2 shown]
	ds_write_b128 v9, v[16:19] offset:4224
.LBB62_126:
	s_andn2_saveexec_b64 s[10:11], s[10:11]
	s_cbranch_execz .LBB62_128
; %bb.127:
	s_lshl_b32 s12, s26, 3
	s_ashr_i32 s13, s12, 31
	v_lshl_add_u64 v[12:13], s[12:13], 4, v[4:5]
	flat_load_dwordx4 v[16:19], v[12:13]
	s_movk_i32 s12, 0x1080
	v_add3_u32 v9, v7, v8, s12
	s_waitcnt vmcnt(0) lgkmcnt(0)
	ds_write2_b64 v9, v[16:17], v[18:19] offset1:1
.LBB62_128:
	s_or_b64 exec, exec, s[10:11]
	v_add_u32_e32 v12, 16, v11
	v_cmp_le_i32_e64 s[10:11], s24, v12
	s_and_saveexec_b64 s[12:13], s[10:11]
	s_xor_b64 s[10:11], exec, s[12:13]
	s_cbranch_execz .LBB62_130
; %bb.129:
	v_mov_b32_e32 v16, 0
	v_add_u32_e32 v9, v7, v8
	v_mov_b32_e32 v17, v16
	v_mov_b32_e32 v18, v16
	;; [unrolled: 1-line block ×3, first 2 shown]
	ds_write_b128 v9, v[16:19] offset:8448
.LBB62_130:
	s_andn2_saveexec_b64 s[10:11], s[10:11]
	s_cbranch_execz .LBB62_132
; %bb.131:
	s_lshl_b32 s12, s26, 4
	s_ashr_i32 s13, s12, 31
	v_lshl_add_u64 v[16:17], s[12:13], 4, v[4:5]
	flat_load_dwordx4 v[16:19], v[16:17]
	s_movk_i32 s12, 0x2100
	v_add3_u32 v9, v7, v8, s12
	s_waitcnt vmcnt(0) lgkmcnt(0)
	ds_write2_b64 v9, v[16:17], v[18:19] offset1:1
.LBB62_132:
	s_or_b64 exec, exec, s[10:11]
	v_add_u32_e32 v13, 24, v11
	v_cmp_le_i32_e64 s[10:11], s24, v13
                                        ; implicit-def: $vgpr15
	s_and_saveexec_b64 s[12:13], s[10:11]
	s_xor_b64 s[10:11], exec, s[12:13]
	s_cbranch_execz .LBB62_134
; %bb.133:
	v_add_u32_e32 v15, 0x3180, v7
	v_mov_b32_e32 v16, 0
	v_add_u32_e32 v9, v8, v15
	v_mov_b32_e32 v17, v16
	v_mov_b32_e32 v18, v16
	;; [unrolled: 1-line block ×3, first 2 shown]
	ds_write_b128 v9, v[16:19]
.LBB62_134:
	s_andn2_saveexec_b64 s[10:11], s[10:11]
	s_cbranch_execz .LBB62_136
; %bb.135:
	s_mul_i32 s12, s26, 24
	s_ashr_i32 s13, s12, 31
	v_lshl_add_u64 v[16:17], s[12:13], 4, v[4:5]
	flat_load_dwordx4 v[16:19], v[16:17]
	v_add_u32_e32 v15, 0x3180, v7
	v_add_u32_e32 v9, v8, v15
	s_waitcnt vmcnt(0) lgkmcnt(0)
	ds_write2_b64 v9, v[16:17], v[18:19] offset1:1
.LBB62_136:
	s_or_b64 exec, exec, s[10:11]
	v_mov_b32_e32 v9, 0
	v_lshl_add_u64 v[4:5], v[4:5], 0, v[8:9]
	s_lshl_b64 s[10:11], s[24:25], 4
	v_mov_b32_e32 v9, s11
	v_subrev_co_u32_e64 v4, s[10:11], s10, v4
	s_nop 1
	v_subb_co_u32_e64 v5, s[10:11], v5, v9, s[10:11]
	s_mov_b64 s[10:11], 0x210
	s_nop 0
	v_lshl_add_u64 v[4:5], v[4:5], 0, s[10:11]
	v_cndmask_b32_e32 v41, v5, v41, vcc
	v_cndmask_b32_e32 v40, v4, v40, vcc
	v_add_u32_e32 v5, 0x1080, v7
	v_add_u32_e32 v4, 0x2100, v7
.LBB62_137:
	v_lshlrev_b32_e32 v9, 4, v11
	s_waitcnt lgkmcnt(0)
	s_barrier
	v_add_u32_e32 v7, v8, v7
	ds_read_b128 v[20:23], v9 offset:18176
	ds_read_b128 v[24:27], v7
	v_lshlrev_b32_e32 v6, 4, v6
	v_add_u32_e32 v5, v8, v5
	ds_read_b128 v[46:49], v6 offset:18176
	ds_read_b128 v[50:53], v5
	v_lshlrev_b32_e32 v5, 4, v12
	v_add_u32_e32 v4, v8, v4
	ds_read_b128 v[54:57], v5 offset:18176
	ds_read_b128 v[58:61], v4
	v_lshlrev_b32_e32 v5, 4, v13
	s_waitcnt lgkmcnt(4)
	v_mul_f64 v[6:7], v[22:23], v[26:27]
	v_add_u32_e32 v4, v8, v15
	ds_read_b128 v[62:65], v5 offset:18176
	ds_read2_b64 v[66:69], v4 offset1:1
	v_fma_f64 v[6:7], v[20:21], v[24:25], -v[6:7]
	s_waitcnt lgkmcnt(4)
	v_mul_f64 v[10:11], v[48:49], v[52:53]
	v_add_f64 v[6:7], v[6:7], 0
	v_fma_f64 v[10:11], v[46:47], v[50:51], -v[10:11]
	v_add_f64 v[4:5], v[6:7], v[10:11]
	s_waitcnt lgkmcnt(2)
	v_mul_f64 v[6:7], v[56:57], v[60:61]
	v_fma_f64 v[6:7], v[54:55], v[58:59], -v[6:7]
	v_add_f64 v[4:5], v[4:5], v[6:7]
	s_waitcnt lgkmcnt(0)
	v_mul_f64 v[6:7], v[64:65], v[68:69]
	v_fma_f64 v[6:7], v[62:63], v[66:67], -v[6:7]
	v_add_f64 v[70:71], v[4:5], v[6:7]
	v_lshl_add_u32 v4, v14, 4, v43
	v_mul_f64 v[72:73], v[20:21], v[26:27]
	ds_read_b128 v[28:31], v4
	ds_read_b128 v[16:19], v4 offset:16
	ds_read_b128 v[8:11], v4 offset:32
	;; [unrolled: 1-line block ×3, first 2 shown]
	v_fmac_f64_e32 v[72:73], v[22:23], v[24:25]
	v_mul_f64 v[46:47], v[46:47], v[52:53]
	v_fmac_f64_e32 v[46:47], v[48:49], v[50:51]
	v_add_f64 v[48:49], v[72:73], 0
	ds_read_b128 v[32:35], v45 offset:512
	ds_read_b128 v[24:27], v45 offset:528
	;; [unrolled: 1-line block ×4, first 2 shown]
	v_add_f64 v[46:47], v[48:49], v[46:47]
	v_mul_f64 v[48:49], v[54:55], v[60:61]
	v_fmac_f64_e32 v[48:49], v[56:57], v[58:59]
	v_add_f64 v[46:47], v[46:47], v[48:49]
	v_mul_f64 v[48:49], v[62:63], v[68:69]
	v_fmac_f64_e32 v[48:49], v[64:65], v[66:67]
	v_add_f64 v[72:73], v[46:47], v[48:49]
	s_waitcnt lgkmcnt(0)
	s_barrier
	ds_write_b128 v44, v[70:73]
	s_waitcnt lgkmcnt(0)
	s_barrier
	s_and_saveexec_b64 s[10:11], s[8:9]
	s_cbranch_execz .LBB62_139
; %bb.138:
	ds_read_b128 v[46:49], v43
	ds_read_b128 v[50:53], v43 offset:16
	ds_read_b128 v[54:57], v43 offset:32
	;; [unrolled: 1-line block ×3, first 2 shown]
	s_waitcnt lgkmcnt(3)
	v_add_f64 v[0:1], v[0:1], v[46:47]
	v_add_f64 v[2:3], v[2:3], v[48:49]
	s_waitcnt lgkmcnt(2)
	v_add_f64 v[0:1], v[0:1], v[50:51]
	v_add_f64 v[46:47], v[2:3], v[52:53]
	s_waitcnt lgkmcnt(1)
	v_add_f64 v[48:49], v[0:1], v[54:55]
	ds_read_b128 v[0:3], v43 offset:64
	v_add_f64 v[46:47], v[46:47], v[56:57]
	s_waitcnt lgkmcnt(1)
	v_add_f64 v[50:51], v[48:49], v[58:59]
	v_add_f64 v[54:55], v[46:47], v[60:61]
	ds_read_b128 v[46:49], v43 offset:80
	s_waitcnt lgkmcnt(1)
	v_add_f64 v[56:57], v[50:51], v[0:1]
	ds_read_b128 v[50:53], v43 offset:96
	v_add_f64 v[54:55], v[54:55], v[2:3]
	ds_read_b128 v[0:3], v43 offset:112
	s_waitcnt lgkmcnt(2)
	v_add_f64 v[46:47], v[56:57], v[46:47]
	v_add_f64 v[48:49], v[54:55], v[48:49]
	s_waitcnt lgkmcnt(1)
	v_add_f64 v[46:47], v[46:47], v[50:51]
	v_add_f64 v[48:49], v[48:49], v[52:53]
	;; [unrolled: 3-line block ×3, first 2 shown]
.LBB62_139:
	s_or_b64 exec, exec, s[10:11]
	v_mul_f64 v[46:47], v[30:31], v[34:35]
	v_mul_f64 v[30:31], v[30:31], v[32:33]
	v_fmac_f64_e32 v[46:47], v[28:29], v[32:33]
	v_fma_f64 v[28:29], v[28:29], v[34:35], -v[30:31]
	v_mul_f64 v[32:33], v[18:19], v[26:27]
	v_mul_f64 v[18:19], v[18:19], v[24:25]
	v_add_f64 v[28:29], v[28:29], 0
	v_fmac_f64_e32 v[32:33], v[16:17], v[24:25]
	v_fma_f64 v[16:17], v[16:17], v[26:27], -v[18:19]
	v_mul_f64 v[24:25], v[10:11], v[22:23]
	v_mul_f64 v[10:11], v[10:11], v[20:21]
	v_add_f64 v[30:31], v[46:47], 0
	v_add_f64 v[16:17], v[28:29], v[16:17]
	v_fmac_f64_e32 v[24:25], v[8:9], v[20:21]
	v_fma_f64 v[8:9], v[8:9], v[22:23], -v[10:11]
	v_add_f64 v[18:19], v[30:31], v[32:33]
	v_add_f64 v[8:9], v[16:17], v[8:9]
	v_mul_f64 v[16:17], v[6:7], v[14:15]
	v_mul_f64 v[6:7], v[6:7], v[12:13]
	v_add_f64 v[10:11], v[18:19], v[24:25]
	v_fmac_f64_e32 v[16:17], v[4:5], v[12:13]
	v_fma_f64 v[6:7], v[4:5], v[14:15], -v[6:7]
	v_add_f64 v[4:5], v[10:11], v[16:17]
	v_add_f64 v[6:7], v[8:9], v[6:7]
	s_barrier
	ds_write_b128 v44, v[4:7]
	s_waitcnt lgkmcnt(0)
	s_barrier
	s_and_saveexec_b64 s[8:9], s[6:7]
	s_cbranch_execz .LBB62_141
; %bb.140:
	ds_read_b128 v[4:7], v43
	ds_read_b128 v[8:11], v43 offset:16
	ds_read_b128 v[12:15], v43 offset:32
	;; [unrolled: 1-line block ×3, first 2 shown]
	s_waitcnt lgkmcnt(3)
	v_add_f64 v[0:1], v[0:1], v[4:5]
	v_add_f64 v[2:3], v[2:3], v[6:7]
	s_waitcnt lgkmcnt(2)
	v_add_f64 v[0:1], v[0:1], v[8:9]
	v_add_f64 v[4:5], v[2:3], v[10:11]
	s_waitcnt lgkmcnt(1)
	v_add_f64 v[6:7], v[0:1], v[12:13]
	ds_read_b128 v[0:3], v43 offset:64
	v_add_f64 v[4:5], v[4:5], v[14:15]
	s_waitcnt lgkmcnt(1)
	v_add_f64 v[8:9], v[6:7], v[16:17]
	v_add_f64 v[12:13], v[4:5], v[18:19]
	ds_read_b128 v[4:7], v43 offset:80
	s_waitcnt lgkmcnt(1)
	v_add_f64 v[14:15], v[8:9], v[0:1]
	ds_read_b128 v[8:11], v43 offset:96
	v_add_f64 v[12:13], v[12:13], v[2:3]
	ds_read_b128 v[0:3], v43 offset:112
	s_waitcnt lgkmcnt(2)
	v_add_f64 v[4:5], v[14:15], v[4:5]
	v_add_f64 v[6:7], v[12:13], v[6:7]
	s_waitcnt lgkmcnt(1)
	v_add_f64 v[4:5], v[4:5], v[8:9]
	v_add_f64 v[6:7], v[6:7], v[10:11]
	;; [unrolled: 3-line block ×3, first 2 shown]
.LBB62_141:
	s_or_b64 exec, exec, s[8:9]
	s_load_dwordx2 s[0:1], s[0:1], 0x78
	s_mul_hi_u32 s6, s23, s22
	s_mul_i32 s40, s40, s22
	s_add_i32 s6, s6, s40
	s_mul_i32 s8, s23, s22
	s_mul_i32 s6, s6, s33
	s_mul_hi_u32 s7, s8, s33
	s_add_i32 s7, s7, s6
	s_mul_i32 s6, s8, s33
	s_lshl_b64 s[6:7], s[6:7], 4
	s_waitcnt lgkmcnt(0)
	s_add_u32 s6, s0, s6
	s_mul_i32 s0, s23, s2
	s_addc_u32 s7, s1, s7
	s_ashr_i32 s1, s0, 31
	s_lshl_b64 s[0:1], s[0:1], 4
	s_add_u32 s6, s6, s0
	v_cmp_le_i32_e32 vcc, s24, v150
	s_addc_u32 s7, s7, s1
	s_and_b64 vcc, s[34:35], vcc
	s_cmp_lt_i32 s2, 1
	v_lshlrev_b32_e32 v156, 4, v150
	s_barrier
	s_cbranch_scc1 .LBB62_148
; %bb.142:
	s_mul_i32 s0, s3, s28
	s_ashr_i32 s1, s0, 31
	s_lshl_b64 s[0:1], s[0:1], 4
	v_mov_b32_e32 v4, s1
	v_subrev_co_u32_e64 v152, s[0:1], s0, v36
	v_lshlrev_b64 v[6:7], 4, v[38:39]
	s_nop 0
	v_subb_co_u32_e64 v153, s[0:1], v37, v4, s[0:1]
	s_lshl_b64 s[0:1], s[30:31], 4
	s_nop 0
	v_mov_b32_e32 v5, s1
	v_subrev_co_u32_e64 v4, s[0:1], s0, v40
	s_ashr_i32 s25, s24, 31
	s_nop 0
	v_subb_co_u32_e64 v5, s[0:1], v41, v5, s[0:1]
	s_movk_i32 s0, 0xfe00
	s_mov_b32 s1, -1
	v_lshl_add_u64 v[4:5], v[4:5], 0, s[0:1]
	v_sub_co_u32_e64 v4, s[0:1], v4, v6
	v_mul_lo_u32 v6, v149, s26
	v_lshl_add_u32 v6, v6, 2, v150
	v_subb_co_u32_e64 v5, s[0:1], v5, v7, s[0:1]
	v_ashrrev_i32_e32 v7, 31, v6
	v_lshl_add_u64 v[4:5], v[6:7], 4, v[4:5]
	v_sub_co_u32_e64 v6, s[0:1], v4, v156
	v_lshrrev_b32_e32 v10, 4, v42
	s_nop 0
	v_subbrev_co_u32_e64 v7, s[0:1], 0, v5, s[0:1]
	v_lshl_add_u64 v[6:7], s[24:25], 4, v[6:7]
	v_lshl_add_u64 v[6:7], v[6:7], 0, -16
	v_cndmask_b32_e32 v9, v5, v7, vcc
	v_cndmask_b32_e32 v8, v4, v6, vcc
	v_mov_b32_e32 v4, 0x4300
	v_and_b32_e32 v5, 48, v150
	v_and_b32_e32 v11, 15, v150
	v_lshl_add_u32 v158, v149, 6, v4
	v_lshlrev_b32_e32 v4, 6, v10
	s_movk_i32 s8, 0x430
	v_lshlrev_b32_e32 v5, 4, v5
	s_movk_i32 s0, 0x10c0
	v_mad_u32_u24 v161, v11, s8, v4
	v_mul_i32_i24_e32 v4, 0xffffffd0, v10
	v_mad_u32_u24 v162, v11, s8, v5
	v_or_b32_e32 v5, 0xf0, v156
	s_ashr_i32 s27, s26, 31
	v_mov_b32_e32 v151, 0
	s_lshl_b32 s3, s3, 6
	v_add_u32_e32 v157, 0x4300, v156
	v_add_u32_e32 v159, 0x4700, v156
	v_mad_u32_u24 v160, v149, s0, v156
	v_cmp_gt_u32_e64 s[0:1], 64, v42
	v_mad_u32_u24 v163, v11, s8, v5
	s_lshl_b64 s[8:9], s[26:27], 4
	s_mul_hi_i32 s11, s26, 0xd0
	s_mul_i32 s10, s26, 0xd0
	s_mov_b32 s12, 0
	v_add_u32_e32 v164, v161, v4
	s_branch .LBB62_144
.LBB62_143:                             ;   in Loop: Header=BB62_144 Depth=1
	s_or_b64 exec, exec, s[14:15]
	v_mul_f64 v[132:133], v[6:7], v[34:35]
	v_fma_f64 v[132:133], v[4:5], v[32:33], -v[132:133]
	v_mul_f64 v[4:5], v[4:5], v[34:35]
	v_mul_f64 v[34:35], v[10:11], v[30:31]
	v_add_f64 v[0:1], v[0:1], v[132:133]
	v_fma_f64 v[34:35], v[8:9], v[28:29], -v[34:35]
	v_mul_f64 v[8:9], v[8:9], v[30:31]
	v_mul_f64 v[30:31], v[14:15], v[26:27]
	v_add_f64 v[0:1], v[0:1], v[34:35]
	v_fma_f64 v[30:31], v[12:13], v[24:25], -v[30:31]
	v_mul_f64 v[12:13], v[12:13], v[26:27]
	v_mul_f64 v[26:27], v[18:19], v[22:23]
	v_fmac_f64_e32 v[4:5], v[6:7], v[32:33]
	v_add_f64 v[0:1], v[0:1], v[30:31]
	v_fma_f64 v[26:27], v[16:17], v[20:21], -v[26:27]
	v_add_f64 v[2:3], v[2:3], v[4:5]
	v_mul_f64 v[4:5], v[38:39], v[70:71]
	v_add_f64 v[0:1], v[0:1], v[26:27]
	v_fma_f64 v[4:5], v[36:37], v[68:69], -v[4:5]
	v_add_f64 v[0:1], v[0:1], v[4:5]
	v_mul_f64 v[4:5], v[42:43], v[66:67]
	v_fma_f64 v[4:5], v[40:41], v[64:65], -v[4:5]
	v_add_f64 v[0:1], v[0:1], v[4:5]
	v_mul_f64 v[4:5], v[46:47], v[58:59]
	;; [unrolled: 3-line block ×4, first 2 shown]
	v_fmac_f64_e32 v[8:9], v[10:11], v[28:29]
	v_fma_f64 v[4:5], v[60:61], v[108:109], -v[4:5]
	v_mul_f64 v[16:17], v[16:17], v[22:23]
	v_add_f64 v[2:3], v[2:3], v[8:9]
	v_fmac_f64_e32 v[12:13], v[14:15], v[24:25]
	v_add_f64 v[0:1], v[0:1], v[4:5]
	v_mul_f64 v[4:5], v[74:75], v[106:107]
	v_add_f64 v[2:3], v[2:3], v[12:13]
	v_fmac_f64_e32 v[16:17], v[18:19], v[20:21]
	v_mul_f64 v[6:7], v[36:37], v[70:71]
	v_fma_f64 v[4:5], v[72:73], v[104:105], -v[4:5]
	v_add_f64 v[2:3], v[2:3], v[16:17]
	v_mul_f64 v[8:9], v[40:41], v[66:67]
	v_fmac_f64_e32 v[6:7], v[38:39], v[68:69]
	v_add_f64 v[0:1], v[0:1], v[4:5]
	v_mul_f64 v[4:5], v[78:79], v[98:99]
	v_mul_f64 v[10:11], v[44:45], v[58:59]
	v_add_f64 v[2:3], v[2:3], v[6:7]
	v_fmac_f64_e32 v[8:9], v[42:43], v[64:65]
	v_fma_f64 v[4:5], v[76:77], v[96:97], -v[4:5]
	v_mul_f64 v[12:13], v[48:49], v[54:55]
	v_add_f64 v[2:3], v[2:3], v[8:9]
	v_fmac_f64_e32 v[10:11], v[46:47], v[56:57]
	v_add_f64 v[0:1], v[0:1], v[4:5]
	v_mul_f64 v[4:5], v[82:83], v[86:87]
	v_add_f64 v[2:3], v[2:3], v[10:11]
	v_fmac_f64_e32 v[12:13], v[50:51], v[52:53]
	v_mul_f64 v[6:7], v[60:61], v[110:111]
	v_fma_f64 v[4:5], v[80:81], v[84:85], -v[4:5]
	v_add_f64 v[2:3], v[2:3], v[12:13]
	v_mul_f64 v[8:9], v[72:73], v[106:107]
	v_add_f64 v[0:1], v[0:1], v[4:5]
	v_fmac_f64_e32 v[6:7], v[62:63], v[108:109]
	v_mul_f64 v[4:5], v[90:91], v[118:119]
	v_mul_f64 v[10:11], v[76:77], v[98:99]
	v_add_f64 v[2:3], v[2:3], v[6:7]
	v_fmac_f64_e32 v[8:9], v[74:75], v[104:105]
	v_fma_f64 v[4:5], v[88:89], v[116:117], -v[4:5]
	v_mul_f64 v[12:13], v[80:81], v[86:87]
	v_add_f64 v[2:3], v[2:3], v[8:9]
	v_fmac_f64_e32 v[10:11], v[78:79], v[96:97]
	v_add_f64 v[0:1], v[0:1], v[4:5]
	v_mul_f64 v[4:5], v[94:95], v[122:123]
	v_add_f64 v[2:3], v[2:3], v[10:11]
	v_fmac_f64_e32 v[12:13], v[82:83], v[84:85]
	v_mul_f64 v[6:7], v[88:89], v[118:119]
	v_fma_f64 v[4:5], v[92:93], v[120:121], -v[4:5]
	v_add_f64 v[2:3], v[2:3], v[12:13]
	v_mul_f64 v[8:9], v[92:93], v[122:123]
	v_add_f64 v[0:1], v[0:1], v[4:5]
	v_mul_f64 v[4:5], v[102:103], v[126:127]
	v_fmac_f64_e32 v[6:7], v[90:91], v[116:117]
	v_fma_f64 v[4:5], v[100:101], v[124:125], -v[4:5]
	v_mul_f64 v[10:11], v[100:101], v[126:127]
	v_fmac_f64_e32 v[8:9], v[94:95], v[120:121]
	v_add_f64 v[2:3], v[2:3], v[6:7]
	v_add_f64 v[0:1], v[0:1], v[4:5]
	v_mul_f64 v[4:5], v[114:115], v[130:131]
	v_mul_f64 v[12:13], v[112:113], v[130:131]
	v_fmac_f64_e32 v[10:11], v[102:103], v[124:125]
	v_add_f64 v[2:3], v[2:3], v[8:9]
	v_fma_f64 v[4:5], v[112:113], v[128:129], -v[4:5]
	v_fmac_f64_e32 v[12:13], v[114:115], v[128:129]
	v_add_f64 v[2:3], v[2:3], v[10:11]
	s_add_i32 s2, s2, -1
	s_add_i32 s12, s12, s3
	v_add_f64 v[0:1], v[0:1], v[4:5]
	v_add_f64 v[2:3], v[2:3], v[12:13]
	v_add_u32_e32 v150, 64, v150
	s_cmp_eq_u32 s2, 0
	v_lshl_add_u64 v[8:9], v[154:155], 0, s[10:11]
	s_barrier
	s_cbranch_scc1 .LBB62_148
.LBB62_144:                             ; =>This Inner Loop Header: Depth=1
	s_and_saveexec_b64 s[14:15], s[18:19]
	s_cbranch_execz .LBB62_146
; %bb.145:                              ;   in Loop: Header=BB62_144 Depth=1
	s_ashr_i32 s13, s12, 31
	v_lshl_add_u64 v[4:5], s[12:13], 4, v[152:153]
	flat_load_dwordx4 v[4:7], v[4:5]
	s_waitcnt vmcnt(0) lgkmcnt(0)
	ds_write2_b64 v157, v[4:5], v[6:7] offset1:1
.LBB62_146:                             ;   in Loop: Header=BB62_144 Depth=1
	s_or_b64 exec, exec, s[14:15]
	v_lshl_add_u64 v[12:13], v[8:9], 0, s[8:9]
	s_waitcnt lgkmcnt(0)
	s_barrier
	flat_load_dwordx4 v[4:7], v[8:9]
	v_lshl_add_u64 v[16:17], v[12:13], 0, s[8:9]
	flat_load_dwordx4 v[8:11], v[12:13]
	v_lshl_add_u64 v[40:41], v[16:17], 0, s[8:9]
	flat_load_dwordx4 v[12:15], v[16:17]
	v_lshl_add_u64 v[48:49], v[40:41], 0, s[10:11]
	flat_load_dwordx4 v[16:19], v[40:41]
	ds_read_b128 v[36:39], v159
	ds_read_b128 v[32:35], v158
	ds_read_b128 v[28:31], v158 offset:16
	ds_read_b128 v[24:27], v158 offset:32
	;; [unrolled: 1-line block ×3, first 2 shown]
	s_waitcnt vmcnt(0) lgkmcnt(0)
	v_mul_f64 v[40:41], v[6:7], v[38:39]
	v_mul_f64 v[42:43], v[6:7], v[36:37]
	;; [unrolled: 1-line block ×4, first 2 shown]
	v_fmac_f64_e32 v[44:45], v[8:9], v[36:37]
	v_fma_f64 v[46:47], v[8:9], v[38:39], -v[46:47]
	v_fmac_f64_e32 v[40:41], v[4:5], v[36:37]
	v_fma_f64 v[42:43], v[4:5], v[38:39], -v[42:43]
	ds_write_b128 v160, v[44:47] offset:1072
	v_mul_f64 v[44:45], v[18:19], v[38:39]
	v_mul_f64 v[46:47], v[18:19], v[36:37]
	ds_write_b128 v160, v[40:43]
	v_mul_f64 v[40:41], v[14:15], v[38:39]
	v_mul_f64 v[42:43], v[14:15], v[36:37]
	v_fmac_f64_e32 v[44:45], v[16:17], v[36:37]
	v_fma_f64 v[46:47], v[16:17], v[38:39], -v[46:47]
	v_fmac_f64_e32 v[40:41], v[12:13], v[36:37]
	v_fma_f64 v[42:43], v[12:13], v[38:39], -v[42:43]
	ds_write_b128 v160, v[44:47] offset:3216
	v_lshl_add_u64 v[44:45], v[48:49], 0, s[8:9]
	ds_write_b128 v160, v[40:43] offset:2144
	s_waitcnt lgkmcnt(0)
	s_barrier
	ds_read_b128 v[128:131], v161
	ds_read_b128 v[124:127], v161 offset:16
	ds_read_b128 v[120:123], v161 offset:32
	;; [unrolled: 1-line block ×3, first 2 shown]
	s_waitcnt lgkmcnt(0)
	s_barrier
	flat_load_dwordx4 v[36:39], v[48:49]
	flat_load_dwordx4 v[40:43], v[44:45]
	v_lshl_add_u64 v[48:49], v[44:45], 0, s[8:9]
	v_lshl_add_u64 v[52:53], v[48:49], 0, s[8:9]
	flat_load_dwordx4 v[44:47], v[48:49]
	v_lshl_add_u64 v[88:89], v[52:53], 0, s[10:11]
	flat_load_dwordx4 v[48:51], v[52:53]
	ds_read_b128 v[60:63], v159
	ds_read_b128 v[68:71], v158 offset:256
	ds_read_b128 v[64:67], v158 offset:272
	ds_read_b128 v[56:59], v158 offset:288
	ds_read_b128 v[52:55], v158 offset:304
	v_add_f64 v[128:129], v[128:129], 0
	v_add_f64 v[130:131], v[130:131], 0
	;; [unrolled: 1-line block ×8, first 2 shown]
	s_waitcnt vmcnt(0) lgkmcnt(0)
	v_mul_f64 v[72:73], v[38:39], v[62:63]
	v_mul_f64 v[74:75], v[38:39], v[60:61]
	;; [unrolled: 1-line block ×8, first 2 shown]
	v_fma_f64 v[74:75], v[36:37], v[62:63], -v[74:75]
	v_fmac_f64_e32 v[72:73], v[36:37], v[60:61]
	v_fmac_f64_e32 v[76:77], v[40:41], v[60:61]
	v_fma_f64 v[78:79], v[40:41], v[62:63], -v[78:79]
	v_fma_f64 v[82:83], v[44:45], v[62:63], -v[82:83]
	v_fma_f64 v[86:87], v[48:49], v[62:63], -v[86:87]
	v_fmac_f64_e32 v[80:81], v[44:45], v[60:61]
	v_fmac_f64_e32 v[84:85], v[48:49], v[60:61]
	ds_write_b128 v160, v[72:75]
	ds_write_b128 v160, v[76:79] offset:1072
	ds_write_b128 v160, v[80:83] offset:2144
	;; [unrolled: 1-line block ×3, first 2 shown]
	v_lshl_add_u64 v[76:77], v[88:89], 0, s[8:9]
	v_lshl_add_u64 v[80:81], v[76:77], 0, s[8:9]
	s_waitcnt lgkmcnt(0)
	s_barrier
	ds_read_b128 v[144:147], v161
	ds_read_b128 v[140:143], v161 offset:16
	ds_read_b128 v[136:139], v161 offset:32
	;; [unrolled: 1-line block ×3, first 2 shown]
	s_waitcnt lgkmcnt(0)
	s_barrier
	flat_load_dwordx4 v[60:63], v[88:89]
	flat_load_dwordx4 v[72:75], v[76:77]
	v_lshl_add_u64 v[84:85], v[80:81], 0, s[8:9]
	flat_load_dwordx4 v[76:79], v[80:81]
	v_lshl_add_u64 v[154:155], v[84:85], 0, s[10:11]
	flat_load_dwordx4 v[80:83], v[84:85]
	ds_read_b128 v[88:91], v159
	ds_read_b128 v[108:111], v158 offset:512
	ds_read_b128 v[104:107], v158 offset:528
	;; [unrolled: 1-line block ×4, first 2 shown]
	v_add_f64 v[116:117], v[144:145], 0
	v_add_f64 v[118:119], v[146:147], 0
	;; [unrolled: 1-line block ×8, first 2 shown]
	s_waitcnt vmcnt(0) lgkmcnt(0)
	v_mul_f64 v[94:95], v[62:63], v[88:89]
	v_mul_f64 v[92:93], v[62:63], v[90:91]
	;; [unrolled: 1-line block ×8, first 2 shown]
	v_fma_f64 v[94:95], v[60:61], v[90:91], -v[94:95]
	v_fmac_f64_e32 v[92:93], v[60:61], v[88:89]
	v_fmac_f64_e32 v[100:101], v[72:73], v[88:89]
	v_fma_f64 v[102:103], v[72:73], v[90:91], -v[102:103]
	v_fma_f64 v[114:115], v[76:77], v[90:91], -v[114:115]
	;; [unrolled: 1-line block ×3, first 2 shown]
	v_fmac_f64_e32 v[112:113], v[76:77], v[88:89]
	v_fmac_f64_e32 v[166:167], v[80:81], v[88:89]
	ds_write_b128 v160, v[92:95]
	ds_write_b128 v160, v[100:103] offset:1072
	ds_write_b128 v160, v[112:115] offset:2144
	;; [unrolled: 1-line block ×3, first 2 shown]
	v_lshl_add_u64 v[100:101], v[154:155], 0, s[8:9]
	v_lshl_add_u64 v[112:113], v[100:101], 0, s[8:9]
	s_waitcnt lgkmcnt(0)
	s_barrier
	ds_read_b128 v[166:169], v161
	ds_read_b128 v[170:173], v161 offset:16
	ds_read_b128 v[174:177], v161 offset:32
	;; [unrolled: 1-line block ×3, first 2 shown]
	s_waitcnt lgkmcnt(0)
	s_barrier
	flat_load_dwordx4 v[88:91], v[154:155]
	flat_load_dwordx4 v[92:95], v[100:101]
	v_lshl_add_u64 v[154:155], v[112:113], 0, s[8:9]
	flat_load_dwordx4 v[100:103], v[112:113]
	v_add_f64 v[140:141], v[166:167], 0
	flat_load_dwordx4 v[112:115], v[154:155]
	ds_read_b128 v[136:139], v159
	ds_read_b128 v[116:119], v158 offset:768
	ds_read_b128 v[120:123], v158 offset:784
	;; [unrolled: 1-line block ×4, first 2 shown]
	v_add_f64 v[142:143], v[168:169], 0
	v_add_f64 v[140:141], v[140:141], v[170:171]
	;; [unrolled: 1-line block ×7, first 2 shown]
	s_waitcnt vmcnt(0) lgkmcnt(0)
	v_mul_f64 v[146:147], v[90:91], v[136:137]
	v_mul_f64 v[144:145], v[90:91], v[138:139]
	;; [unrolled: 1-line block ×8, first 2 shown]
	v_fma_f64 v[146:147], v[88:89], v[138:139], -v[146:147]
	v_fma_f64 v[168:169], v[92:93], v[138:139], -v[168:169]
	;; [unrolled: 1-line block ×3, first 2 shown]
	v_fmac_f64_e32 v[144:145], v[88:89], v[136:137]
	v_fmac_f64_e32 v[166:167], v[92:93], v[136:137]
	;; [unrolled: 1-line block ×3, first 2 shown]
	v_fma_f64 v[176:177], v[112:113], v[138:139], -v[176:177]
	v_fmac_f64_e32 v[174:175], v[112:113], v[136:137]
	ds_write_b128 v160, v[144:147]
	ds_write_b128 v160, v[166:169] offset:1072
	ds_write_b128 v160, v[170:173] offset:2144
	;; [unrolled: 1-line block ×3, first 2 shown]
	s_waitcnt lgkmcnt(0)
	s_barrier
	ds_read_b128 v[136:139], v161
	ds_read_b128 v[144:147], v161 offset:16
	ds_read_b128 v[166:169], v161 offset:32
	;; [unrolled: 1-line block ×3, first 2 shown]
	s_waitcnt lgkmcnt(0)
	s_barrier
	ds_write_b128 v164, v[182:185]
	ds_write_b128 v164, v[132:135] offset:256
	ds_write_b128 v164, v[140:143] offset:512
	v_add_f64 v[132:133], v[136:137], 0
	v_add_f64 v[134:135], v[138:139], 0
	;; [unrolled: 1-line block ×8, first 2 shown]
	ds_write_b128 v164, v[132:135] offset:768
	s_waitcnt lgkmcnt(0)
	s_barrier
	s_and_saveexec_b64 s[14:15], s[0:1]
	s_cbranch_execz .LBB62_143
; %bb.147:                              ;   in Loop: Header=BB62_144 Depth=1
	ds_read_b128 v[132:135], v162
	ds_read_b128 v[136:139], v162 offset:16
	ds_read_b128 v[140:143], v162 offset:32
	ds_read_b128 v[144:147], v162 offset:48
	s_waitcnt lgkmcnt(2)
	v_add_f64 v[132:133], v[136:137], v[132:133]
	v_add_f64 v[136:137], v[138:139], v[134:135]
	s_waitcnt lgkmcnt(1)
	v_add_f64 v[138:139], v[132:133], v[140:141]
	ds_read_b128 v[132:135], v162 offset:64
	v_add_f64 v[140:141], v[136:137], v[142:143]
	s_waitcnt lgkmcnt(1)
	v_add_f64 v[142:143], v[138:139], v[144:145]
	ds_read_b128 v[136:139], v162 offset:80
	v_add_f64 v[144:145], v[140:141], v[146:147]
	s_waitcnt lgkmcnt(1)
	v_add_f64 v[132:133], v[142:143], v[132:133]
	ds_read_b128 v[140:143], v162 offset:96
	v_add_f64 v[144:145], v[144:145], v[134:135]
	s_waitcnt lgkmcnt(1)
	v_add_f64 v[136:137], v[132:133], v[136:137]
	ds_read_b128 v[132:135], v162 offset:112
	v_add_f64 v[144:145], v[144:145], v[138:139]
	s_waitcnt lgkmcnt(1)
	v_add_f64 v[140:141], v[136:137], v[140:141]
	ds_read_b128 v[136:139], v162 offset:128
	v_add_f64 v[144:145], v[144:145], v[142:143]
	s_waitcnt lgkmcnt(1)
	v_add_f64 v[132:133], v[140:141], v[132:133]
	ds_read_b128 v[140:143], v162 offset:144
	v_add_f64 v[144:145], v[144:145], v[134:135]
	s_waitcnt lgkmcnt(1)
	v_add_f64 v[136:137], v[132:133], v[136:137]
	ds_read_b128 v[132:135], v162 offset:160
	v_add_f64 v[144:145], v[144:145], v[138:139]
	s_waitcnt lgkmcnt(1)
	v_add_f64 v[140:141], v[136:137], v[140:141]
	ds_read_b128 v[136:139], v162 offset:176
	v_add_f64 v[144:145], v[144:145], v[142:143]
	s_waitcnt lgkmcnt(1)
	v_add_f64 v[132:133], v[140:141], v[132:133]
	ds_read_b128 v[140:143], v162 offset:192
	v_add_f64 v[134:135], v[144:145], v[134:135]
	s_waitcnt lgkmcnt(1)
	v_add_f64 v[136:137], v[132:133], v[136:137]
	v_add_f64 v[144:145], v[134:135], v[138:139]
	ds_read_b128 v[132:135], v162 offset:208
	s_waitcnt lgkmcnt(1)
	v_add_f64 v[146:147], v[136:137], v[140:141]
	ds_read_b128 v[136:139], v162 offset:224
	v_add_f64 v[144:145], v[144:145], v[142:143]
	ds_read_b128 v[140:143], v163
	s_waitcnt lgkmcnt(2)
	v_add_f64 v[132:133], v[146:147], v[132:133]
	v_add_f64 v[134:135], v[144:145], v[134:135]
	s_waitcnt lgkmcnt(1)
	v_add_f64 v[132:133], v[132:133], v[136:137]
	v_add_f64 v[134:135], v[134:135], v[138:139]
	;; [unrolled: 3-line block ×3, first 2 shown]
	v_lshl_add_u64 v[136:137], v[150:151], 4, s[6:7]
	global_store_dwordx4 v[136:137], v[132:135], off
	s_branch .LBB62_143
.LBB62_148:
	s_movk_i32 s0, 0x430
	v_mad_u32_u24 v4, v149, s0, v156
	s_nor_b64 s[0:1], s[4:5], vcc
	ds_write_b128 v4, v[0:3]
	s_waitcnt lgkmcnt(0)
	s_barrier
	s_and_saveexec_b64 s[2:3], s[0:1]
	s_cbranch_execz .LBB62_150
; %bb.149:
	ds_read_b128 v[0:3], v156 offset:1072
	ds_read_b128 v[4:7], v156
	ds_read_b128 v[8:11], v156 offset:2144
	ds_read_b128 v[12:15], v156 offset:3216
	v_ashrrev_i32_e32 v149, 31, v148
	s_waitcnt lgkmcnt(2)
	v_add_f64 v[0:1], v[0:1], v[4:5]
	v_add_f64 v[2:3], v[2:3], v[6:7]
	s_waitcnt lgkmcnt(1)
	v_add_f64 v[0:1], v[0:1], v[8:9]
	v_add_f64 v[2:3], v[2:3], v[10:11]
	;; [unrolled: 3-line block ×3, first 2 shown]
	v_lshl_add_u64 v[4:5], v[148:149], 4, s[6:7]
	global_store_dwordx4 v[4:5], v[0:3], off
.LBB62_150:
	s_endpgm
	.section	.rodata,"a",@progbits
	.p2align	6, 0x0
	.amdhsa_kernel _ZL26rocblas_hemvn_kernel_lowerILb1ELi64ELi4ELi33ELi32ELi16Ei19rocblas_complex_numIdEPKPKS1_PS1_EviT6_lT7_lT5_lS8_lS9_lS7_lT8_i
		.amdhsa_group_segment_fixed_size 19200
		.amdhsa_private_segment_fixed_size 0
		.amdhsa_kernarg_size 392
		.amdhsa_user_sgpr_count 2
		.amdhsa_user_sgpr_dispatch_ptr 0
		.amdhsa_user_sgpr_queue_ptr 0
		.amdhsa_user_sgpr_kernarg_segment_ptr 1
		.amdhsa_user_sgpr_dispatch_id 0
		.amdhsa_user_sgpr_kernarg_preload_length 0
		.amdhsa_user_sgpr_kernarg_preload_offset 0
		.amdhsa_user_sgpr_private_segment_size 0
		.amdhsa_uses_dynamic_stack 0
		.amdhsa_enable_private_segment 0
		.amdhsa_system_sgpr_workgroup_id_x 1
		.amdhsa_system_sgpr_workgroup_id_y 0
		.amdhsa_system_sgpr_workgroup_id_z 1
		.amdhsa_system_sgpr_workgroup_info 0
		.amdhsa_system_vgpr_workitem_id 1
		.amdhsa_next_free_vgpr 186
		.amdhsa_next_free_sgpr 41
		.amdhsa_accum_offset 188
		.amdhsa_reserve_vcc 1
		.amdhsa_float_round_mode_32 0
		.amdhsa_float_round_mode_16_64 0
		.amdhsa_float_denorm_mode_32 3
		.amdhsa_float_denorm_mode_16_64 3
		.amdhsa_dx10_clamp 1
		.amdhsa_ieee_mode 1
		.amdhsa_fp16_overflow 0
		.amdhsa_tg_split 0
		.amdhsa_exception_fp_ieee_invalid_op 0
		.amdhsa_exception_fp_denorm_src 0
		.amdhsa_exception_fp_ieee_div_zero 0
		.amdhsa_exception_fp_ieee_overflow 0
		.amdhsa_exception_fp_ieee_underflow 0
		.amdhsa_exception_fp_ieee_inexact 0
		.amdhsa_exception_int_div_zero 0
	.end_amdhsa_kernel
	.section	.text._ZL26rocblas_hemvn_kernel_lowerILb1ELi64ELi4ELi33ELi32ELi16Ei19rocblas_complex_numIdEPKPKS1_PS1_EviT6_lT7_lT5_lS8_lS9_lS7_lT8_i,"axG",@progbits,_ZL26rocblas_hemvn_kernel_lowerILb1ELi64ELi4ELi33ELi32ELi16Ei19rocblas_complex_numIdEPKPKS1_PS1_EviT6_lT7_lT5_lS8_lS9_lS7_lT8_i,comdat
.Lfunc_end62:
	.size	_ZL26rocblas_hemvn_kernel_lowerILb1ELi64ELi4ELi33ELi32ELi16Ei19rocblas_complex_numIdEPKPKS1_PS1_EviT6_lT7_lT5_lS8_lS9_lS7_lT8_i, .Lfunc_end62-_ZL26rocblas_hemvn_kernel_lowerILb1ELi64ELi4ELi33ELi32ELi16Ei19rocblas_complex_numIdEPKPKS1_PS1_EviT6_lT7_lT5_lS8_lS9_lS7_lT8_i
                                        ; -- End function
	.set _ZL26rocblas_hemvn_kernel_lowerILb1ELi64ELi4ELi33ELi32ELi16Ei19rocblas_complex_numIdEPKPKS1_PS1_EviT6_lT7_lT5_lS8_lS9_lS7_lT8_i.num_vgpr, 186
	.set _ZL26rocblas_hemvn_kernel_lowerILb1ELi64ELi4ELi33ELi32ELi16Ei19rocblas_complex_numIdEPKPKS1_PS1_EviT6_lT7_lT5_lS8_lS9_lS7_lT8_i.num_agpr, 0
	.set _ZL26rocblas_hemvn_kernel_lowerILb1ELi64ELi4ELi33ELi32ELi16Ei19rocblas_complex_numIdEPKPKS1_PS1_EviT6_lT7_lT5_lS8_lS9_lS7_lT8_i.numbered_sgpr, 41
	.set _ZL26rocblas_hemvn_kernel_lowerILb1ELi64ELi4ELi33ELi32ELi16Ei19rocblas_complex_numIdEPKPKS1_PS1_EviT6_lT7_lT5_lS8_lS9_lS7_lT8_i.num_named_barrier, 0
	.set _ZL26rocblas_hemvn_kernel_lowerILb1ELi64ELi4ELi33ELi32ELi16Ei19rocblas_complex_numIdEPKPKS1_PS1_EviT6_lT7_lT5_lS8_lS9_lS7_lT8_i.private_seg_size, 0
	.set _ZL26rocblas_hemvn_kernel_lowerILb1ELi64ELi4ELi33ELi32ELi16Ei19rocblas_complex_numIdEPKPKS1_PS1_EviT6_lT7_lT5_lS8_lS9_lS7_lT8_i.uses_vcc, 1
	.set _ZL26rocblas_hemvn_kernel_lowerILb1ELi64ELi4ELi33ELi32ELi16Ei19rocblas_complex_numIdEPKPKS1_PS1_EviT6_lT7_lT5_lS8_lS9_lS7_lT8_i.uses_flat_scratch, 0
	.set _ZL26rocblas_hemvn_kernel_lowerILb1ELi64ELi4ELi33ELi32ELi16Ei19rocblas_complex_numIdEPKPKS1_PS1_EviT6_lT7_lT5_lS8_lS9_lS7_lT8_i.has_dyn_sized_stack, 0
	.set _ZL26rocblas_hemvn_kernel_lowerILb1ELi64ELi4ELi33ELi32ELi16Ei19rocblas_complex_numIdEPKPKS1_PS1_EviT6_lT7_lT5_lS8_lS9_lS7_lT8_i.has_recursion, 0
	.set _ZL26rocblas_hemvn_kernel_lowerILb1ELi64ELi4ELi33ELi32ELi16Ei19rocblas_complex_numIdEPKPKS1_PS1_EviT6_lT7_lT5_lS8_lS9_lS7_lT8_i.has_indirect_call, 0
	.section	.AMDGPU.csdata,"",@progbits
; Kernel info:
; codeLenInByte = 9628
; TotalNumSgprs: 47
; NumVgprs: 186
; NumAgprs: 0
; TotalNumVgprs: 186
; ScratchSize: 0
; MemoryBound: 0
; FloatMode: 240
; IeeeMode: 1
; LDSByteSize: 19200 bytes/workgroup (compile time only)
; SGPRBlocks: 5
; VGPRBlocks: 23
; NumSGPRsForWavesPerEU: 47
; NumVGPRsForWavesPerEU: 186
; AccumOffset: 188
; Occupancy: 2
; WaveLimiterHint : 0
; COMPUTE_PGM_RSRC2:SCRATCH_EN: 0
; COMPUTE_PGM_RSRC2:USER_SGPR: 2
; COMPUTE_PGM_RSRC2:TRAP_HANDLER: 0
; COMPUTE_PGM_RSRC2:TGID_X_EN: 1
; COMPUTE_PGM_RSRC2:TGID_Y_EN: 0
; COMPUTE_PGM_RSRC2:TGID_Z_EN: 1
; COMPUTE_PGM_RSRC2:TIDIG_COMP_CNT: 1
; COMPUTE_PGM_RSRC3_GFX90A:ACCUM_OFFSET: 46
; COMPUTE_PGM_RSRC3_GFX90A:TG_SPLIT: 0
	.section	.text._ZL36rocblas_hemvn_kernel_lower_block_sumILi64Ei19rocblas_complex_numIdEPKPS1_S1_EviT1_lS5_lT2_lT0_lPT3_i,"axG",@progbits,_ZL36rocblas_hemvn_kernel_lower_block_sumILi64Ei19rocblas_complex_numIdEPKPS1_S1_EviT1_lS5_lT2_lT0_lPT3_i,comdat
	.globl	_ZL36rocblas_hemvn_kernel_lower_block_sumILi64Ei19rocblas_complex_numIdEPKPS1_S1_EviT1_lS5_lT2_lT0_lPT3_i ; -- Begin function _ZL36rocblas_hemvn_kernel_lower_block_sumILi64Ei19rocblas_complex_numIdEPKPS1_S1_EviT1_lS5_lT2_lT0_lPT3_i
	.p2align	8
	.type	_ZL36rocblas_hemvn_kernel_lower_block_sumILi64Ei19rocblas_complex_numIdEPKPS1_S1_EviT1_lS5_lT2_lT0_lPT3_i,@function
_ZL36rocblas_hemvn_kernel_lower_block_sumILi64Ei19rocblas_complex_numIdEPKPS1_S1_EviT1_lS5_lT2_lT0_lPT3_i: ; @_ZL36rocblas_hemvn_kernel_lower_block_sumILi64Ei19rocblas_complex_numIdEPKPS1_S1_EviT1_lS5_lT2_lT0_lPT3_i
; %bb.0:
	s_load_dwordx4 s[12:15], s[0:1], 0x8
	s_load_dwordx4 s[8:11], s[0:1], 0x20
	s_mov_b32 s18, s3
	s_waitcnt lgkmcnt(0)
	v_cmp_neq_f64_e64 s[4:5], s[12:13], 0
	v_cmp_neq_f64_e64 s[6:7], s[14:15], 0
	s_or_b64 s[4:5], s[4:5], s[6:7]
	s_mov_b64 s[6:7], -1
	s_and_b64 vcc, exec, s[4:5]
	s_cbranch_vccnz .LBB63_2
; %bb.1:
	v_cmp_neq_f64_e64 s[6:7], s[8:9], 1.0
	v_cmp_neq_f64_e64 s[16:17], s[10:11], 0
	s_or_b64 s[6:7], s[6:7], s[16:17]
.LBB63_2:
	s_andn2_b64 vcc, exec, s[6:7]
	s_cbranch_vccnz .LBB63_22
; %bb.3:
	s_xor_b64 s[16:17], s[4:5], -1
	s_load_dwordx4 s[4:7], s[0:1], 0x38
	s_load_dword s3, s[0:1], 0x48
	s_load_dword s20, s[0:1], 0x0
	s_mov_b32 s19, 0
	s_lshl_b64 s[22:23], s[18:19], 3
	s_waitcnt lgkmcnt(0)
	s_add_u32 s4, s4, s22
	s_addc_u32 s5, s5, s23
	s_load_dwordx2 s[4:5], s[4:5], 0x0
	s_lshl_b64 s[6:7], s[6:7], 4
	v_lshl_or_b32 v8, s2, 6, v0
	s_waitcnt lgkmcnt(0)
	s_add_u32 s6, s4, s6
	s_addc_u32 s7, s5, s7
	s_andn2_b64 vcc, exec, s[16:17]
	v_cmp_gt_i32_e64 s[4:5], s20, v8
	s_cbranch_vccnz .LBB63_8
; %bb.4:
	s_mov_b64 s[22:23], 0
	s_mov_b64 s[16:17], 0
                                        ; implicit-def: $vgpr2_vgpr3
                                        ; implicit-def: $vgpr4_vgpr5
	s_and_saveexec_b64 s[24:25], s[4:5]
	s_cbranch_execz .LBB63_9
; %bb.5:
	v_cmp_neq_f64_e64 s[4:5], s[8:9], 0
	v_cmp_neq_f64_e64 s[16:17], s[10:11], 0
	v_mul_lo_u32 v4, s3, v8
	s_or_b64 s[4:5], s[4:5], s[16:17]
	v_mov_b64_e32 v[2:3], 0
	v_ashrrev_i32_e32 v5, 31, v4
	s_andn2_b64 vcc, exec, s[4:5]
	v_mov_b64_e32 v[0:1], 0
	s_cbranch_vccnz .LBB63_7
; %bb.6:
	v_lshl_add_u64 v[0:1], v[4:5], 4, s[6:7]
	flat_load_dwordx4 v[10:13], v[0:1]
	s_waitcnt vmcnt(0) lgkmcnt(0)
	v_mul_f64 v[0:1], s[10:11], v[12:13]
	v_mul_f64 v[2:3], s[8:9], v[12:13]
	v_fma_f64 v[0:1], s[8:9], v[10:11], -v[0:1]
	v_fmac_f64_e32 v[2:3], s[10:11], v[10:11]
.LBB63_7:
	s_mov_b64 s[16:17], exec
	s_or_b64 exec, exec, s[24:25]
	s_and_b64 vcc, exec, s[22:23]
	s_cbranch_vccnz .LBB63_10
	s_branch .LBB63_20
.LBB63_8:
	s_mov_b64 s[16:17], 0
                                        ; implicit-def: $vgpr2_vgpr3
                                        ; implicit-def: $vgpr4_vgpr5
	s_cbranch_execnz .LBB63_10
	s_branch .LBB63_20
.LBB63_9:
	s_or_b64 exec, exec, s[24:25]
	s_and_b64 vcc, exec, s[22:23]
	s_cbranch_vccz .LBB63_20
.LBB63_10:
	v_cmp_gt_i32_e32 vcc, s20, v8
                                        ; implicit-def: $vgpr2_vgpr3
                                        ; implicit-def: $vgpr4_vgpr5
	s_and_saveexec_b64 s[4:5], vcc
	s_cbranch_execz .LBB63_19
; %bb.11:
	s_load_dword s19, s[0:1], 0x68
	v_mov_b64_e32 v[0:1], 0
	v_mov_b64_e32 v[6:7], 0
	s_waitcnt lgkmcnt(0)
	s_cmp_ge_i32 s2, s19
	s_cbranch_scc1 .LBB63_14
; %bb.12:
	s_ashr_i32 s21, s20, 31
	s_mul_i32 s22, s20, s2
	s_load_dwordx2 s[0:1], s[0:1], 0x58
	v_add_u32_e32 v0, s22, v8
	s_mul_hi_u32 s22, s20, s18
	s_mul_i32 s23, s21, s18
	s_add_i32 s22, s22, s23
	s_mul_i32 s18, s20, s18
	s_mul_i32 s22, s22, s19
	s_mul_hi_u32 s23, s18, s19
	s_add_i32 s23, s23, s22
	s_mul_i32 s22, s18, s19
	s_lshl_b64 s[22:23], s[22:23], 4
	s_waitcnt lgkmcnt(0)
	s_add_u32 s0, s0, s22
	v_ashrrev_i32_e32 v1, 31, v0
	s_addc_u32 s1, s1, s23
	v_lshl_add_u64 v[0:1], v[0:1], 4, s[0:1]
	v_lshl_add_u64 v[2:3], v[0:1], 0, 8
	s_lshl_b64 s[0:1], s[20:21], 4
	v_mov_b64_e32 v[0:1], 0
	v_mov_b64_e32 v[6:7], 0
.LBB63_13:                              ; =>This Inner Loop Header: Depth=1
	global_load_dwordx4 v[10:13], v[2:3], off offset:-8
	s_add_i32 s2, s2, 1
	v_lshl_add_u64 v[2:3], v[2:3], 0, s[0:1]
	s_cmp_ge_i32 s2, s19
	s_waitcnt vmcnt(0)
	v_add_f64 v[6:7], v[6:7], v[10:11]
	v_add_f64 v[0:1], v[0:1], v[12:13]
	s_cbranch_scc0 .LBB63_13
.LBB63_14:
	v_cmp_neq_f64_e64 s[18:19], s[8:9], 0
	v_cmp_neq_f64_e64 s[20:21], s[10:11], 0
	s_or_b64 s[18:19], s[18:19], s[20:21]
	v_mul_f64 v[10:11], s[14:15], v[0:1]
	v_mul_f64 v[2:3], s[12:13], v[0:1]
	v_mul_lo_u32 v4, s3, v8
	s_mov_b64 s[0:1], 0
	s_andn2_b64 vcc, exec, s[18:19]
	v_fma_f64 v[0:1], s[12:13], v[6:7], -v[10:11]
	v_fmac_f64_e32 v[2:3], s[14:15], v[6:7]
	v_ashrrev_i32_e32 v5, 31, v4
	s_cbranch_vccnz .LBB63_16
; %bb.15:
	s_mov_b64 s[0:1], -1
.LBB63_16:
	s_andn2_b64 vcc, exec, s[0:1]
	s_cbranch_vccnz .LBB63_18
; %bb.17:
	v_lshl_add_u64 v[6:7], v[4:5], 4, s[6:7]
	flat_load_dwordx4 v[6:9], v[6:7]
	s_waitcnt vmcnt(0) lgkmcnt(0)
	v_mul_f64 v[10:11], s[10:11], v[8:9]
	v_mul_f64 v[8:9], s[8:9], v[8:9]
	v_fma_f64 v[10:11], s[8:9], v[6:7], -v[10:11]
	v_fmac_f64_e32 v[8:9], s[10:11], v[6:7]
	v_add_f64 v[0:1], v[0:1], v[10:11]
	v_add_f64 v[2:3], v[2:3], v[8:9]
.LBB63_18:
	s_or_b64 s[16:17], s[16:17], exec
.LBB63_19:
	s_or_b64 exec, exec, s[4:5]
.LBB63_20:
	s_and_saveexec_b64 s[0:1], s[16:17]
	s_cbranch_execz .LBB63_22
; %bb.21:
	v_lshl_add_u64 v[4:5], v[4:5], 4, s[6:7]
	flat_store_dwordx4 v[4:5], v[0:3]
.LBB63_22:
	s_endpgm
	.section	.rodata,"a",@progbits
	.p2align	6, 0x0
	.amdhsa_kernel _ZL36rocblas_hemvn_kernel_lower_block_sumILi64Ei19rocblas_complex_numIdEPKPS1_S1_EviT1_lS5_lT2_lT0_lPT3_i
		.amdhsa_group_segment_fixed_size 0
		.amdhsa_private_segment_fixed_size 0
		.amdhsa_kernarg_size 360
		.amdhsa_user_sgpr_count 2
		.amdhsa_user_sgpr_dispatch_ptr 0
		.amdhsa_user_sgpr_queue_ptr 0
		.amdhsa_user_sgpr_kernarg_segment_ptr 1
		.amdhsa_user_sgpr_dispatch_id 0
		.amdhsa_user_sgpr_kernarg_preload_length 0
		.amdhsa_user_sgpr_kernarg_preload_offset 0
		.amdhsa_user_sgpr_private_segment_size 0
		.amdhsa_uses_dynamic_stack 0
		.amdhsa_enable_private_segment 0
		.amdhsa_system_sgpr_workgroup_id_x 1
		.amdhsa_system_sgpr_workgroup_id_y 0
		.amdhsa_system_sgpr_workgroup_id_z 1
		.amdhsa_system_sgpr_workgroup_info 0
		.amdhsa_system_vgpr_workitem_id 0
		.amdhsa_next_free_vgpr 14
		.amdhsa_next_free_sgpr 26
		.amdhsa_accum_offset 16
		.amdhsa_reserve_vcc 1
		.amdhsa_float_round_mode_32 0
		.amdhsa_float_round_mode_16_64 0
		.amdhsa_float_denorm_mode_32 3
		.amdhsa_float_denorm_mode_16_64 3
		.amdhsa_dx10_clamp 1
		.amdhsa_ieee_mode 1
		.amdhsa_fp16_overflow 0
		.amdhsa_tg_split 0
		.amdhsa_exception_fp_ieee_invalid_op 0
		.amdhsa_exception_fp_denorm_src 0
		.amdhsa_exception_fp_ieee_div_zero 0
		.amdhsa_exception_fp_ieee_overflow 0
		.amdhsa_exception_fp_ieee_underflow 0
		.amdhsa_exception_fp_ieee_inexact 0
		.amdhsa_exception_int_div_zero 0
	.end_amdhsa_kernel
	.section	.text._ZL36rocblas_hemvn_kernel_lower_block_sumILi64Ei19rocblas_complex_numIdEPKPS1_S1_EviT1_lS5_lT2_lT0_lPT3_i,"axG",@progbits,_ZL36rocblas_hemvn_kernel_lower_block_sumILi64Ei19rocblas_complex_numIdEPKPS1_S1_EviT1_lS5_lT2_lT0_lPT3_i,comdat
.Lfunc_end63:
	.size	_ZL36rocblas_hemvn_kernel_lower_block_sumILi64Ei19rocblas_complex_numIdEPKPS1_S1_EviT1_lS5_lT2_lT0_lPT3_i, .Lfunc_end63-_ZL36rocblas_hemvn_kernel_lower_block_sumILi64Ei19rocblas_complex_numIdEPKPS1_S1_EviT1_lS5_lT2_lT0_lPT3_i
                                        ; -- End function
	.set _ZL36rocblas_hemvn_kernel_lower_block_sumILi64Ei19rocblas_complex_numIdEPKPS1_S1_EviT1_lS5_lT2_lT0_lPT3_i.num_vgpr, 14
	.set _ZL36rocblas_hemvn_kernel_lower_block_sumILi64Ei19rocblas_complex_numIdEPKPS1_S1_EviT1_lS5_lT2_lT0_lPT3_i.num_agpr, 0
	.set _ZL36rocblas_hemvn_kernel_lower_block_sumILi64Ei19rocblas_complex_numIdEPKPS1_S1_EviT1_lS5_lT2_lT0_lPT3_i.numbered_sgpr, 26
	.set _ZL36rocblas_hemvn_kernel_lower_block_sumILi64Ei19rocblas_complex_numIdEPKPS1_S1_EviT1_lS5_lT2_lT0_lPT3_i.num_named_barrier, 0
	.set _ZL36rocblas_hemvn_kernel_lower_block_sumILi64Ei19rocblas_complex_numIdEPKPS1_S1_EviT1_lS5_lT2_lT0_lPT3_i.private_seg_size, 0
	.set _ZL36rocblas_hemvn_kernel_lower_block_sumILi64Ei19rocblas_complex_numIdEPKPS1_S1_EviT1_lS5_lT2_lT0_lPT3_i.uses_vcc, 1
	.set _ZL36rocblas_hemvn_kernel_lower_block_sumILi64Ei19rocblas_complex_numIdEPKPS1_S1_EviT1_lS5_lT2_lT0_lPT3_i.uses_flat_scratch, 0
	.set _ZL36rocblas_hemvn_kernel_lower_block_sumILi64Ei19rocblas_complex_numIdEPKPS1_S1_EviT1_lS5_lT2_lT0_lPT3_i.has_dyn_sized_stack, 0
	.set _ZL36rocblas_hemvn_kernel_lower_block_sumILi64Ei19rocblas_complex_numIdEPKPS1_S1_EviT1_lS5_lT2_lT0_lPT3_i.has_recursion, 0
	.set _ZL36rocblas_hemvn_kernel_lower_block_sumILi64Ei19rocblas_complex_numIdEPKPS1_S1_EviT1_lS5_lT2_lT0_lPT3_i.has_indirect_call, 0
	.section	.AMDGPU.csdata,"",@progbits
; Kernel info:
; codeLenInByte = 708
; TotalNumSgprs: 32
; NumVgprs: 14
; NumAgprs: 0
; TotalNumVgprs: 14
; ScratchSize: 0
; MemoryBound: 0
; FloatMode: 240
; IeeeMode: 1
; LDSByteSize: 0 bytes/workgroup (compile time only)
; SGPRBlocks: 3
; VGPRBlocks: 1
; NumSGPRsForWavesPerEU: 32
; NumVGPRsForWavesPerEU: 14
; AccumOffset: 16
; Occupancy: 8
; WaveLimiterHint : 1
; COMPUTE_PGM_RSRC2:SCRATCH_EN: 0
; COMPUTE_PGM_RSRC2:USER_SGPR: 2
; COMPUTE_PGM_RSRC2:TRAP_HANDLER: 0
; COMPUTE_PGM_RSRC2:TGID_X_EN: 1
; COMPUTE_PGM_RSRC2:TGID_Y_EN: 0
; COMPUTE_PGM_RSRC2:TGID_Z_EN: 1
; COMPUTE_PGM_RSRC2:TIDIG_COMP_CNT: 0
; COMPUTE_PGM_RSRC3_GFX90A:ACCUM_OFFSET: 3
; COMPUTE_PGM_RSRC3_GFX90A:TG_SPLIT: 0
	.section	.text._ZL50rocblas_symv_kernel_upper_double_buffered_diagonalILi32ELi4E24rocblas_internal_val_ptrIfEPKfPfEvbiT1_lT2_lllS6_lllS5_lT3_llli,"axG",@progbits,_ZL50rocblas_symv_kernel_upper_double_buffered_diagonalILi32ELi4E24rocblas_internal_val_ptrIfEPKfPfEvbiT1_lT2_lllS6_lllS5_lT3_llli,comdat
	.globl	_ZL50rocblas_symv_kernel_upper_double_buffered_diagonalILi32ELi4E24rocblas_internal_val_ptrIfEPKfPfEvbiT1_lT2_lllS6_lllS5_lT3_llli ; -- Begin function _ZL50rocblas_symv_kernel_upper_double_buffered_diagonalILi32ELi4E24rocblas_internal_val_ptrIfEPKfPfEvbiT1_lT2_lllS6_lllS5_lT3_llli
	.p2align	8
	.type	_ZL50rocblas_symv_kernel_upper_double_buffered_diagonalILi32ELi4E24rocblas_internal_val_ptrIfEPKfPfEvbiT1_lT2_lllS6_lllS5_lT3_llli,@function
_ZL50rocblas_symv_kernel_upper_double_buffered_diagonalILi32ELi4E24rocblas_internal_val_ptrIfEPKfPfEvbiT1_lT2_lllS6_lllS5_lT3_llli: ; @_ZL50rocblas_symv_kernel_upper_double_buffered_diagonalILi32ELi4E24rocblas_internal_val_ptrIfEPKfPfEvbiT1_lT2_lllS6_lllS5_lT3_llli
; %bb.0:
	s_load_dword s20, s[0:1], 0x0
	s_load_dwordx16 s[4:19], s[0:1], 0x8
	s_mov_b64 s[30:31], -1
                                        ; implicit-def: $sgpr33
	s_waitcnt lgkmcnt(0)
	s_bitcmp1_b32 s20, 0
	s_cselect_b64 s[20:21], -1, 0
	s_xor_b64 s[28:29], s[20:21], -1
	s_and_b64 vcc, exec, s[28:29]
	s_cbranch_vccnz .LBB64_10
; %bb.1:
	s_load_dwordx8 s[20:27], s[0:1], 0x48
	s_andn2_b64 vcc, exec, s[30:31]
	s_cbranch_vccz .LBB64_11
.LBB64_2:
	s_andn2_b64 vcc, exec, s[28:29]
	s_cbranch_vccnz .LBB64_4
.LBB64_3:
	s_waitcnt lgkmcnt(0)
	s_mul_i32 s4, s27, s3
	s_mul_hi_u32 s5, s26, s3
	s_add_i32 s5, s5, s4
	s_mul_i32 s4, s26, s3
	s_lshl_b64 s[4:5], s[4:5], 2
	s_add_u32 s4, s24, s4
	s_addc_u32 s5, s25, s5
	s_load_dword s24, s[4:5], 0x0
.LBB64_4:
	s_waitcnt lgkmcnt(0)
	v_cmp_eq_f32_e64 s[4:5], s33, 0
	v_cmp_eq_f32_e64 s[6:7], s24, 1.0
	s_and_b64 s[4:5], s[4:5], s[6:7]
	s_and_b64 vcc, exec, s[4:5]
	s_cbranch_vccnz .LBB64_9
; %bb.5:
	s_load_dwordx2 s[26:27], s[0:1], 0x80
	s_load_dwordx2 s[28:29], s[0:1], 0x68
	s_load_dwordx4 s[4:7], s[0:1], 0x70
	v_bfe_u32 v12, v0, 10, 10
	v_and_b32_e32 v10, 0x3ff, v0
	s_waitcnt lgkmcnt(0)
	s_mul_i32 s1, s27, s3
	s_mul_hi_u32 s25, s26, s3
	s_mul_i32 s0, s26, s3
	s_add_i32 s1, s25, s1
	s_lshl_b64 s[0:1], s[0:1], 2
	s_add_u32 s25, s28, s0
	s_addc_u32 s26, s29, s1
	s_lshl_b64 s[0:1], s[4:5], 2
	s_add_u32 s4, s25, s0
	s_addc_u32 s5, s26, s1
	s_lshl_b32 s2, s2, 5
	s_ashr_i32 s25, s2, 31
	s_mul_i32 s0, s6, s25
	s_mul_hi_u32 s1, s6, s2
	s_add_i32 s0, s1, s0
	s_mul_i32 s1, s7, s2
	s_add_i32 s1, s0, s1
	s_mul_i32 s0, s6, s2
	s_lshl_b64 s[0:1], s[0:1], 2
	s_add_u32 s4, s4, s0
	s_addc_u32 s5, s5, s1
	v_cmp_neq_f32_e64 s[0:1], s33, 0
	s_and_b64 vcc, exec, s[0:1]
	v_cmp_eq_u32_e64 s[0:1], 0, v12
	s_cbranch_vccnz .LBB64_12
; %bb.6:
	s_and_saveexec_b64 s[26:27], s[0:1]
	s_cbranch_execz .LBB64_8
; %bb.7:
	v_mad_u64_u32 v[0:1], s[0:1], s6, v10, 0
	v_mov_b32_e32 v2, v1
	v_mad_u64_u32 v[2:3], s[0:1], s7, v10, v[2:3]
	v_mov_b32_e32 v1, v2
	v_lshl_add_u64 v[0:1], v[0:1], 2, s[4:5]
	global_load_dword v2, v[0:1], off
	s_waitcnt vmcnt(0)
	v_mul_f32_e32 v2, s24, v2
	global_store_dword v[0:1], v2, off
.LBB64_8:
	s_or_b64 exec, exec, s[26:27]
	s_cbranch_execz .LBB64_13
.LBB64_9:
	s_endpgm
.LBB64_10:
	s_mul_i32 s7, s7, s3
	s_mul_hi_u32 s20, s6, s3
	s_add_i32 s7, s20, s7
	s_mul_i32 s6, s6, s3
	s_lshl_b64 s[6:7], s[6:7], 2
	s_add_u32 s6, s4, s6
	s_addc_u32 s7, s5, s7
	s_load_dword s33, s[6:7], 0x0
	s_load_dwordx8 s[20:27], s[0:1], 0x48
	s_cbranch_execnz .LBB64_2
.LBB64_11:
	s_waitcnt lgkmcnt(0)
	s_mov_b32 s33, s4
	s_andn2_b64 vcc, exec, s[28:29]
	s_cbranch_vccz .LBB64_3
	s_branch .LBB64_4
.LBB64_12:
.LBB64_13:
	v_mov_b32_e32 v11, 0
	v_cmp_eq_u32_e64 s[0:1], 0, v12
	s_and_saveexec_b64 s[26:27], s[0:1]
	s_cbranch_execz .LBB64_17
; %bb.14:
	v_cmp_eq_f32_e64 s[28:29], s24, 0
	v_mov_b32_e32 v11, 0
	s_and_b64 vcc, exec, s[28:29]
	s_cbranch_vccnz .LBB64_16
; %bb.15:
	v_mad_u64_u32 v[0:1], s[28:29], s6, v10, 0
	v_mov_b32_e32 v2, v1
	v_mad_u64_u32 v[2:3], s[28:29], s7, v10, v[2:3]
	v_mov_b32_e32 v1, v2
	v_lshl_add_u64 v[0:1], v[0:1], 2, s[4:5]
	global_load_dword v0, v[0:1], off
	s_waitcnt vmcnt(0)
	v_mul_f32_e32 v11, s24, v0
.LBB64_16:
	s_mul_i32 s23, s23, s3
	s_mul_hi_u32 s28, s22, s3
	s_add_i32 s23, s28, s23
	s_mul_i32 s22, s22, s3
	s_lshl_b64 s[22:23], s[22:23], 2
	s_add_u32 s22, s16, s22
	s_addc_u32 s23, s17, s23
	s_lshl_b64 s[16:17], s[18:19], 2
	s_add_u32 s18, s22, s16
	s_addc_u32 s19, s23, s17
	s_mul_i32 s16, s20, s25
	s_mul_hi_u32 s17, s20, s2
	s_add_i32 s16, s17, s16
	s_mul_i32 s17, s21, s2
	s_add_i32 s17, s16, s17
	s_mul_i32 s16, s20, s2
	s_lshl_b64 s[16:17], s[16:17], 2
	s_add_u32 s16, s18, s16
	s_addc_u32 s17, s19, s17
	v_mad_u64_u32 v[0:1], s[18:19], s20, v10, 0
	v_mov_b32_e32 v2, v1
	v_mad_u64_u32 v[2:3], s[18:19], s21, v10, v[2:3]
	v_mov_b32_e32 v1, v2
	v_lshl_add_u64 v[0:1], v[0:1], 2, s[16:17]
	global_load_dword v0, v[0:1], off
	v_lshlrev_b32_e32 v1, 2, v10
	s_waitcnt vmcnt(0)
	ds_write_b32 v1, v0 offset:5120
.LBB64_17:
	s_or_b64 exec, exec, s[26:27]
	s_mul_i32 s15, s15, s3
	s_mul_hi_u32 s16, s14, s3
	s_add_i32 s15, s16, s15
	s_mul_i32 s14, s14, s3
	s_lshl_b64 s[14:15], s[14:15], 2
	s_add_u32 s3, s8, s14
	s_addc_u32 s14, s9, s15
	s_lshl_b64 s[8:9], s[10:11], 2
	s_add_u32 s8, s3, s8
	s_addc_u32 s9, s14, s9
	s_add_u32 s10, s12, 1
	s_addc_u32 s3, s13, 0
	s_mul_i32 s11, s10, s25
	s_mul_hi_u32 s14, s10, s2
	s_add_i32 s11, s14, s11
	s_mul_i32 s3, s3, s2
	s_add_i32 s3, s11, s3
	s_mul_i32 s2, s10, s2
	s_lshl_b64 s[2:3], s[2:3], 2
	s_add_u32 s2, s8, s2
	s_addc_u32 s3, s9, s3
	v_mad_u64_u32 v[0:1], s[8:9], s12, v12, 0
	v_mov_b32_e32 v2, v1
	v_mad_u64_u32 v[2:3], s[8:9], s13, v12, v[2:3]
	v_mov_b32_e32 v1, v2
	v_lshl_add_u64 v[2:3], v[0:1], 2, s[2:3]
	v_lshlrev_b32_e32 v0, 2, v10
	v_mov_b32_e32 v1, 0
	v_cmp_lt_u32_e32 vcc, 15, v10
	s_mul_i32 s16, s13, 12
	s_mul_hi_u32 s17, s12, 12
	s_mul_i32 s2, s12, 12
                                        ; implicit-def: $sgpr10_sgpr11
                                        ; implicit-def: $sgpr14_sgpr15
	s_and_saveexec_b64 s[8:9], vcc
	s_xor_b64 s[8:9], exec, s[8:9]
; %bb.18:
	s_lshl_b64 s[10:11], s[12:13], 2
	s_lshl_b64 s[14:15], s[12:13], 3
	s_add_i32 s3, s17, s16
; %bb.19:
	s_or_saveexec_b64 s[8:9], s[8:9]
	v_lshl_add_u64 v[2:3], v[2:3], 0, v[0:1]
	v_mov_b64_e32 v[4:5], s[2:3]
	v_mov_b64_e32 v[6:7], s[14:15]
	;; [unrolled: 1-line block ×3, first 2 shown]
	v_lshlrev_b32_e32 v1, 7, v12
	s_xor_b64 exec, exec, s[8:9]
	s_cbranch_execz .LBB64_21
; %bb.20:
	s_lshl_b64 s[10:11], s[12:13], 4
	v_lshl_add_u64 v[4:5], v[2:3], 0, s[10:11]
	v_lshl_add_u64 v[6:7], v[4:5], 0, s[10:11]
	;; [unrolled: 1-line block ×3, first 2 shown]
	global_load_dword v13, v[2:3], off
	global_load_dword v14, v[4:5], off
	;; [unrolled: 1-line block ×4, first 2 shown]
	v_lshl_add_u32 v8, v10, 2, v1
	s_lshl_b64 s[10:11], s[12:13], 2
	s_lshl_b64 s[14:15], s[12:13], 3
	s_add_i32 s3, s17, s16
	v_mov_b64_e32 v[4:5], s[2:3]
	v_mov_b64_e32 v[6:7], s[14:15]
	s_waitcnt vmcnt(2)
	ds_write2st64_b32 v8, v13, v14 offset1:2
	s_waitcnt vmcnt(0)
	ds_write2st64_b32 v8, v15, v16 offset0:4 offset1:6
	v_mov_b64_e32 v[8:9], s[10:11]
.LBB64_21:
	s_or_b64 exec, exec, s[8:9]
	s_lshl_b64 s[2:3], s[12:13], 6
	v_lshl_add_u64 v[2:3], v[2:3], 0, s[2:3]
	v_lshl_add_u64 v[8:9], v[8:9], 2, v[2:3]
	;; [unrolled: 1-line block ×4, first 2 shown]
	global_load_dword v13, v[2:3], off
	global_load_dword v14, v[8:9], off
	;; [unrolled: 1-line block ×4, first 2 shown]
	v_add_u32_e32 v2, 0x800, v1
	v_add_u32_e32 v5, 0xc00, v1
	v_sub_u32_e32 v6, v10, v12
	s_movk_i32 s2, 0x7c
	v_add_u32_e32 v4, v0, v2
	v_add_u32_e32 v2, v0, v5
	v_sub_u32_e32 v5, 0, v6
	v_add_u32_e32 v3, 0xa00, v1
	v_add_u32_e32 v1, 0xe00, v1
	v_mad_u32_u24 v8, v10, s2, v0
	v_max_i32_e32 v7, v6, v5
	v_add_u32_e32 v3, v0, v3
	v_add_u32_e32 v1, v0, v1
	v_cmp_lt_u32_e32 vcc, 16, v7
	v_lshl_add_u32 v6, v12, 2, v8
	s_waitcnt vmcnt(3)
	ds_write_b32 v4, v13
	s_waitcnt vmcnt(2)
	ds_write_b32 v3, v14
	;; [unrolled: 2-line block ×4, first 2 shown]
	s_waitcnt lgkmcnt(0)
	s_barrier
	s_and_saveexec_b64 s[2:3], vcc
	s_cbranch_execnz .LBB64_36
; %bb.22:
	s_or_b64 exec, exec, s[2:3]
	v_cmp_lt_u32_e32 vcc, 20, v7
	s_and_saveexec_b64 s[2:3], vcc
	s_cbranch_execnz .LBB64_37
.LBB64_23:
	s_or_b64 exec, exec, s[2:3]
	v_cmp_lt_u32_e32 vcc, 24, v7
	s_and_saveexec_b64 s[2:3], vcc
	s_cbranch_execnz .LBB64_38
.LBB64_24:
	s_or_b64 exec, exec, s[2:3]
	v_cmp_lt_u32_e32 vcc, 28, v7
	s_and_saveexec_b64 s[2:3], vcc
	s_cbranch_execz .LBB64_26
.LBB64_25:
	ds_read_b32 v5, v6 offset:112
	s_waitcnt lgkmcnt(0)
	ds_write_b32 v1, v5
.LBB64_26:
	s_or_b64 exec, exec, s[2:3]
	v_lshlrev_b32_e32 v5, 5, v12
	v_cmp_ge_u32_e32 vcc, v10, v12
	s_and_saveexec_b64 s[2:3], vcc
	s_cbranch_execz .LBB64_28
; %bb.27:
	ds_read_b32 v8, v6
	v_lshl_add_u32 v9, v5, 2, v0
	s_waitcnt lgkmcnt(0)
	ds_write_b32 v9, v8
.LBB64_28:
	s_or_b64 exec, exec, s[2:3]
	v_cmp_lt_u32_e32 vcc, 4, v7
	v_lshl_add_u32 v8, v12, 7, v0
	s_and_saveexec_b64 s[2:3], vcc
	s_cbranch_execz .LBB64_30
; %bb.29:
	ds_read_b32 v9, v6 offset:16
	s_waitcnt lgkmcnt(0)
	ds_write_b32 v8, v9 offset:512
.LBB64_30:
	s_or_b64 exec, exec, s[2:3]
	v_cmp_lt_u32_e32 vcc, 8, v7
	s_and_saveexec_b64 s[2:3], vcc
	s_cbranch_execz .LBB64_32
; %bb.31:
	ds_read_b32 v9, v6 offset:32
	s_waitcnt lgkmcnt(0)
	ds_write_b32 v8, v9 offset:1024
.LBB64_32:
	s_or_b64 exec, exec, s[2:3]
	v_cmp_lt_u32_e32 vcc, 12, v7
	v_mov_b32_e32 v7, 0x600
	v_lshl_add_u32 v7, v12, 7, v7
	v_add_u32_e32 v7, v0, v7
	s_and_saveexec_b64 s[2:3], vcc
	s_cbranch_execz .LBB64_34
; %bb.33:
	ds_read_b32 v6, v6 offset:48
	s_waitcnt lgkmcnt(0)
	ds_write_b32 v7, v6
.LBB64_34:
	s_or_b64 exec, exec, s[2:3]
	v_lshlrev_b32_e32 v6, 2, v12
	s_waitcnt lgkmcnt(0)
	s_barrier
	ds_read2st64_b32 v[14:15], v8 offset1:2
	v_add_u32_e32 v18, 0x1400, v6
	ds_read2_b32 v[12:13], v18 offset1:4
	ds_read2_b32 v[16:17], v18 offset0:8 offset1:12
	s_waitcnt lgkmcnt(1)
	v_pk_mul_f32 v[12:13], v[14:15], v[12:13]
	s_nop 0
	v_add_f32_e32 v6, 0, v12
	v_add_f32_e32 v14, v6, v13
	ds_read2_b32 v[12:13], v18 offset0:16 offset1:20
	ds_read_b32 v6, v8 offset:1024
	ds_read_b32 v7, v7
	ds_read_b32 v8, v4
	;; [unrolled: 1-line block ×5, first 2 shown]
	s_waitcnt lgkmcnt(4)
	v_pk_mul_f32 v[6:7], v[6:7], v[16:17]
	s_nop 0
	v_add_f32_e32 v1, v14, v6
	ds_read2_b32 v[14:15], v18 offset0:24 offset1:28
	v_add_f32_e32 v1, v1, v7
	s_waitcnt lgkmcnt(3)
	v_pk_mul_f32 v[6:7], v[8:9], v[12:13]
	s_waitcnt lgkmcnt(0)
	v_pk_mul_f32 v[2:3], v[2:3], v[14:15]
	v_add_f32_e32 v1, v1, v6
	v_add_f32_e32 v1, v1, v7
	;; [unrolled: 1-line block ×4, first 2 shown]
	v_add_lshl_u32 v2, v5, v10, 2
	ds_write_b32 v2, v1 offset:4096
	s_waitcnt lgkmcnt(0)
	s_barrier
	s_and_saveexec_b64 s[2:3], s[0:1]
	s_cbranch_execz .LBB64_9
; %bb.35:
	v_add_u32_e32 v2, 0x1000, v0
	ds_read2_b32 v[0:1], v2 offset1:32
	ds_read2_b32 v[2:3], v2 offset0:64 offset1:96
	v_cmp_neq_f32_e64 vcc, s24, 0
	s_waitcnt lgkmcnt(1)
	v_add_f32_e32 v0, 0, v0
	v_add_f32_e32 v0, v0, v1
	s_waitcnt lgkmcnt(0)
	v_add_f32_e32 v0, v0, v2
	v_add_f32_e32 v0, v0, v3
	v_mul_f32_e32 v1, s33, v0
	v_fmac_f32_e32 v11, s33, v0
	v_cndmask_b32_e32 v4, v1, v11, vcc
	v_mad_u64_u32 v[0:1], s[0:1], s6, v10, 0
	v_mov_b32_e32 v2, v1
	v_mad_u64_u32 v[2:3], s[0:1], s7, v10, v[2:3]
	v_mov_b32_e32 v1, v2
	v_lshl_add_u64 v[0:1], v[0:1], 2, s[4:5]
	global_store_dword v[0:1], v4, off
	s_endpgm
.LBB64_36:
	ds_read_b32 v5, v6 offset:64
	s_waitcnt lgkmcnt(0)
	ds_write_b32 v4, v5
	s_or_b64 exec, exec, s[2:3]
	v_cmp_lt_u32_e32 vcc, 20, v7
	s_and_saveexec_b64 s[2:3], vcc
	s_cbranch_execz .LBB64_23
.LBB64_37:
	ds_read_b32 v5, v6 offset:80
	s_waitcnt lgkmcnt(0)
	ds_write_b32 v3, v5
	s_or_b64 exec, exec, s[2:3]
	v_cmp_lt_u32_e32 vcc, 24, v7
	s_and_saveexec_b64 s[2:3], vcc
	s_cbranch_execz .LBB64_24
.LBB64_38:
	ds_read_b32 v5, v6 offset:96
	s_waitcnt lgkmcnt(0)
	ds_write_b32 v2, v5
	s_or_b64 exec, exec, s[2:3]
	v_cmp_lt_u32_e32 vcc, 28, v7
	s_and_saveexec_b64 s[2:3], vcc
	s_cbranch_execnz .LBB64_25
	s_branch .LBB64_26
	.section	.rodata,"a",@progbits
	.p2align	6, 0x0
	.amdhsa_kernel _ZL50rocblas_symv_kernel_upper_double_buffered_diagonalILi32ELi4E24rocblas_internal_val_ptrIfEPKfPfEvbiT1_lT2_lllS6_lllS5_lT3_llli
		.amdhsa_group_segment_fixed_size 5248
		.amdhsa_private_segment_fixed_size 0
		.amdhsa_kernarg_size 140
		.amdhsa_user_sgpr_count 2
		.amdhsa_user_sgpr_dispatch_ptr 0
		.amdhsa_user_sgpr_queue_ptr 0
		.amdhsa_user_sgpr_kernarg_segment_ptr 1
		.amdhsa_user_sgpr_dispatch_id 0
		.amdhsa_user_sgpr_kernarg_preload_length 0
		.amdhsa_user_sgpr_kernarg_preload_offset 0
		.amdhsa_user_sgpr_private_segment_size 0
		.amdhsa_uses_dynamic_stack 0
		.amdhsa_enable_private_segment 0
		.amdhsa_system_sgpr_workgroup_id_x 1
		.amdhsa_system_sgpr_workgroup_id_y 0
		.amdhsa_system_sgpr_workgroup_id_z 1
		.amdhsa_system_sgpr_workgroup_info 0
		.amdhsa_system_vgpr_workitem_id 1
		.amdhsa_next_free_vgpr 19
		.amdhsa_next_free_sgpr 34
		.amdhsa_accum_offset 20
		.amdhsa_reserve_vcc 1
		.amdhsa_float_round_mode_32 0
		.amdhsa_float_round_mode_16_64 0
		.amdhsa_float_denorm_mode_32 3
		.amdhsa_float_denorm_mode_16_64 3
		.amdhsa_dx10_clamp 1
		.amdhsa_ieee_mode 1
		.amdhsa_fp16_overflow 0
		.amdhsa_tg_split 0
		.amdhsa_exception_fp_ieee_invalid_op 0
		.amdhsa_exception_fp_denorm_src 0
		.amdhsa_exception_fp_ieee_div_zero 0
		.amdhsa_exception_fp_ieee_overflow 0
		.amdhsa_exception_fp_ieee_underflow 0
		.amdhsa_exception_fp_ieee_inexact 0
		.amdhsa_exception_int_div_zero 0
	.end_amdhsa_kernel
	.section	.text._ZL50rocblas_symv_kernel_upper_double_buffered_diagonalILi32ELi4E24rocblas_internal_val_ptrIfEPKfPfEvbiT1_lT2_lllS6_lllS5_lT3_llli,"axG",@progbits,_ZL50rocblas_symv_kernel_upper_double_buffered_diagonalILi32ELi4E24rocblas_internal_val_ptrIfEPKfPfEvbiT1_lT2_lllS6_lllS5_lT3_llli,comdat
.Lfunc_end64:
	.size	_ZL50rocblas_symv_kernel_upper_double_buffered_diagonalILi32ELi4E24rocblas_internal_val_ptrIfEPKfPfEvbiT1_lT2_lllS6_lllS5_lT3_llli, .Lfunc_end64-_ZL50rocblas_symv_kernel_upper_double_buffered_diagonalILi32ELi4E24rocblas_internal_val_ptrIfEPKfPfEvbiT1_lT2_lllS6_lllS5_lT3_llli
                                        ; -- End function
	.set _ZL50rocblas_symv_kernel_upper_double_buffered_diagonalILi32ELi4E24rocblas_internal_val_ptrIfEPKfPfEvbiT1_lT2_lllS6_lllS5_lT3_llli.num_vgpr, 19
	.set _ZL50rocblas_symv_kernel_upper_double_buffered_diagonalILi32ELi4E24rocblas_internal_val_ptrIfEPKfPfEvbiT1_lT2_lllS6_lllS5_lT3_llli.num_agpr, 0
	.set _ZL50rocblas_symv_kernel_upper_double_buffered_diagonalILi32ELi4E24rocblas_internal_val_ptrIfEPKfPfEvbiT1_lT2_lllS6_lllS5_lT3_llli.numbered_sgpr, 34
	.set _ZL50rocblas_symv_kernel_upper_double_buffered_diagonalILi32ELi4E24rocblas_internal_val_ptrIfEPKfPfEvbiT1_lT2_lllS6_lllS5_lT3_llli.num_named_barrier, 0
	.set _ZL50rocblas_symv_kernel_upper_double_buffered_diagonalILi32ELi4E24rocblas_internal_val_ptrIfEPKfPfEvbiT1_lT2_lllS6_lllS5_lT3_llli.private_seg_size, 0
	.set _ZL50rocblas_symv_kernel_upper_double_buffered_diagonalILi32ELi4E24rocblas_internal_val_ptrIfEPKfPfEvbiT1_lT2_lllS6_lllS5_lT3_llli.uses_vcc, 1
	.set _ZL50rocblas_symv_kernel_upper_double_buffered_diagonalILi32ELi4E24rocblas_internal_val_ptrIfEPKfPfEvbiT1_lT2_lllS6_lllS5_lT3_llli.uses_flat_scratch, 0
	.set _ZL50rocblas_symv_kernel_upper_double_buffered_diagonalILi32ELi4E24rocblas_internal_val_ptrIfEPKfPfEvbiT1_lT2_lllS6_lllS5_lT3_llli.has_dyn_sized_stack, 0
	.set _ZL50rocblas_symv_kernel_upper_double_buffered_diagonalILi32ELi4E24rocblas_internal_val_ptrIfEPKfPfEvbiT1_lT2_lllS6_lllS5_lT3_llli.has_recursion, 0
	.set _ZL50rocblas_symv_kernel_upper_double_buffered_diagonalILi32ELi4E24rocblas_internal_val_ptrIfEPKfPfEvbiT1_lT2_lllS6_lllS5_lT3_llli.has_indirect_call, 0
	.section	.AMDGPU.csdata,"",@progbits
; Kernel info:
; codeLenInByte = 1900
; TotalNumSgprs: 40
; NumVgprs: 19
; NumAgprs: 0
; TotalNumVgprs: 19
; ScratchSize: 0
; MemoryBound: 0
; FloatMode: 240
; IeeeMode: 1
; LDSByteSize: 5248 bytes/workgroup (compile time only)
; SGPRBlocks: 4
; VGPRBlocks: 2
; NumSGPRsForWavesPerEU: 40
; NumVGPRsForWavesPerEU: 19
; AccumOffset: 20
; Occupancy: 8
; WaveLimiterHint : 0
; COMPUTE_PGM_RSRC2:SCRATCH_EN: 0
; COMPUTE_PGM_RSRC2:USER_SGPR: 2
; COMPUTE_PGM_RSRC2:TRAP_HANDLER: 0
; COMPUTE_PGM_RSRC2:TGID_X_EN: 1
; COMPUTE_PGM_RSRC2:TGID_Y_EN: 0
; COMPUTE_PGM_RSRC2:TGID_Z_EN: 1
; COMPUTE_PGM_RSRC2:TIDIG_COMP_CNT: 1
; COMPUTE_PGM_RSRC3_GFX90A:ACCUM_OFFSET: 4
; COMPUTE_PGM_RSRC3_GFX90A:TG_SPLIT: 0
	.section	.text._ZL54rocblas_symv_kernel_upper_double_buffered_non_diagonalILi32ELi4ELi4E24rocblas_internal_val_ptrIfEPKfPfEvbiT2_lT3_lllS6_lllT4_llli,"axG",@progbits,_ZL54rocblas_symv_kernel_upper_double_buffered_non_diagonalILi32ELi4ELi4E24rocblas_internal_val_ptrIfEPKfPfEvbiT2_lT3_lllS6_lllT4_llli,comdat
	.globl	_ZL54rocblas_symv_kernel_upper_double_buffered_non_diagonalILi32ELi4ELi4E24rocblas_internal_val_ptrIfEPKfPfEvbiT2_lT3_lllS6_lllT4_llli ; -- Begin function _ZL54rocblas_symv_kernel_upper_double_buffered_non_diagonalILi32ELi4ELi4E24rocblas_internal_val_ptrIfEPKfPfEvbiT2_lT3_lllS6_lllT4_llli
	.p2align	8
	.type	_ZL54rocblas_symv_kernel_upper_double_buffered_non_diagonalILi32ELi4ELi4E24rocblas_internal_val_ptrIfEPKfPfEvbiT2_lT3_lllS6_lllT4_llli,@function
_ZL54rocblas_symv_kernel_upper_double_buffered_non_diagonalILi32ELi4ELi4E24rocblas_internal_val_ptrIfEPKfPfEvbiT2_lT3_lllS6_lllT4_llli: ; @_ZL54rocblas_symv_kernel_upper_double_buffered_non_diagonalILi32ELi4ELi4E24rocblas_internal_val_ptrIfEPKfPfEvbiT2_lT3_lllS6_lllT4_llli
; %bb.0:
	s_load_dword s5, s[0:1], 0x0
	s_load_dwordx16 s[8:23], s[0:1], 0x8
	s_waitcnt lgkmcnt(0)
	s_bitcmp0_b32 s5, 0
	s_cbranch_scc0 .LBB65_2
; %bb.1:
	s_mul_i32 s5, s11, s4
	s_mul_hi_u32 s6, s10, s4
	s_add_i32 s7, s6, s5
	s_mul_i32 s6, s10, s4
	s_lshl_b64 s[6:7], s[6:7], 2
	s_add_u32 s6, s8, s6
	s_addc_u32 s7, s9, s7
	s_load_dword s33, s[6:7], 0x0
	s_cbranch_execz .LBB65_3
	s_branch .LBB65_4
.LBB65_2:
                                        ; implicit-def: $sgpr33
.LBB65_3:
	s_waitcnt lgkmcnt(0)
	s_mov_b32 s33, s8
.LBB65_4:
	s_waitcnt lgkmcnt(0)
	v_cmp_eq_f32_e64 s[6:7], s33, 0
	s_and_b64 vcc, exec, s[6:7]
	s_cbranch_vccnz .LBB65_26
; %bb.5:
	s_load_dword s10, s[0:1], 0x84
	s_cmp_eq_u32 s2, 0
	s_waitcnt lgkmcnt(0)
	v_cvt_f32_u32_e32 v1, s10
	v_rcp_iflag_f32_e32 v1, v1
	s_nop 0
	v_mul_f32_e32 v1, 0x4f7ffffe, v1
	v_cvt_u32_f32_e32 v1, v1
	s_nop 0
	v_readfirstlane_b32 s5, v1
	s_cbranch_scc1 .LBB65_26
; %bb.6:
	s_load_dwordx4 s[24:27], s[0:1], 0x48
	s_sub_i32 s6, 0, s10
	s_mul_i32 s6, s6, s5
	s_mul_hi_u32 s6, s5, s6
	s_add_i32 s5, s5, s6
	s_mul_hi_u32 s11, s2, s5
	s_waitcnt lgkmcnt(0)
	s_mul_i32 s5, s27, s4
	s_mul_hi_u32 s6, s26, s4
	s_add_i32 s7, s6, s5
	s_mul_i32 s6, s26, s4
	s_lshl_b64 s[26:27], s[6:7], 2
	s_add_u32 s5, s20, s26
	s_addc_u32 s6, s21, s27
	s_lshl_b64 s[22:23], s[22:23], 2
	s_add_u32 s5, s5, s22
	s_addc_u32 s35, s6, s23
	v_and_b32_e32 v35, 0x3ff, v0
	v_bfe_u32 v0, v0, 10, 10
	s_lshl_b32 s6, s2, 5
	s_ashr_i32 s7, s6, 31
	v_cmp_eq_u32_e32 vcc, 0, v0
	s_and_saveexec_b64 s[8:9], vcc
	s_cbranch_execz .LBB65_8
; %bb.7:
	s_mul_i32 s28, s24, s7
	s_mul_hi_u32 s29, s24, s6
	s_add_i32 s28, s29, s28
	s_mul_i32 s29, s25, s6
	s_add_i32 s29, s28, s29
	s_mul_i32 s28, s24, s6
	v_mad_u64_u32 v[2:3], s[30:31], s24, v35, 0
	s_lshl_b64 s[28:29], s[28:29], 2
	v_mov_b32_e32 v4, v3
	s_add_u32 s28, s5, s28
	v_mad_u64_u32 v[4:5], s[30:31], s25, v35, v[4:5]
	s_addc_u32 s29, s35, s29
	v_mov_b32_e32 v3, v4
	v_lshl_add_u64 v[2:3], v[2:3], 2, s[28:29]
	global_load_dword v1, v[2:3], off
	v_lshlrev_b32_e32 v2, 2, v35
	s_waitcnt vmcnt(0)
	ds_write_b32 v2, v1 offset:3072
.LBB65_8:
	s_or_b64 exec, exec, s[8:9]
	s_mul_i32 s8, s11, s10
	s_sub_i32 s8, s2, s8
	s_add_i32 s9, s11, 1
	s_sub_i32 s28, s8, s10
	s_cmp_ge_u32 s8, s10
	s_cselect_b32 s9, s9, s11
	s_cselect_b32 s8, s28, s8
	s_add_i32 s11, s9, 1
	s_cmp_ge_u32 s8, s10
	s_cselect_b32 s28, s11, s9
	s_add_i32 s8, s10, -1
	s_cmp_lg_u32 s3, s8
	s_mov_b32 s42, s28
	s_cbranch_scc1 .LBB65_10
; %bb.9:
	s_mul_i32 s8, s28, s10
	s_sub_i32 s2, s2, s8
	s_add_i32 s42, s2, s28
.LBB65_10:
	s_cmp_eq_u32 s42, 0
	s_cbranch_scc1 .LBB65_26
; %bb.11:
	s_load_dwordx2 s[30:31], s[0:1], 0x70
	s_load_dwordx2 s[36:37], s[0:1], 0x58
	s_load_dwordx4 s[8:11], s[0:1], 0x60
	v_lshl_add_u32 v2, v0, 5, v35
	v_and_b32_e32 v10, 15, v35
	s_waitcnt lgkmcnt(0)
	s_mul_i32 s1, s31, s4
	s_mul_hi_u32 s2, s30, s4
	s_mul_i32 s0, s30, s4
	s_add_i32 s1, s2, s1
	s_lshl_b64 s[0:1], s[0:1], 2
	s_add_u32 s2, s36, s0
	s_addc_u32 s29, s37, s1
	s_lshl_b64 s[0:1], s[8:9], 2
	s_add_u32 s38, s2, s0
	s_addc_u32 s39, s29, s1
	v_lshrrev_b32_e32 v38, 4, v2
	s_cmp_lt_i32 s42, 1
	s_barrier
	s_cbranch_scc1 .LBB65_18
; %bb.12:
	s_mul_i32 s3, s3, s28
	s_mul_i32 s0, s19, s4
	s_mul_hi_u32 s1, s18, s4
	s_lshl_b32 s8, s3, 5
	s_add_i32 s1, s1, s0
	s_mul_i32 s0, s18, s4
	s_ashr_i32 s9, s8, 31
	s_lshl_b64 s[28:29], s[0:1], 2
	s_add_u32 s0, s12, s28
	s_addc_u32 s1, s13, s29
	s_lshl_b64 s[30:31], s[14:15], 2
	s_add_u32 s2, s0, s30
	s_addc_u32 s3, s1, s31
	s_mul_i32 s0, s16, s7
	s_mul_hi_u32 s1, s16, s6
	s_add_i32 s0, s1, s0
	s_mul_i32 s1, s17, s6
	s_add_i32 s1, s0, s1
	s_mul_i32 s0, s16, s6
	s_lshl_b64 s[0:1], s[0:1], 2
	s_add_u32 s40, s2, s0
	v_lshlrev_b32_e32 v1, 2, v38
	v_mov_b32_e32 v11, 0
	s_addc_u32 s41, s3, s1
	v_mad_u64_u32 v[14:15], s[0:1], s16, v1, v[10:11]
	s_lshl_b64 s[2:3], s[8:9], 2
	v_mov_b32_e32 v0, v15
	s_add_u32 s14, s40, s2
	v_mad_u64_u32 v[0:1], s[0:1], s17, v1, v[0:1]
	s_addc_u32 s15, s41, s3
	v_mov_b32_e32 v15, v0
	v_lshl_add_u64 v[4:5], v[14:15], 2, s[14:15]
	s_lshl_b64 s[0:1], s[16:17], 2
	v_lshl_add_u64 v[8:9], v[4:5], 0, s[0:1]
	v_lshl_add_u64 v[12:13], v[8:9], 0, s[0:1]
	;; [unrolled: 1-line block ×3, first 2 shown]
	global_load_dword v0, v[4:5], off
	global_load_dword v1, v[8:9], off
	;; [unrolled: 1-line block ×4, first 2 shown]
	v_mad_u64_u32 v[4:5], s[18:19], s24, v10, 0
	v_mov_b32_e32 v6, v5
	s_mul_i32 s4, s10, s9
	v_lshlrev_b32_e32 v41, 7, v38
	s_waitcnt vmcnt(1)
	v_mad_u64_u32 v[8:9], s[18:19], s25, v10, v[6:7]
	s_mul_hi_u32 s18, s10, s8
	s_add_i32 s4, s18, s4
	s_mul_i32 s18, s11, s8
	s_add_i32 s19, s4, s18
	s_mul_i32 s18, s10, s8
	s_lshl_b64 s[18:19], s[18:19], 2
	s_add_u32 s18, s38, s18
	s_mul_i32 s4, s24, s9
	s_mul_hi_u32 s9, s24, s8
	s_addc_u32 s19, s39, s19
	s_add_i32 s4, s9, s4
	s_mul_i32 s9, s25, s8
	s_add_i32 s9, s4, s9
	s_mul_i32 s8, s24, s8
	s_lshl_b64 s[36:37], s[8:9], 2
	s_add_u32 s34, s5, s36
	v_mov_b32_e32 v5, v8
	s_addc_u32 s35, s35, s37
	v_lshl_add_u64 v[4:5], v[4:5], 2, s[34:35]
	global_load_dword v6, v[4:5], off
	v_mov_b32_e32 v4, 0x800
	v_mad_u64_u32 v[12:13], s[4:5], s10, v35, 0
	v_lshl_or_b32 v40, v10, 2, v4
	v_mov_b32_e32 v5, 0xc00
	v_lshl_add_u32 v39, v35, 2, v4
	v_mov_b32_e32 v4, v13
	v_lshl_add_u32 v42, v38, 4, v5
	v_mad_u64_u32 v[4:5], s[4:5], s11, v35, v[4:5]
	v_mov_b32_e32 v13, v4
	s_cmp_eq_u32 s42, 1
	s_cbranch_scc1 .LBB65_19
; %bb.13:
	s_lshl_b64 s[4:5], s[24:25], 7
	s_lshl_b64 s[8:9], s[10:11], 7
	s_add_i32 s42, s42, -1
	s_add_u32 s14, s30, s28
	v_and_b32_e32 v16, 0xfff0, v2
	v_mov_b32_e32 v17, 0
	s_addc_u32 s15, s31, s29
	v_lshl_add_u64 v[4:5], s[6:7], 2, v[16:17]
	v_mov_b64_e32 v[18:19], s[14:15]
	v_mad_u64_u32 v[8:9], s[14:15], s16, v4, v[18:19]
	v_mul_lo_u32 v2, s16, v5
	v_mul_lo_u32 v11, s17, v4
	v_lshl_add_u64 v[20:21], v[4:5], 0, 8
	v_add3_u32 v9, v11, v9, v2
	v_mad_u64_u32 v[22:23], s[14:15], s16, v20, v[18:19]
	v_mul_lo_u32 v2, s16, v21
	v_mul_lo_u32 v11, s17, v20
	v_lshlrev_b32_e32 v16, 2, v10
	v_add3_u32 v23, v11, v23, v2
	v_lshl_add_u64 v[20:21], v[22:23], 0, v[16:17]
	v_lshl_add_u64 v[22:23], s[12:13], 0, v[20:21]
	;; [unrolled: 1-line block ×3, first 2 shown]
	v_mad_u64_u32 v[24:25], s[14:15], s16, v20, v[18:19]
	v_mul_lo_u32 v2, s16, v21
	v_mul_lo_u32 v11, s17, v20
	v_lshl_add_u64 v[4:5], v[4:5], 0, 4
	v_add3_u32 v25, v11, v25, v2
	v_mad_u64_u32 v[18:19], s[14:15], s16, v4, v[18:19]
	v_mul_lo_u32 v2, s16, v5
	v_mul_lo_u32 v4, s17, v4
	v_add3_u32 v19, v4, v19, v2
	v_lshl_add_u64 v[8:9], v[8:9], 0, v[16:17]
	v_lshl_add_u64 v[20:21], v[24:25], 0, v[16:17]
	;; [unrolled: 1-line block ×6, first 2 shown]
	s_add_u32 s12, s20, s26
	v_lshl_add_u64 v[4:5], s[2:3], 0, v[16:17]
	s_addc_u32 s13, s21, s27
	v_lshl_add_u64 v[18:19], v[4:5], 0, 64
	v_mov_b64_e32 v[20:21], s[12:13]
	v_mad_u64_u32 v[28:29], s[12:13], s24, v18, v[20:21]
	s_add_u32 s12, s36, s26
	s_addc_u32 s13, s37, s27
	s_add_u32 s20, s20, s12
	s_addc_u32 s21, s21, s13
	s_mov_b64 s[12:13], 0x80
	v_mul_lo_u32 v2, s24, v19
	v_mul_lo_u32 v11, s25, v18
	v_lshl_add_u64 v[4:5], v[4:5], 0, s[12:13]
	v_add3_u32 v29, v11, v29, v2
	v_mul_lo_u32 v2, s24, v5
	v_mul_lo_u32 v5, s25, v4
	v_mad_u64_u32 v[30:31], s[14:15], s24, v4, v[20:21]
	v_add3_u32 v31, v5, v31, v2
	v_mov_b64_e32 v[18:19], s[18:19]
	v_mov_b32_e32 v16, v17
	v_mov_b32_e32 v20, v17
	;; [unrolled: 1-line block ×3, first 2 shown]
.LBB65_14:                              ; =>This Inner Loop Header: Depth=1
	v_lshl_add_u64 v[44:45], v[8:9], 0, s[2:3]
	global_load_dword v36, v[44:45], off offset:64
	v_lshl_add_u64 v[46:47], v[26:27], 0, s[2:3]
	global_load_dword v37, v[46:47], off offset:64
	v_lshl_add_u64 v[48:49], v[22:23], 0, s[2:3]
	s_waitcnt vmcnt(3)
	v_mov_b32_e32 v32, v3
	v_lshl_add_u64 v[2:3], v[28:29], 0, s[22:23]
	global_load_dword v11, v[48:49], off offset:64
	v_lshl_add_u64 v[50:51], v[24:25], 0, s[2:3]
	global_load_dword v34, v[2:3], off
	global_load_dword v33, v[50:51], off offset:64
	global_load_dword v4, v[44:45], off offset:128
	;; [unrolled: 1-line block ×4, first 2 shown]
	s_nop 0
	global_load_dword v3, v[50:51], off offset:128
	v_lshl_add_u64 v[44:45], v[30:31], 0, s[22:23]
	global_load_dword v2, v[44:45], off
	ds_read_b128 v[44:47], v42
	v_add_u32_e32 v48, v40, v41
	s_waitcnt lgkmcnt(0)
	s_barrier
	v_fma_f32 v49, v0, v44, 0
	v_fmac_f32_e32 v49, v1, v45
	v_fmac_f32_e32 v49, v7, v46
	;; [unrolled: 1-line block ×3, first 2 shown]
	s_waitcnt vmcnt(9)
	v_fma_f32 v44, v36, v44, 0
	s_waitcnt vmcnt(8)
	v_fmac_f32_e32 v44, v37, v45
	s_waitcnt vmcnt(7)
	v_fmac_f32_e32 v44, v11, v46
	;; [unrolled: 2-line block ×3, first 2 shown]
	ds_write2_b32 v48, v49, v44 offset1:16
	s_waitcnt lgkmcnt(0)
	s_barrier
	s_and_saveexec_b64 s[14:15], vcc
	s_cbranch_execz .LBB65_16
; %bb.15:                               ;   in Loop: Header=BB65_14 Depth=1
	ds_read2_b32 v[44:45], v39 offset1:32
	ds_read2_b32 v[46:47], v39 offset0:64 offset1:96
	ds_read2_b32 v[48:49], v39 offset0:128 offset1:160
	;; [unrolled: 1-line block ×3, first 2 shown]
	s_waitcnt lgkmcnt(3)
	v_add_f32_e32 v44, 0, v44
	v_add_f32_e32 v44, v44, v45
	s_waitcnt lgkmcnt(2)
	v_add_f32_e32 v44, v44, v46
	v_add_f32_e32 v44, v44, v47
	;; [unrolled: 3-line block ×4, first 2 shown]
	v_lshl_add_u64 v[44:45], v[12:13], 2, v[18:19]
	v_mul_f32_e32 v46, s33, v46
	global_atomic_add_f32 v[44:45], v46, off
	v_lshl_add_u64 v[18:19], v[18:19], 0, s[8:9]
.LBB65_16:                              ;   in Loop: Header=BB65_14 Depth=1
	s_or_b64 exec, exec, s[14:15]
	s_add_i32 s42, s42, -1
	s_add_u32 s40, s40, 0x80
	s_addc_u32 s41, s41, 0
	s_add_u32 s20, s20, s4
	s_addc_u32 s21, s21, s5
	v_mul_f32_e32 v44, v6, v7
	v_mov_b32_e32 v7, v34
	s_add_u32 s34, s20, s22
	v_pk_mul_f32 v[32:33], v[6:7], v[32:33]
	s_addc_u32 s35, s21, s23
	v_mov_b32_e32 v45, v32
	s_add_u32 s14, s40, s2
	v_mul_f32_e32 v46, v34, v11
	v_mov_b32_e32 v47, v33
	v_pk_fma_f32 v[0:1], v[6:7], v[0:1], v[16:17] op_sel_hi:[0,1,1]
	v_pk_add_f32 v[6:7], v[20:21], v[44:45]
	s_addc_u32 s15, s41, s3
	v_pk_add_f32 v[20:21], v[6:7], v[46:47]
	v_pk_fma_f32 v[16:17], v[34:35], v[36:37], v[0:1] op_sel_hi:[0,1,1]
	v_lshl_add_u64 v[8:9], v[8:9], 0, s[12:13]
	v_lshl_add_u64 v[22:23], v[22:23], 0, s[12:13]
	;; [unrolled: 1-line block ×5, first 2 shown]
	s_cmp_eq_u32 s42, 0
	v_lshl_add_u64 v[30:31], v[30:31], 0, s[4:5]
	s_cbranch_scc1 .LBB65_20
; %bb.17:                               ;   in Loop: Header=BB65_14 Depth=1
	s_waitcnt vmcnt(0)
	v_mov_b32_e32 v6, v2
	v_mov_b32_e32 v0, v4
	;; [unrolled: 1-line block ×4, first 2 shown]
	s_branch .LBB65_14
.LBB65_18:
	v_mov_b32_e32 v1, 0
	v_mov_b32_e32 v0, v1
	v_mov_b32_e32 v3, v1
	v_mov_b32_e32 v2, v1
	s_branch .LBB65_24
.LBB65_19:
	s_waitcnt vmcnt(0)
	v_mov_b32_e32 v2, v6
	v_mov_b32_e32 v43, v7
	v_mov_b64_e32 v[8:9], v[2:3]
	v_mov_b64_e32 v[18:19], s[18:19]
	v_mov_b32_e32 v5, v1
	v_mov_b32_e32 v4, v0
	;; [unrolled: 1-line block ×6, first 2 shown]
	v_mov_b64_e32 v[6:7], v[0:1]
	s_branch .LBB65_21
.LBB65_20:
	s_waitcnt vmcnt(1)
	v_mov_b32_e32 v7, v3
	v_mov_b64_e32 v[8:9], v[6:7]
	v_mov_b64_e32 v[6:7], v[4:5]
.LBB65_21:
	v_or_b32_e32 v11, 16, v10
	v_lshl_add_u64 v[14:15], v[14:15], 2, s[14:15]
	v_mad_u64_u32 v[0:1], s[2:3], s24, v11, 0
	v_lshl_add_u64 v[22:23], s[16:17], 2, v[14:15]
	v_mov_b32_e32 v8, v1
	v_lshl_add_u64 v[24:25], v[22:23], 0, s[0:1]
	v_lshl_add_u64 v[26:27], v[24:25], 0, s[0:1]
	global_load_dword v28, v[14:15], off offset:64
	global_load_dword v29, v[22:23], off offset:64
	;; [unrolled: 1-line block ×4, first 2 shown]
	v_mad_u64_u32 v[14:15], s[0:1], s25, v11, v[8:9]
	v_mov_b32_e32 v1, v14
	v_lshl_add_u64 v[0:1], v[0:1], 2, s[34:35]
	global_load_dword v0, v[0:1], off
	ds_read_b128 v[22:25], v42
	v_add_u32_e32 v1, v40, v41
	v_mov_b32_e32 v30, v9
	s_waitcnt lgkmcnt(0)
	s_barrier
	v_fma_f32 v4, v4, v22, 0
	v_fmac_f32_e32 v4, v5, v23
	v_fmac_f32_e32 v4, v43, v24
	v_fmac_f32_e32 v4, v3, v25
	s_waitcnt vmcnt(5)
	v_mul_f32_e32 v8, v2, v43
	s_waitcnt vmcnt(4)
	v_fma_f32 v3, v28, v22, 0
	s_waitcnt vmcnt(3)
	v_fmac_f32_e32 v3, v29, v23
	s_waitcnt vmcnt(2)
	v_fmac_f32_e32 v3, v32, v24
	;; [unrolled: 2-line block ×3, first 2 shown]
	ds_write2_b32 v1, v4, v3 offset1:16
	s_waitcnt lgkmcnt(0)
	s_barrier
	s_waitcnt vmcnt(0)
	v_mov_b32_e32 v3, v0
	v_pk_mul_f32 v[14:15], v[2:3], v[30:31]
	v_pk_fma_f32 v[2:3], v[2:3], v[6:7], v[16:17] op_sel_hi:[0,1,1]
	v_mov_b32_e32 v9, v14
	v_mul_f32_e32 v4, v0, v32
	v_mov_b32_e32 v5, v15
	v_pk_fma_f32 v[2:3], v[0:1], v[28:29], v[2:3] op_sel_hi:[0,1,1]
	v_pk_add_f32 v[0:1], v[20:21], v[8:9]
	s_nop 0
	v_pk_add_f32 v[0:1], v[0:1], v[4:5]
	s_and_saveexec_b64 s[0:1], vcc
	s_cbranch_execz .LBB65_23
; %bb.22:
	ds_read2_b32 v[4:5], v39 offset1:32
	ds_read2_b32 v[6:7], v39 offset0:64 offset1:96
	ds_read2_b32 v[8:9], v39 offset0:128 offset1:160
	;; [unrolled: 1-line block ×3, first 2 shown]
	s_waitcnt lgkmcnt(3)
	v_add_f32_e32 v4, 0, v4
	v_add_f32_e32 v4, v4, v5
	s_waitcnt lgkmcnt(2)
	v_add_f32_e32 v4, v4, v6
	v_add_f32_e32 v4, v4, v7
	;; [unrolled: 3-line block ×4, first 2 shown]
	v_lshl_add_u64 v[4:5], v[12:13], 2, v[18:19]
	v_mul_f32_e32 v6, s33, v6
	global_atomic_add_f32 v[4:5], v6, off
.LBB65_23:
	s_or_b64 exec, exec, s[0:1]
.LBB65_24:
	v_lshlrev_b32_e32 v4, 8, v38
	v_lshl_or_b32 v4, v10, 2, v4
	ds_write2_b32 v4, v2, v3 offset1:16
	ds_write2_b32 v4, v0, v1 offset0:32 offset1:48
	s_waitcnt lgkmcnt(0)
	s_barrier
	s_and_saveexec_b64 s[0:1], vcc
	s_cbranch_execz .LBB65_26
; %bb.25:
	v_add_u32_e32 v2, 1, v35
	v_add_u32_e32 v3, 2, v35
	;; [unrolled: 1-line block ×7, first 2 shown]
	v_lshlrev_b32_e32 v0, 6, v35
	v_and_b32_e32 v2, 15, v2
	v_and_b32_e32 v3, 15, v3
	;; [unrolled: 1-line block ×7, first 2 shown]
	v_lshl_or_b32 v1, v10, 2, v0
	v_lshl_or_b32 v2, v2, 2, v0
	;; [unrolled: 1-line block ×8, first 2 shown]
	ds_read_b32 v1, v1
	ds_read_b32 v2, v2
	;; [unrolled: 1-line block ×8, first 2 shown]
	s_waitcnt lgkmcnt(7)
	v_add_f32_e32 v1, 0, v1
	s_waitcnt lgkmcnt(6)
	v_add_f32_e32 v1, v1, v2
	;; [unrolled: 2-line block ×8, first 2 shown]
	v_add_u32_e32 v3, 9, v35
	v_add_u32_e32 v4, 10, v35
	;; [unrolled: 1-line block ×6, first 2 shown]
	v_add_u32_e32 v9, -1, v35
	v_xor_b32_e32 v2, 8, v10
	v_and_b32_e32 v3, 15, v3
	v_and_b32_e32 v4, 15, v4
	;; [unrolled: 1-line block ×7, first 2 shown]
	v_lshl_or_b32 v2, v2, 2, v0
	v_lshl_or_b32 v3, v3, 2, v0
	;; [unrolled: 1-line block ×8, first 2 shown]
	ds_read_b32 v2, v2
	ds_read_b32 v3, v3
	;; [unrolled: 1-line block ×8, first 2 shown]
	s_waitcnt lgkmcnt(7)
	v_add_f32_e32 v1, v1, v2
	s_waitcnt lgkmcnt(6)
	v_add_f32_e32 v1, v1, v3
	;; [unrolled: 2-line block ×5, first 2 shown]
	s_mul_i32 s0, s10, s7
	s_mul_hi_u32 s1, s10, s6
	s_waitcnt lgkmcnt(2)
	v_add_f32_e32 v1, v1, v7
	s_add_i32 s0, s1, s0
	s_mul_i32 s1, s11, s6
	s_waitcnt lgkmcnt(1)
	v_add_f32_e32 v1, v1, v8
	s_add_i32 s1, s0, s1
	s_mul_i32 s0, s10, s6
	s_waitcnt lgkmcnt(0)
	v_add_f32_e32 v4, v1, v0
	v_mad_u64_u32 v[0:1], s[2:3], s10, v35, 0
	s_lshl_b64 s[0:1], s[0:1], 2
	v_mov_b32_e32 v2, v1
	s_add_u32 s0, s38, s0
	v_mad_u64_u32 v[2:3], s[2:3], s11, v35, v[2:3]
	s_addc_u32 s1, s39, s1
	v_mov_b32_e32 v1, v2
	v_lshl_add_u64 v[0:1], v[0:1], 2, s[0:1]
	v_mul_f32_e32 v2, s33, v4
	global_atomic_add_f32 v[0:1], v2, off
.LBB65_26:
	s_endpgm
	.section	.rodata,"a",@progbits
	.p2align	6, 0x0
	.amdhsa_kernel _ZL54rocblas_symv_kernel_upper_double_buffered_non_diagonalILi32ELi4ELi4E24rocblas_internal_val_ptrIfEPKfPfEvbiT2_lT3_lllS6_lllT4_llli
		.amdhsa_group_segment_fixed_size 3200
		.amdhsa_private_segment_fixed_size 0
		.amdhsa_kernarg_size 384
		.amdhsa_user_sgpr_count 2
		.amdhsa_user_sgpr_dispatch_ptr 0
		.amdhsa_user_sgpr_queue_ptr 0
		.amdhsa_user_sgpr_kernarg_segment_ptr 1
		.amdhsa_user_sgpr_dispatch_id 0
		.amdhsa_user_sgpr_kernarg_preload_length 0
		.amdhsa_user_sgpr_kernarg_preload_offset 0
		.amdhsa_user_sgpr_private_segment_size 0
		.amdhsa_uses_dynamic_stack 0
		.amdhsa_enable_private_segment 0
		.amdhsa_system_sgpr_workgroup_id_x 1
		.amdhsa_system_sgpr_workgroup_id_y 1
		.amdhsa_system_sgpr_workgroup_id_z 1
		.amdhsa_system_sgpr_workgroup_info 0
		.amdhsa_system_vgpr_workitem_id 1
		.amdhsa_next_free_vgpr 52
		.amdhsa_next_free_sgpr 43
		.amdhsa_accum_offset 52
		.amdhsa_reserve_vcc 1
		.amdhsa_float_round_mode_32 0
		.amdhsa_float_round_mode_16_64 0
		.amdhsa_float_denorm_mode_32 3
		.amdhsa_float_denorm_mode_16_64 3
		.amdhsa_dx10_clamp 1
		.amdhsa_ieee_mode 1
		.amdhsa_fp16_overflow 0
		.amdhsa_tg_split 0
		.amdhsa_exception_fp_ieee_invalid_op 0
		.amdhsa_exception_fp_denorm_src 0
		.amdhsa_exception_fp_ieee_div_zero 0
		.amdhsa_exception_fp_ieee_overflow 0
		.amdhsa_exception_fp_ieee_underflow 0
		.amdhsa_exception_fp_ieee_inexact 0
		.amdhsa_exception_int_div_zero 0
	.end_amdhsa_kernel
	.section	.text._ZL54rocblas_symv_kernel_upper_double_buffered_non_diagonalILi32ELi4ELi4E24rocblas_internal_val_ptrIfEPKfPfEvbiT2_lT3_lllS6_lllT4_llli,"axG",@progbits,_ZL54rocblas_symv_kernel_upper_double_buffered_non_diagonalILi32ELi4ELi4E24rocblas_internal_val_ptrIfEPKfPfEvbiT2_lT3_lllS6_lllT4_llli,comdat
.Lfunc_end65:
	.size	_ZL54rocblas_symv_kernel_upper_double_buffered_non_diagonalILi32ELi4ELi4E24rocblas_internal_val_ptrIfEPKfPfEvbiT2_lT3_lllS6_lllT4_llli, .Lfunc_end65-_ZL54rocblas_symv_kernel_upper_double_buffered_non_diagonalILi32ELi4ELi4E24rocblas_internal_val_ptrIfEPKfPfEvbiT2_lT3_lllS6_lllT4_llli
                                        ; -- End function
	.set _ZL54rocblas_symv_kernel_upper_double_buffered_non_diagonalILi32ELi4ELi4E24rocblas_internal_val_ptrIfEPKfPfEvbiT2_lT3_lllS6_lllT4_llli.num_vgpr, 52
	.set _ZL54rocblas_symv_kernel_upper_double_buffered_non_diagonalILi32ELi4ELi4E24rocblas_internal_val_ptrIfEPKfPfEvbiT2_lT3_lllS6_lllT4_llli.num_agpr, 0
	.set _ZL54rocblas_symv_kernel_upper_double_buffered_non_diagonalILi32ELi4ELi4E24rocblas_internal_val_ptrIfEPKfPfEvbiT2_lT3_lllS6_lllT4_llli.numbered_sgpr, 43
	.set _ZL54rocblas_symv_kernel_upper_double_buffered_non_diagonalILi32ELi4ELi4E24rocblas_internal_val_ptrIfEPKfPfEvbiT2_lT3_lllS6_lllT4_llli.num_named_barrier, 0
	.set _ZL54rocblas_symv_kernel_upper_double_buffered_non_diagonalILi32ELi4ELi4E24rocblas_internal_val_ptrIfEPKfPfEvbiT2_lT3_lllS6_lllT4_llli.private_seg_size, 0
	.set _ZL54rocblas_symv_kernel_upper_double_buffered_non_diagonalILi32ELi4ELi4E24rocblas_internal_val_ptrIfEPKfPfEvbiT2_lT3_lllS6_lllT4_llli.uses_vcc, 1
	.set _ZL54rocblas_symv_kernel_upper_double_buffered_non_diagonalILi32ELi4ELi4E24rocblas_internal_val_ptrIfEPKfPfEvbiT2_lT3_lllS6_lllT4_llli.uses_flat_scratch, 0
	.set _ZL54rocblas_symv_kernel_upper_double_buffered_non_diagonalILi32ELi4ELi4E24rocblas_internal_val_ptrIfEPKfPfEvbiT2_lT3_lllS6_lllT4_llli.has_dyn_sized_stack, 0
	.set _ZL54rocblas_symv_kernel_upper_double_buffered_non_diagonalILi32ELi4ELi4E24rocblas_internal_val_ptrIfEPKfPfEvbiT2_lT3_lllS6_lllT4_llli.has_recursion, 0
	.set _ZL54rocblas_symv_kernel_upper_double_buffered_non_diagonalILi32ELi4ELi4E24rocblas_internal_val_ptrIfEPKfPfEvbiT2_lT3_lllS6_lllT4_llli.has_indirect_call, 0
	.section	.AMDGPU.csdata,"",@progbits
; Kernel info:
; codeLenInByte = 2964
; TotalNumSgprs: 49
; NumVgprs: 52
; NumAgprs: 0
; TotalNumVgprs: 52
; ScratchSize: 0
; MemoryBound: 0
; FloatMode: 240
; IeeeMode: 1
; LDSByteSize: 3200 bytes/workgroup (compile time only)
; SGPRBlocks: 6
; VGPRBlocks: 6
; NumSGPRsForWavesPerEU: 49
; NumVGPRsForWavesPerEU: 52
; AccumOffset: 52
; Occupancy: 8
; WaveLimiterHint : 0
; COMPUTE_PGM_RSRC2:SCRATCH_EN: 0
; COMPUTE_PGM_RSRC2:USER_SGPR: 2
; COMPUTE_PGM_RSRC2:TRAP_HANDLER: 0
; COMPUTE_PGM_RSRC2:TGID_X_EN: 1
; COMPUTE_PGM_RSRC2:TGID_Y_EN: 1
; COMPUTE_PGM_RSRC2:TGID_Z_EN: 1
; COMPUTE_PGM_RSRC2:TIDIG_COMP_CNT: 1
; COMPUTE_PGM_RSRC3_GFX90A:ACCUM_OFFSET: 12
; COMPUTE_PGM_RSRC3_GFX90A:TG_SPLIT: 0
	.section	.text._ZL58rocblas_symv_kernel_upper_double_buffered_diagonal_genericILi32ELi8E24rocblas_internal_val_ptrIfEPKfPfEvbiT1_lT2_lllS6_lllS5_lT3_lllii,"axG",@progbits,_ZL58rocblas_symv_kernel_upper_double_buffered_diagonal_genericILi32ELi8E24rocblas_internal_val_ptrIfEPKfPfEvbiT1_lT2_lllS6_lllS5_lT3_lllii,comdat
	.globl	_ZL58rocblas_symv_kernel_upper_double_buffered_diagonal_genericILi32ELi8E24rocblas_internal_val_ptrIfEPKfPfEvbiT1_lT2_lllS6_lllS5_lT3_lllii ; -- Begin function _ZL58rocblas_symv_kernel_upper_double_buffered_diagonal_genericILi32ELi8E24rocblas_internal_val_ptrIfEPKfPfEvbiT1_lT2_lllS6_lllS5_lT3_lllii
	.p2align	8
	.type	_ZL58rocblas_symv_kernel_upper_double_buffered_diagonal_genericILi32ELi8E24rocblas_internal_val_ptrIfEPKfPfEvbiT1_lT2_lllS6_lllS5_lT3_lllii,@function
_ZL58rocblas_symv_kernel_upper_double_buffered_diagonal_genericILi32ELi8E24rocblas_internal_val_ptrIfEPKfPfEvbiT1_lT2_lllS6_lllS5_lT3_lllii: ; @_ZL58rocblas_symv_kernel_upper_double_buffered_diagonal_genericILi32ELi8E24rocblas_internal_val_ptrIfEPKfPfEvbiT1_lT2_lllS6_lllS5_lT3_lllii
; %bb.0:
	s_load_dword s20, s[0:1], 0x0
	s_load_dwordx16 s[4:19], s[0:1], 0x8
	s_mov_b64 s[30:31], -1
                                        ; implicit-def: $sgpr33
	s_waitcnt lgkmcnt(0)
	s_bitcmp1_b32 s20, 0
	s_cselect_b64 s[20:21], -1, 0
	s_xor_b64 s[28:29], s[20:21], -1
	s_and_b64 vcc, exec, s[28:29]
	s_cbranch_vccnz .LBB66_13
; %bb.1:
	s_load_dwordx8 s[20:27], s[0:1], 0x48
	s_andn2_b64 vcc, exec, s[30:31]
	s_cbranch_vccz .LBB66_14
.LBB66_2:
	s_andn2_b64 vcc, exec, s[28:29]
	s_cbranch_vccnz .LBB66_4
.LBB66_3:
	s_waitcnt lgkmcnt(0)
	s_mul_i32 s4, s27, s3
	s_mul_hi_u32 s5, s26, s3
	s_add_i32 s5, s5, s4
	s_mul_i32 s4, s26, s3
	s_lshl_b64 s[4:5], s[4:5], 2
	s_add_u32 s4, s24, s4
	s_addc_u32 s5, s25, s5
	s_load_dword s24, s[4:5], 0x0
.LBB66_4:
	s_waitcnt lgkmcnt(0)
	v_cmp_eq_f32_e64 s[4:5], s33, 0
	v_cmp_eq_f32_e64 s[6:7], s24, 1.0
	s_and_b64 s[4:5], s[4:5], s[6:7]
	s_and_b64 vcc, exec, s[4:5]
	s_cbranch_vccnz .LBB66_12
; %bb.5:
	s_load_dwordx2 s[4:5], s[0:1], 0x80
	s_load_dwordx2 s[6:7], s[0:1], 0x68
	s_load_dwordx4 s[28:31], s[0:1], 0x70
	s_load_dword s25, s[0:1], 0x88
	v_bfe_u32 v7, v0, 10, 10
	s_waitcnt lgkmcnt(0)
	s_mul_i32 s5, s5, s3
	s_mul_hi_u32 s26, s4, s3
	s_add_i32 s5, s26, s5
	s_mul_i32 s4, s4, s3
	s_lshl_b64 s[4:5], s[4:5], 2
	s_add_u32 s6, s6, s4
	s_addc_u32 s7, s7, s5
	s_lshl_b64 s[4:5], s[28:29], 2
	s_add_u32 s6, s6, s4
	s_addc_u32 s7, s7, s5
	s_lshl_b32 s38, s2, 5
	s_ashr_i32 s39, s38, 31
	s_mul_i32 s4, s30, s39
	s_mul_hi_u32 s5, s30, s38
	s_add_i32 s4, s5, s4
	s_mul_i32 s5, s31, s38
	s_add_i32 s5, s4, s5
	s_mul_i32 s4, s30, s38
	s_lshl_b64 s[4:5], s[4:5], 2
	s_add_u32 s26, s6, s4
	s_addc_u32 s27, s7, s5
	v_cmp_neq_f32_e64 s[4:5], s33, 0
	v_and_b32_e32 v6, 0x3ff, v0
	s_and_b64 vcc, exec, s[4:5]
	v_cmp_eq_u32_e64 s[4:5], 0, v7
	s_cbranch_vccnz .LBB66_15
; %bb.6:
	s_and_saveexec_b64 s[6:7], s[4:5]
	s_cbranch_execz .LBB66_11
; %bb.7:
	v_cmp_gt_i32_e64 s[4:5], s25, v6
	v_cmp_le_i32_e32 vcc, s25, v6
	s_and_saveexec_b64 s[28:29], vcc
	s_cbranch_execz .LBB66_9
; %bb.8:
	s_load_dword s34, s[0:1], 0x90
	s_waitcnt lgkmcnt(0)
	s_add_i32 s34, s34, -1
	s_cmp_lt_u32 s2, s34
	s_cselect_b64 s[34:35], -1, 0
	s_andn2_b64 s[4:5], s[4:5], exec
	s_and_b64 s[34:35], s[34:35], exec
	s_or_b64 s[4:5], s[4:5], s[34:35]
.LBB66_9:
	s_or_b64 exec, exec, s[28:29]
	s_and_b64 exec, exec, s[4:5]
	s_cbranch_execz .LBB66_11
; %bb.10:
	v_mad_u64_u32 v[0:1], s[4:5], s30, v6, 0
	v_mov_b32_e32 v2, v1
	v_mad_u64_u32 v[2:3], s[4:5], s31, v6, v[2:3]
	v_mov_b32_e32 v1, v2
	v_lshl_add_u64 v[0:1], v[0:1], 2, s[26:27]
	global_load_dword v2, v[0:1], off
	s_waitcnt vmcnt(0)
	v_mul_f32_e32 v2, s24, v2
	global_store_dword v[0:1], v2, off
.LBB66_11:
	s_or_b64 exec, exec, s[6:7]
	s_cbranch_execz .LBB66_16
.LBB66_12:
	s_endpgm
.LBB66_13:
	s_mul_i32 s7, s7, s3
	s_mul_hi_u32 s20, s6, s3
	s_add_i32 s7, s20, s7
	s_mul_i32 s6, s6, s3
	s_lshl_b64 s[6:7], s[6:7], 2
	s_add_u32 s6, s4, s6
	s_addc_u32 s7, s5, s7
	s_load_dword s33, s[6:7], 0x0
	s_load_dwordx8 s[20:27], s[0:1], 0x48
	s_cbranch_execnz .LBB66_2
.LBB66_14:
	s_waitcnt lgkmcnt(0)
	s_mov_b32 s33, s4
	s_andn2_b64 vcc, exec, s[28:29]
	s_cbranch_vccz .LBB66_3
	s_branch .LBB66_4
.LBB66_15:
.LBB66_16:
	v_mov_b32_e32 v1, 0
	v_cmp_ne_u32_e64 s[4:5], 0, v7
	v_cmp_eq_u32_e64 s[6:7], 0, v7
	v_mov_b32_e32 v8, 0
	s_and_saveexec_b64 s[28:29], s[6:7]
	s_cbranch_execz .LBB66_23
; %bb.17:
	v_cmp_gt_i32_e64 s[36:37], s25, v6
	v_cmp_le_i32_e32 vcc, s25, v6
	s_and_saveexec_b64 s[34:35], vcc
	s_cbranch_execz .LBB66_19
; %bb.18:
	s_load_dword s40, s[0:1], 0x90
	s_waitcnt lgkmcnt(0)
	s_add_i32 s40, s40, -1
	s_cmp_lt_u32 s2, s40
	s_cselect_b64 s[40:41], -1, 0
	s_andn2_b64 s[36:37], s[36:37], exec
	s_and_b64 s[40:41], s[40:41], exec
	s_or_b64 s[36:37], s[36:37], s[40:41]
.LBB66_19:
	s_or_b64 exec, exec, s[34:35]
	v_mov_b32_e32 v8, 0
	s_and_saveexec_b64 s[34:35], s[36:37]
	s_cbranch_execz .LBB66_22
; %bb.20:
	s_mul_i32 s23, s23, s3
	s_mul_hi_u32 s36, s22, s3
	s_add_i32 s23, s36, s23
	s_mul_i32 s22, s22, s3
	s_lshl_b64 s[22:23], s[22:23], 2
	s_add_u32 s22, s16, s22
	s_addc_u32 s23, s17, s23
	s_lshl_b64 s[16:17], s[18:19], 2
	s_add_u32 s18, s22, s16
	s_addc_u32 s19, s23, s17
	s_mul_i32 s16, s20, s39
	s_mul_hi_u32 s17, s20, s38
	s_add_i32 s16, s17, s16
	s_mul_i32 s17, s21, s38
	s_add_i32 s17, s16, s17
	s_mul_i32 s16, s20, s38
	s_lshl_b64 s[16:17], s[16:17], 2
	s_add_u32 s16, s18, s16
	s_addc_u32 s17, s19, s17
	v_mad_u64_u32 v[2:3], s[18:19], s20, v6, 0
	v_mov_b32_e32 v0, v3
	v_mad_u64_u32 v[4:5], s[18:19], s21, v6, v[0:1]
	v_mov_b32_e32 v3, v4
	v_lshl_add_u64 v[2:3], v[2:3], 2, s[16:17]
	global_load_dword v0, v[2:3], off
	v_cmp_eq_f32_e64 s[16:17], s24, 0
	v_lshlrev_b32_e32 v2, 2, v6
	v_mov_b32_e32 v8, 0
	s_and_b64 vcc, exec, s[16:17]
	s_waitcnt vmcnt(0)
	ds_write_b32 v2, v0 offset:6144
	s_cbranch_vccnz .LBB66_22
; %bb.21:
	v_mad_u64_u32 v[2:3], s[16:17], s30, v6, 0
	v_mov_b32_e32 v0, v3
	v_mad_u64_u32 v[4:5], s[16:17], s31, v6, v[0:1]
	v_mov_b32_e32 v3, v4
	v_lshl_add_u64 v[2:3], v[2:3], 2, s[26:27]
	global_load_dword v0, v[2:3], off
	s_waitcnt vmcnt(0)
	v_mul_f32_e32 v8, s24, v0
.LBB66_22:
	s_or_b64 exec, exec, s[34:35]
.LBB66_23:
	s_or_b64 exec, exec, s[28:29]
	s_mul_i32 s15, s15, s3
	s_mul_hi_u32 s16, s14, s3
	s_add_i32 s15, s16, s15
	s_mul_i32 s14, s14, s3
	s_lshl_b64 s[14:15], s[14:15], 2
	s_add_u32 s3, s8, s14
	s_addc_u32 s16, s9, s15
	s_lshl_b64 s[10:11], s[10:11], 2
	s_add_u32 s3, s3, s10
	s_addc_u32 s19, s16, s11
	s_add_u32 s16, s12, 1
	s_addc_u32 s17, s13, 0
	s_mul_i32 s18, s16, s39
	s_mul_hi_u32 s20, s16, s38
	s_add_i32 s18, s20, s18
	s_mul_i32 s17, s17, s38
	s_add_i32 s17, s18, s17
	s_mul_i32 s16, s16, s38
	s_lshl_b64 s[16:17], s[16:17], 2
	s_add_u32 s18, s3, s16
	v_mad_u64_u32 v[2:3], s[20:21], s12, v7, 0
	s_load_dword s3, s[0:1], 0x90
	v_mov_b32_e32 v0, v3
	v_mad_u64_u32 v[4:5], s[20:21], s13, v7, v[0:1]
	s_addc_u32 s19, s19, s17
	v_mov_b32_e32 v3, v4
	v_lshl_add_u64 v[2:3], v[2:3], 2, s[18:19]
	v_lshlrev_b32_e32 v0, 2, v6
	v_lshl_add_u64 v[2:3], v[2:3], 0, v[0:1]
	s_waitcnt lgkmcnt(0)
	s_add_i32 s3, s3, -1
	v_lshlrev_b32_e32 v1, 7, v7
	v_lshlrev_b32_e32 v11, 5, v7
	s_cmp_eq_u32 s2, s3
	s_mov_b64 s[0:1], -1
	v_add_u32_e32 v10, v0, v1
	s_cbranch_scc1 .LBB66_25
; %bb.24:
	s_lshl_b64 s[0:1], s[12:13], 5
	v_lshl_add_u64 v[4:5], v[2:3], 0, s[0:1]
	v_lshl_add_u64 v[12:13], v[4:5], 0, s[0:1]
	;; [unrolled: 1-line block ×3, first 2 shown]
	global_load_dword v9, v[2:3], off
	global_load_dword v16, v[4:5], off
	;; [unrolled: 1-line block ×4, first 2 shown]
	s_mov_b64 s[0:1], 0
	s_waitcnt vmcnt(2)
	ds_write2st64_b32 v10, v9, v16 offset1:4
	s_waitcnt vmcnt(0)
	ds_write2st64_b32 v10, v17, v18 offset0:8 offset1:12
.LBB66_25:
	s_andn2_b64 vcc, exec, s[0:1]
	v_add_u32_e32 v9, v11, v6
	s_cbranch_vccnz .LBB66_41
; %bb.26:
	v_cmp_gt_i32_e32 vcc, s25, v6
	v_mov_b32_e32 v4, 0
	s_nor_b64 s[4:5], s[4:5], vcc
	ds_write2st64_b32 v10, v4, v4 offset1:4
	ds_write2st64_b32 v10, v4, v4 offset0:8 offset1:12
	s_and_saveexec_b64 s[0:1], s[4:5]
; %bb.27:
	ds_write_b32 v0, v4 offset:6144
; %bb.28:
	s_or_b64 exec, exec, s[0:1]
	s_and_saveexec_b64 s[0:1], vcc
	s_cbranch_execz .LBB66_40
; %bb.29:
	s_cmp_lt_u32 s25, 8
	s_mov_b32 s20, 0
	s_cbranch_scc1 .LBB66_38
; %bb.30:
	s_lshr_b32 s20, s25, 3
	s_cmp_lt_u32 s25, 16
	s_cbranch_scc1 .LBB66_34
; %bb.31:
	s_and_b32 s4, s20, 0x1ffffffe
	v_lshl_add_u32 v4, v11, 2, v0
	s_mov_b32 s5, s12
	s_mov_b32 s18, s13
	;; [unrolled: 1-line block ×5, first 2 shown]
.LBB66_32:                              ; =>This Inner Loop Header: Depth=1
	s_lshl_b32 s23, s21, 3
	s_lshl_b32 s28, s19, 3
	s_mul_i32 s29, s18, s28
	s_mul_hi_u32 s35, s5, s28
	s_mul_i32 s36, s13, s23
	s_mul_hi_u32 s37, s12, s23
	s_mul_i32 s34, s12, s23
	s_add_i32 s29, s35, s29
	s_add_i32 s35, s37, s36
	s_mul_i32 s28, s5, s28
	v_lshl_add_u64 v[12:13], s[34:35], 2, v[2:3]
	v_lshl_add_u64 v[14:15], s[28:29], 2, v[2:3]
	global_load_dword v5, v[12:13], off
	global_load_dword v16, v[14:15], off
	v_lshl_add_u32 v12, s21, 10, v4
	v_lshl_add_u32 v13, s19, 10, v4
	s_add_i32 s21, s21, 2
	s_add_i32 s19, s19, 2
	s_add_i32 s22, s22, -2
	s_cmp_lg_u32 s22, 0
	s_waitcnt vmcnt(1)
	ds_write_b32 v12, v5
	s_waitcnt vmcnt(0)
	ds_write_b32 v13, v16
	s_cbranch_scc1 .LBB66_32
; %bb.33:
	s_cmp_lg_u32 s20, s4
	s_cselect_b64 s[18:19], -1, 0
	s_branch .LBB66_35
.LBB66_34:
	s_mov_b64 s[18:19], -1
	s_mov_b32 s4, 0
.LBB66_35:
	s_and_b64 vcc, exec, s[18:19]
	s_cbranch_vccz .LBB66_38
; %bb.36:
	s_sub_i32 s18, s20, s4
	s_lshl_b32 s5, s4, 10
	v_add3_u32 v12, s5, v1, v0
	s_add_u32 s14, s16, s14
	s_mov_b32 s5, 0
	s_addc_u32 s15, s17, s15
	s_lshl_b64 s[4:5], s[4:5], 5
	v_lshlrev_b32_e32 v4, 2, v7
	v_mov_b32_e32 v5, 0
	v_lshl_add_u64 v[14:15], s[4:5], 0, v[4:5]
	s_add_u32 s4, s10, s14
	s_addc_u32 s5, s11, s15
	v_mov_b64_e32 v[16:17], s[4:5]
	v_mad_u64_u32 v[16:17], s[4:5], s12, v14, v[16:17]
	v_mul_lo_u32 v1, s12, v15
	v_mul_lo_u32 v4, s13, v14
	v_add3_u32 v17, v4, v17, v1
	v_mov_b32_e32 v1, v5
	v_lshl_add_u64 v[4:5], v[16:17], 0, v[0:1]
	v_lshl_add_u64 v[4:5], s[8:9], 0, v[4:5]
	s_lshl_b64 s[4:5], s[12:13], 5
.LBB66_37:                              ; =>This Inner Loop Header: Depth=1
	global_load_dword v1, v[4:5], off
	s_add_i32 s18, s18, -1
	v_lshl_add_u64 v[4:5], v[4:5], 0, s[4:5]
	s_cmp_lg_u32 s18, 0
	s_waitcnt vmcnt(0)
	ds_write_b32 v12, v1
	v_add_u32_e32 v12, 0x400, v12
	s_cbranch_scc1 .LBB66_37
.LBB66_38:
	s_and_b32 s4, s25, 7
	v_cmp_gt_u32_e32 vcc, s4, v7
	s_and_b64 exec, exec, vcc
	s_cbranch_execz .LBB66_40
; %bb.39:
	s_lshl_b32 s4, s20, 3
	s_mul_i32 s5, s13, s4
	s_mul_hi_u32 s8, s12, s4
	s_add_i32 s5, s8, s5
	s_mul_i32 s4, s12, s4
	v_lshl_add_u64 v[2:3], s[4:5], 2, v[2:3]
	global_load_dword v1, v[2:3], off
	v_lshlrev_b32_e32 v2, 2, v9
	v_lshl_add_u32 v2, s20, 10, v2
	s_waitcnt vmcnt(0)
	ds_write_b32 v2, v1
.LBB66_40:
	s_or_b64 exec, exec, s[0:1]
.LBB66_41:
	v_sub_u32_e32 v1, v6, v7
	v_sub_u32_e32 v2, 0, v1
	s_movk_i32 s0, 0x7c
	v_max_i32_e32 v2, v1, v2
	v_mad_u32_u24 v1, v6, s0, v0
	v_cmp_lt_u32_e32 vcc, 16, v2
	v_lshl_add_u32 v1, v7, 2, v1
	s_waitcnt lgkmcnt(0)
	s_barrier
	s_and_saveexec_b64 s[0:1], vcc
	s_cbranch_execnz .LBB66_50
; %bb.42:
	s_or_b64 exec, exec, s[0:1]
	v_cmp_lt_u32_e32 vcc, 24, v2
	s_and_saveexec_b64 s[0:1], vcc
	s_cbranch_execnz .LBB66_51
.LBB66_43:
	s_or_b64 exec, exec, s[0:1]
	v_cmp_ge_u32_e32 vcc, v6, v7
	s_and_saveexec_b64 s[0:1], vcc
	s_cbranch_execz .LBB66_45
.LBB66_44:
	ds_read_b32 v3, v1
	v_lshl_add_u32 v4, v11, 2, v0
	s_waitcnt lgkmcnt(0)
	ds_write_b32 v4, v3
.LBB66_45:
	s_or_b64 exec, exec, s[0:1]
	v_cmp_lt_u32_e32 vcc, 8, v2
	v_mov_b32_e32 v2, 0x400
	v_lshl_add_u32 v2, v7, 7, v2
	v_add_u32_e32 v2, v0, v2
	s_and_saveexec_b64 s[0:1], vcc
	s_cbranch_execz .LBB66_47
; %bb.46:
	ds_read_b32 v1, v1 offset:32
	s_waitcnt lgkmcnt(0)
	ds_write_b32 v2, v1
.LBB66_47:
	s_or_b64 exec, exec, s[0:1]
	v_lshlrev_b32_e32 v1, 2, v7
	v_add_u32_e32 v1, 0x1800, v1
	s_waitcnt lgkmcnt(0)
	s_barrier
	ds_read_b32 v4, v10
	ds_read_b32 v5, v2
	ds_read2_b32 v[2:3], v1 offset1:8
	v_lshl_add_u32 v7, v7, 7, v0
	ds_read2st64_b32 v[10:11], v7 offset0:8 offset1:12
	ds_read2_b32 v[12:13], v1 offset0:16 offset1:24
	s_waitcnt lgkmcnt(2)
	v_pk_mul_f32 v[2:3], v[4:5], v[2:3]
	s_nop 0
	v_add_f32_e32 v1, 0, v2
	v_add_f32_e32 v1, v1, v3
	s_waitcnt lgkmcnt(0)
	v_pk_mul_f32 v[2:3], v[10:11], v[12:13]
	s_nop 0
	v_add_f32_e32 v1, v1, v2
	v_add_f32_e32 v1, v1, v3
	v_lshlrev_b32_e32 v2, 2, v9
	ds_write_b32 v2, v1 offset:4096
	s_waitcnt lgkmcnt(0)
	s_barrier
	s_and_saveexec_b64 s[0:1], s[6:7]
	s_cbranch_execz .LBB66_12
; %bb.48:
	s_cmp_lt_u32 s2, s3
	v_cmp_gt_i32_e32 vcc, s25, v6
	s_cselect_b64 s[0:1], -1, 0
	s_or_b64 s[0:1], vcc, s[0:1]
	s_and_b64 exec, exec, s[0:1]
	s_cbranch_execz .LBB66_12
; %bb.49:
	v_add_u32_e32 v7, 0x1000, v0
	ds_read2_b32 v[0:1], v7 offset1:32
	ds_read2_b32 v[2:3], v7 offset0:64 offset1:96
	ds_read2_b32 v[4:5], v7 offset0:128 offset1:160
	;; [unrolled: 1-line block ×3, first 2 shown]
	v_cmp_neq_f32_e64 vcc, s24, 0
	s_waitcnt lgkmcnt(3)
	v_add_f32_e32 v0, 0, v0
	v_add_f32_e32 v0, v0, v1
	s_waitcnt lgkmcnt(2)
	v_add_f32_e32 v0, v0, v2
	v_add_f32_e32 v0, v0, v3
	;; [unrolled: 3-line block ×4, first 2 shown]
	v_mul_f32_e32 v1, s33, v0
	v_fmac_f32_e32 v8, s33, v0
	v_cndmask_b32_e32 v4, v1, v8, vcc
	v_mad_u64_u32 v[0:1], s[0:1], s30, v6, 0
	v_mov_b32_e32 v2, v1
	v_mad_u64_u32 v[2:3], s[0:1], s31, v6, v[2:3]
	v_mov_b32_e32 v1, v2
	v_lshl_add_u64 v[0:1], v[0:1], 2, s[26:27]
	global_store_dword v[0:1], v4, off
	s_endpgm
.LBB66_50:
	ds_read_b32 v3, v1 offset:64
	s_waitcnt lgkmcnt(0)
	ds_write_b32 v10, v3 offset:2048
	s_or_b64 exec, exec, s[0:1]
	v_cmp_lt_u32_e32 vcc, 24, v2
	s_and_saveexec_b64 s[0:1], vcc
	s_cbranch_execz .LBB66_43
.LBB66_51:
	ds_read_b32 v3, v1 offset:96
	s_waitcnt lgkmcnt(0)
	ds_write_b32 v10, v3 offset:3072
	s_or_b64 exec, exec, s[0:1]
	v_cmp_ge_u32_e32 vcc, v6, v7
	s_and_saveexec_b64 s[0:1], vcc
	s_cbranch_execnz .LBB66_44
	s_branch .LBB66_45
	.section	.rodata,"a",@progbits
	.p2align	6, 0x0
	.amdhsa_kernel _ZL58rocblas_symv_kernel_upper_double_buffered_diagonal_genericILi32ELi8E24rocblas_internal_val_ptrIfEPKfPfEvbiT1_lT2_lllS6_lllS5_lT3_lllii
		.amdhsa_group_segment_fixed_size 6272
		.amdhsa_private_segment_fixed_size 0
		.amdhsa_kernarg_size 400
		.amdhsa_user_sgpr_count 2
		.amdhsa_user_sgpr_dispatch_ptr 0
		.amdhsa_user_sgpr_queue_ptr 0
		.amdhsa_user_sgpr_kernarg_segment_ptr 1
		.amdhsa_user_sgpr_dispatch_id 0
		.amdhsa_user_sgpr_kernarg_preload_length 0
		.amdhsa_user_sgpr_kernarg_preload_offset 0
		.amdhsa_user_sgpr_private_segment_size 0
		.amdhsa_uses_dynamic_stack 0
		.amdhsa_enable_private_segment 0
		.amdhsa_system_sgpr_workgroup_id_x 1
		.amdhsa_system_sgpr_workgroup_id_y 0
		.amdhsa_system_sgpr_workgroup_id_z 1
		.amdhsa_system_sgpr_workgroup_info 0
		.amdhsa_system_vgpr_workitem_id 1
		.amdhsa_next_free_vgpr 19
		.amdhsa_next_free_sgpr 42
		.amdhsa_accum_offset 20
		.amdhsa_reserve_vcc 1
		.amdhsa_float_round_mode_32 0
		.amdhsa_float_round_mode_16_64 0
		.amdhsa_float_denorm_mode_32 3
		.amdhsa_float_denorm_mode_16_64 3
		.amdhsa_dx10_clamp 1
		.amdhsa_ieee_mode 1
		.amdhsa_fp16_overflow 0
		.amdhsa_tg_split 0
		.amdhsa_exception_fp_ieee_invalid_op 0
		.amdhsa_exception_fp_denorm_src 0
		.amdhsa_exception_fp_ieee_div_zero 0
		.amdhsa_exception_fp_ieee_overflow 0
		.amdhsa_exception_fp_ieee_underflow 0
		.amdhsa_exception_fp_ieee_inexact 0
		.amdhsa_exception_int_div_zero 0
	.end_amdhsa_kernel
	.section	.text._ZL58rocblas_symv_kernel_upper_double_buffered_diagonal_genericILi32ELi8E24rocblas_internal_val_ptrIfEPKfPfEvbiT1_lT2_lllS6_lllS5_lT3_lllii,"axG",@progbits,_ZL58rocblas_symv_kernel_upper_double_buffered_diagonal_genericILi32ELi8E24rocblas_internal_val_ptrIfEPKfPfEvbiT1_lT2_lllS6_lllS5_lT3_lllii,comdat
.Lfunc_end66:
	.size	_ZL58rocblas_symv_kernel_upper_double_buffered_diagonal_genericILi32ELi8E24rocblas_internal_val_ptrIfEPKfPfEvbiT1_lT2_lllS6_lllS5_lT3_lllii, .Lfunc_end66-_ZL58rocblas_symv_kernel_upper_double_buffered_diagonal_genericILi32ELi8E24rocblas_internal_val_ptrIfEPKfPfEvbiT1_lT2_lllS6_lllS5_lT3_lllii
                                        ; -- End function
	.set _ZL58rocblas_symv_kernel_upper_double_buffered_diagonal_genericILi32ELi8E24rocblas_internal_val_ptrIfEPKfPfEvbiT1_lT2_lllS6_lllS5_lT3_lllii.num_vgpr, 19
	.set _ZL58rocblas_symv_kernel_upper_double_buffered_diagonal_genericILi32ELi8E24rocblas_internal_val_ptrIfEPKfPfEvbiT1_lT2_lllS6_lllS5_lT3_lllii.num_agpr, 0
	.set _ZL58rocblas_symv_kernel_upper_double_buffered_diagonal_genericILi32ELi8E24rocblas_internal_val_ptrIfEPKfPfEvbiT1_lT2_lllS6_lllS5_lT3_lllii.numbered_sgpr, 42
	.set _ZL58rocblas_symv_kernel_upper_double_buffered_diagonal_genericILi32ELi8E24rocblas_internal_val_ptrIfEPKfPfEvbiT1_lT2_lllS6_lllS5_lT3_lllii.num_named_barrier, 0
	.set _ZL58rocblas_symv_kernel_upper_double_buffered_diagonal_genericILi32ELi8E24rocblas_internal_val_ptrIfEPKfPfEvbiT1_lT2_lllS6_lllS5_lT3_lllii.private_seg_size, 0
	.set _ZL58rocblas_symv_kernel_upper_double_buffered_diagonal_genericILi32ELi8E24rocblas_internal_val_ptrIfEPKfPfEvbiT1_lT2_lllS6_lllS5_lT3_lllii.uses_vcc, 1
	.set _ZL58rocblas_symv_kernel_upper_double_buffered_diagonal_genericILi32ELi8E24rocblas_internal_val_ptrIfEPKfPfEvbiT1_lT2_lllS6_lllS5_lT3_lllii.uses_flat_scratch, 0
	.set _ZL58rocblas_symv_kernel_upper_double_buffered_diagonal_genericILi32ELi8E24rocblas_internal_val_ptrIfEPKfPfEvbiT1_lT2_lllS6_lllS5_lT3_lllii.has_dyn_sized_stack, 0
	.set _ZL58rocblas_symv_kernel_upper_double_buffered_diagonal_genericILi32ELi8E24rocblas_internal_val_ptrIfEPKfPfEvbiT1_lT2_lllS6_lllS5_lT3_lllii.has_recursion, 0
	.set _ZL58rocblas_symv_kernel_upper_double_buffered_diagonal_genericILi32ELi8E24rocblas_internal_val_ptrIfEPKfPfEvbiT1_lT2_lllS6_lllS5_lT3_lllii.has_indirect_call, 0
	.section	.AMDGPU.csdata,"",@progbits
; Kernel info:
; codeLenInByte = 2176
; TotalNumSgprs: 48
; NumVgprs: 19
; NumAgprs: 0
; TotalNumVgprs: 19
; ScratchSize: 0
; MemoryBound: 0
; FloatMode: 240
; IeeeMode: 1
; LDSByteSize: 6272 bytes/workgroup (compile time only)
; SGPRBlocks: 5
; VGPRBlocks: 2
; NumSGPRsForWavesPerEU: 48
; NumVGPRsForWavesPerEU: 19
; AccumOffset: 20
; Occupancy: 8
; WaveLimiterHint : 0
; COMPUTE_PGM_RSRC2:SCRATCH_EN: 0
; COMPUTE_PGM_RSRC2:USER_SGPR: 2
; COMPUTE_PGM_RSRC2:TRAP_HANDLER: 0
; COMPUTE_PGM_RSRC2:TGID_X_EN: 1
; COMPUTE_PGM_RSRC2:TGID_Y_EN: 0
; COMPUTE_PGM_RSRC2:TGID_Z_EN: 1
; COMPUTE_PGM_RSRC2:TIDIG_COMP_CNT: 1
; COMPUTE_PGM_RSRC3_GFX90A:ACCUM_OFFSET: 4
; COMPUTE_PGM_RSRC3_GFX90A:TG_SPLIT: 0
	.section	.text._ZL62rocblas_symv_kernel_upper_double_buffered_non_diagonal_genericILi32ELi8ELi2ELi0E24rocblas_internal_val_ptrIfEPKfPfEvbiT3_lT4_lllS6_lllT5_lllii,"axG",@progbits,_ZL62rocblas_symv_kernel_upper_double_buffered_non_diagonal_genericILi32ELi8ELi2ELi0E24rocblas_internal_val_ptrIfEPKfPfEvbiT3_lT4_lllS6_lllT5_lllii,comdat
	.globl	_ZL62rocblas_symv_kernel_upper_double_buffered_non_diagonal_genericILi32ELi8ELi2ELi0E24rocblas_internal_val_ptrIfEPKfPfEvbiT3_lT4_lllS6_lllT5_lllii ; -- Begin function _ZL62rocblas_symv_kernel_upper_double_buffered_non_diagonal_genericILi32ELi8ELi2ELi0E24rocblas_internal_val_ptrIfEPKfPfEvbiT3_lT4_lllS6_lllT5_lllii
	.p2align	8
	.type	_ZL62rocblas_symv_kernel_upper_double_buffered_non_diagonal_genericILi32ELi8ELi2ELi0E24rocblas_internal_val_ptrIfEPKfPfEvbiT3_lT4_lllS6_lllT5_lllii,@function
_ZL62rocblas_symv_kernel_upper_double_buffered_non_diagonal_genericILi32ELi8ELi2ELi0E24rocblas_internal_val_ptrIfEPKfPfEvbiT3_lT4_lllS6_lllT5_lllii: ; @_ZL62rocblas_symv_kernel_upper_double_buffered_non_diagonal_genericILi32ELi8ELi2ELi0E24rocblas_internal_val_ptrIfEPKfPfEvbiT3_lT4_lllS6_lllT5_lllii
; %bb.0:
	s_load_dword s5, s[0:1], 0x0
	s_load_dwordx16 s[8:23], s[0:1], 0x8
	s_waitcnt lgkmcnt(0)
	s_bitcmp0_b32 s5, 0
	s_cbranch_scc0 .LBB67_2
; %bb.1:
	s_mul_i32 s5, s11, s4
	s_mul_hi_u32 s6, s10, s4
	s_add_i32 s7, s6, s5
	s_mul_i32 s6, s10, s4
	s_lshl_b64 s[6:7], s[6:7], 2
	s_add_u32 s6, s8, s6
	s_addc_u32 s7, s9, s7
	s_load_dword s33, s[6:7], 0x0
	s_cbranch_execz .LBB67_3
	s_branch .LBB67_4
.LBB67_2:
                                        ; implicit-def: $sgpr33
.LBB67_3:
	s_waitcnt lgkmcnt(0)
	s_mov_b32 s33, s8
.LBB67_4:
	s_waitcnt lgkmcnt(0)
	v_cmp_eq_f32_e64 s[6:7], s33, 0
	s_and_b64 vcc, exec, s[6:7]
	s_cbranch_vccnz .LBB67_43
; %bb.5:
	s_load_dword s5, s[0:1], 0x84
	s_add_u32 s6, s0, 0x80
	s_addc_u32 s7, s1, 0
	s_cmp_eq_u32 s2, 0
	s_waitcnt lgkmcnt(0)
	v_cvt_f32_u32_e32 v1, s5
	v_rcp_iflag_f32_e32 v1, v1
	s_nop 0
	v_mul_f32_e32 v1, 0x4f7ffffe, v1
	v_cvt_u32_f32_e32 v1, v1
	s_nop 0
	v_readfirstlane_b32 s8, v1
	s_cbranch_scc1 .LBB67_43
; %bb.6:
	s_sub_i32 s9, 0, s5
	s_mul_i32 s9, s9, s8
	s_mul_hi_u32 s9, s8, s9
	s_add_i32 s8, s8, s9
	s_mul_hi_u32 s8, s2, s8
	s_mul_i32 s9, s8, s5
	s_sub_i32 s9, s2, s9
	s_add_i32 s10, s8, 1
	s_sub_i32 s11, s9, s5
	s_cmp_ge_u32 s9, s5
	s_cselect_b32 s8, s10, s8
	s_cselect_b32 s9, s11, s9
	s_add_i32 s10, s8, 1
	s_cmp_ge_u32 s9, s5
	s_cselect_b32 s38, s10, s8
	s_add_i32 s8, s5, -1
	s_cmp_lg_u32 s3, s8
	s_mov_b32 s47, s38
	s_cbranch_scc1 .LBB67_8
; %bb.7:
	s_mul_i32 s5, s38, s5
	s_sub_i32 s5, s2, s5
	s_add_i32 s47, s5, s38
.LBB67_8:
	s_cmp_eq_u32 s47, 0
	s_cbranch_scc1 .LBB67_43
; %bb.9:
	s_load_dwordx4 s[24:27], s[0:1], 0x48
	s_load_dword s42, s[0:1], 0x78
	s_load_dword s43, s[6:7], 0x0
	v_and_b32_e32 v15, 0x3ff, v0
	v_bfe_u32 v1, v0, 10, 10
	s_waitcnt lgkmcnt(0)
	s_mul_i32 s5, s27, s4
	s_mul_hi_u32 s9, s26, s4
	s_mul_i32 s8, s26, s4
	s_add_i32 s9, s9, s5
	s_lshl_b64 s[28:29], s[8:9], 2
	s_add_u32 s5, s20, s28
	s_addc_u32 s8, s21, s29
	s_lshl_b64 s[26:27], s[22:23], 2
	s_add_u32 s5, s5, s26
	s_addc_u32 s48, s8, s27
	s_lshl_b32 s22, s2, 5
	s_ashr_i32 s23, s22, 31
	s_mul_i32 s8, s24, s23
	s_mul_hi_u32 s9, s24, s22
	s_add_i32 s8, s9, s8
	s_mul_i32 s9, s25, s22
	s_add_i32 s9, s8, s9
	s_mul_i32 s8, s24, s22
	s_lshl_b64 s[6:7], s[8:9], 2
	s_add_u32 s10, s5, s6
	s_addc_u32 s11, s48, s7
	s_add_i32 s43, s43, -1
	s_cmp_lg_u32 s2, s43
	v_lshl_add_u32 v12, v1, 5, v15
	s_cselect_b64 s[8:9], -1, 0
	v_and_b32_e32 v0, 15, v0
	v_lshrrev_b32_e32 v4, 4, v12
	v_cmp_eq_u32_e64 s[6:7], 0, v1
	s_mov_b64 s[30:31], -1
	s_and_b64 vcc, exec, s[8:9]
	s_cbranch_vccnz .LBB67_15
; %bb.10:
	s_and_saveexec_b64 s[30:31], s[6:7]
	s_cbranch_execz .LBB67_14
; %bb.11:
	v_cmp_gt_i32_e32 vcc, s42, v15
	v_mov_b32_e32 v1, 0
	s_and_saveexec_b64 s[34:35], vcc
	s_cbranch_execz .LBB67_13
; %bb.12:
	v_mad_u64_u32 v[2:3], s[36:37], s24, v15, 0
	v_mov_b32_e32 v6, v3
	v_mad_u64_u32 v[6:7], s[36:37], s25, v15, v[6:7]
	v_mov_b32_e32 v3, v6
	v_lshl_add_u64 v[2:3], v[2:3], 2, s[10:11]
	global_load_dword v1, v[2:3], off
.LBB67_13:
	s_or_b64 exec, exec, s[34:35]
	v_lshlrev_b32_e32 v2, 2, v15
	s_waitcnt vmcnt(0)
	ds_write_b32 v2, v1 offset:4096
.LBB67_14:
	s_or_b64 exec, exec, s[30:31]
	v_lshlrev_b32_e32 v1, 2, v0
	v_lshl_or_b32 v1, v4, 7, v1
	v_mov_b32_e32 v2, 0
	ds_write2_b32 v1, v2, v2 offset1:16
	v_add_u32_e32 v1, 0x800, v1
	s_mov_b64 s[30:31], 0
	ds_write2_b32 v1, v2, v2 offset1:16
.LBB67_15:
	s_load_dwordx2 s[40:41], s[0:1], 0x58
	s_and_b64 vcc, exec, s[30:31]
	s_cbranch_vccz .LBB67_19
; %bb.16:
	s_and_saveexec_b64 s[30:31], s[6:7]
	s_cbranch_execz .LBB67_18
; %bb.17:
	v_mad_u64_u32 v[2:3], s[34:35], s24, v15, 0
	v_mov_b32_e32 v6, v3
	v_mad_u64_u32 v[6:7], s[34:35], s25, v15, v[6:7]
	v_mov_b32_e32 v3, v6
	v_lshl_add_u64 v[2:3], v[2:3], 2, s[10:11]
	global_load_dword v1, v[2:3], off
	v_lshlrev_b32_e32 v2, 2, v15
	s_waitcnt vmcnt(0)
	ds_write_b32 v2, v1 offset:4096
.LBB67_18:
	s_or_b64 exec, exec, s[30:31]
.LBB67_19:
	s_lshr_b32 s10, s42, 31
	s_add_i32 s10, s42, s10
	s_ashr_i32 s44, s10, 1
	s_mul_i32 s10, s19, s4
	s_mul_hi_u32 s11, s18, s4
	s_add_i32 s11, s11, s10
	s_mul_i32 s10, s18, s4
	s_lshl_b64 s[34:35], s[10:11], 2
	s_add_u32 s10, s12, s34
	s_addc_u32 s11, s13, s35
	s_lshl_b64 s[36:37], s[14:15], 2
	s_add_u32 s14, s10, s36
	s_addc_u32 s15, s11, s37
	s_mul_i32 s10, s16, s23
	s_mul_hi_u32 s11, s16, s22
	s_add_i32 s10, s11, s10
	s_mul_i32 s11, s17, s22
	s_add_i32 s11, s10, s11
	s_mul_i32 s10, s16, s22
	s_lshl_b64 s[10:11], s[10:11], 2
	s_add_u32 s45, s14, s10
	s_mul_i32 s3, s3, s38
	s_addc_u32 s46, s15, s11
	s_lshl_b32 s38, s3, 5
	v_lshlrev_b32_e32 v5, 1, v4
	v_mov_b32_e32 v1, 0
	s_ashr_i32 s39, s38, 31
	v_mad_u64_u32 v[2:3], s[10:11], s16, v5, v[0:1]
	s_lshl_b64 s[18:19], s[38:39], 2
	v_mov_b32_e32 v6, v3
	s_add_u32 s30, s45, s18
	v_mad_u64_u32 v[6:7], s[10:11], s17, v5, v[6:7]
	v_cmp_gt_i32_e32 vcc, s44, v4
	s_addc_u32 s31, s46, s19
	v_mov_b32_e32 v3, v6
	s_or_b64 s[14:15], s[8:9], vcc
	v_mov_b32_e32 v6, v1
	v_mov_b32_e32 v7, v1
	s_waitcnt lgkmcnt(0)
	s_barrier
	s_and_saveexec_b64 s[8:9], s[14:15]
	s_cbranch_execz .LBB67_21
; %bb.20:
	v_lshl_add_u64 v[8:9], v[2:3], 2, s[30:31]
	v_lshl_add_u64 v[10:11], s[16:17], 2, v[8:9]
	global_load_dword v6, v[8:9], off
	global_load_dword v7, v[10:11], off
.LBB67_21:
	s_or_b64 exec, exec, s[8:9]
	s_load_dwordx2 s[50:51], s[0:1], 0x70
	s_load_dwordx4 s[8:11], s[0:1], 0x60
	v_lshlrev_b32_e32 v1, 7, v4
	s_waitcnt lgkmcnt(0)
	s_mul_i32 s1, s51, s4
	s_mul_hi_u32 s3, s50, s4
	s_mul_i32 s0, s50, s4
	s_add_i32 s1, s3, s1
	s_lshl_b64 s[0:1], s[0:1], 2
	s_add_u32 s3, s40, s0
	s_addc_u32 s4, s41, s1
	s_lshl_b64 s[0:1], s[8:9], 2
	s_add_u32 s3, s3, s0
	s_addc_u32 s44, s4, s1
	s_cmp_gt_i32 s47, 0
	s_cbranch_scc1 .LBB67_23
; %bb.22:
	v_lshlrev_b32_e32 v4, 7, v4
	v_mov_b32_e32 v11, 0
	v_mov_b32_e32 v10, 0
	s_cbranch_execz .LBB67_24
	s_branch .LBB67_40
.LBB67_23:
                                        ; implicit-def: $vgpr4
	v_mov_b32_e32 v11, 0
	v_mov_b32_e32 v10, 0
.LBB67_24:
	v_mad_u64_u32 v[8:9], s[0:1], s24, v0, 0
	v_mov_b32_e32 v4, v9
	v_mad_u64_u32 v[10:11], s[0:1], s25, v0, v[4:5]
	s_mul_i32 s0, s24, s39
	s_mul_hi_u32 s1, s24, s38
	s_add_i32 s0, s1, s0
	s_mul_i32 s1, s25, s38
	s_add_i32 s1, s0, s1
	s_mul_i32 s0, s24, s38
	s_lshl_b64 s[8:9], s[0:1], 2
	s_add_u32 s40, s5, s8
	v_mov_b32_e32 v9, v10
	s_addc_u32 s41, s48, s9
	v_lshl_add_u64 v[8:9], v[8:9], 2, s[40:41]
	global_load_dword v14, v[8:9], off
	s_mul_i32 s0, s10, s39
	s_mul_hi_u32 s1, s10, s38
	s_add_i32 s0, s1, s0
	s_mul_i32 s1, s11, s38
	s_add_i32 s1, s0, s1
	s_mul_i32 s0, s10, s38
	s_lshl_b64 s[0:1], s[0:1], 2
	s_add_u32 s38, s3, s0
	v_mov_b32_e32 v4, 0x1000
	s_addc_u32 s39, s44, s1
	v_lshl_add_u32 v35, v5, 2, v4
	v_mad_u64_u32 v[4:5], s[0:1], s10, v15, 0
	v_mov_b32_e32 v8, v5
	v_mad_u64_u32 v[8:9], s[0:1], s11, v15, v[8:9]
	v_lshlrev_b32_e32 v34, 2, v0
	v_lshlrev_b32_e32 v29, 2, v15
	v_mov_b32_e32 v5, v8
	v_mov_b32_e32 v13, 0
	s_cmp_eq_u32 s47, 1
	s_cbranch_scc1 .LBB67_34
; %bb.25:
	s_lshl_b64 s[0:1], s[24:25], 7
	s_lshl_b64 s[4:5], s[10:11], 7
	s_add_i32 s47, s47, -1
	v_lshrrev_b32_e32 v8, 1, v12
	v_and_b32_e32 v10, 0x7ff8, v8
	v_mov_b32_e32 v11, 0
	s_add_u32 s30, s36, s34
	v_lshl_add_u64 v[8:9], s[22:23], 2, v[10:11]
	s_addc_u32 s31, s37, s35
	v_lshl_add_u64 v[12:13], v[8:9], 0, 4
	v_mov_b64_e32 v[18:19], s[30:31]
	v_mad_u64_u32 v[16:17], s[30:31], s16, v12, v[18:19]
	v_mul_lo_u32 v10, s16, v13
	v_mul_lo_u32 v12, s17, v12
	v_add3_u32 v17, v12, v17, v10
	v_lshlrev_b32_e32 v10, 2, v0
	v_lshl_add_u64 v[12:13], v[16:17], 0, v[10:11]
	v_lshl_add_u64 v[16:17], s[12:13], 0, v[12:13]
	v_mad_u64_u32 v[12:13], s[30:31], s16, v8, v[18:19]
	v_mul_lo_u32 v9, s16, v9
	v_mul_lo_u32 v8, s17, v8
	v_add3_u32 v13, v8, v13, v9
	v_lshl_add_u64 v[8:9], v[12:13], 0, v[10:11]
	v_lshl_add_u64 v[18:19], s[12:13], 0, v[8:9]
	s_add_u32 s12, s20, s28
	s_addc_u32 s13, s21, s29
	s_add_u32 s8, s8, s28
	s_addc_u32 s9, s9, s29
	v_lshl_add_u64 v[8:9], s[18:19], 0, v[10:11]
	s_add_u32 s20, s20, s8
	v_lshl_add_u64 v[12:13], v[8:9], 0, 64
	v_mov_b64_e32 v[22:23], s[12:13]
	s_addc_u32 s21, s21, s9
	s_mov_b64 s[8:9], 0x80
	v_mul_lo_u32 v10, s24, v13
	v_mul_lo_u32 v13, s25, v12
	v_mad_u64_u32 v[20:21], s[12:13], s24, v12, v[22:23]
	v_lshl_add_u64 v[8:9], v[8:9], 0, s[8:9]
	v_add3_u32 v21, v13, v21, v10
	v_mul_lo_u32 v9, s24, v9
	v_mul_lo_u32 v10, s25, v8
	v_mad_u64_u32 v[24:25], s[12:13], s24, v8, v[22:23]
	v_add3_u32 v25, v10, v25, v9
	v_mov_b64_e32 v[8:9], s[38:39]
	v_mov_b32_e32 v10, v11
	v_mov_b32_e32 v12, v11
	;; [unrolled: 1-line block ×3, first 2 shown]
.LBB67_26:                              ; =>This Inner Loop Header: Depth=1
	v_lshl_add_u64 v[22:23], v[20:21], 0, s[26:27]
	global_load_dword v28, v[22:23], off
	v_lshl_add_u64 v[26:27], v[18:19], 0, s[18:19]
	v_lshl_add_u64 v[30:31], v[16:17], 0, s[18:19]
	s_and_saveexec_b64 s[12:13], s[14:15]
	s_cbranch_execz .LBB67_28
; %bb.27:                               ;   in Loop: Header=BB67_26 Depth=1
	global_load_dword v12, v[26:27], off offset:64
	global_load_dword v13, v[30:31], off offset:64
.LBB67_28:                              ;   in Loop: Header=BB67_26 Depth=1
	s_or_b64 exec, exec, s[12:13]
	ds_read_b64 v[32:33], v35
	s_waitcnt vmcnt(2)
	v_mov_b64_e32 v[22:23], v[6:7]
	s_and_saveexec_b64 s[12:13], s[14:15]
	s_cbranch_execz .LBB67_30
; %bb.29:                               ;   in Loop: Header=BB67_26 Depth=1
	global_load_dword v22, v[26:27], off offset:128
	global_load_dword v23, v[30:31], off offset:128
.LBB67_30:                              ;   in Loop: Header=BB67_26 Depth=1
	s_or_b64 exec, exec, s[12:13]
	v_lshl_add_u64 v[26:27], v[24:25], 0, s[26:27]
	global_load_dword v26, v[26:27], off
	s_waitcnt lgkmcnt(0)
	v_fma_f32 v27, v6, v32, 0
	s_waitcnt vmcnt(2)
	v_fma_f32 v30, v12, v32, 0
	v_fmac_f32_e32 v27, v7, v33
	s_waitcnt vmcnt(1)
	v_fmac_f32_e32 v30, v13, v33
	v_add_u32_e32 v31, v34, v1
	s_barrier
	ds_write2_b32 v31, v27, v30 offset1:16
	s_waitcnt lgkmcnt(0)
	s_barrier
	s_and_saveexec_b64 s[12:13], s[6:7]
	s_cbranch_execz .LBB67_32
; %bb.31:                               ;   in Loop: Header=BB67_26 Depth=1
	ds_read2_b32 v[30:31], v29 offset1:32
	ds_read2_b32 v[32:33], v29 offset0:64 offset1:96
	ds_read2_b32 v[36:37], v29 offset0:128 offset1:160
	;; [unrolled: 1-line block ×3, first 2 shown]
	v_add_u32_e32 v27, 0x400, v29
	s_waitcnt lgkmcnt(3)
	v_add_f32_e32 v30, 0, v30
	v_add_f32_e32 v30, v30, v31
	s_waitcnt lgkmcnt(2)
	v_add_f32_e32 v30, v30, v32
	v_add_f32_e32 v30, v30, v33
	s_waitcnt lgkmcnt(1)
	v_add_f32_e32 v32, v30, v36
	ds_read2_b32 v[30:31], v27 offset1:32
	v_add_f32_e32 v32, v32, v37
	s_waitcnt lgkmcnt(1)
	v_add_f32_e32 v32, v32, v38
	v_add_f32_e32 v36, v32, v39
	ds_read2_b32 v[32:33], v27 offset0:64 offset1:96
	s_waitcnt lgkmcnt(1)
	v_add_f32_e32 v30, v36, v30
	ds_read2_b32 v[36:37], v27 offset0:128 offset1:160
	v_add_f32_e32 v38, v30, v31
	ds_read2_b32 v[30:31], v27 offset0:192 offset1:224
	s_waitcnt lgkmcnt(2)
	v_add_f32_e32 v27, v38, v32
	v_add_f32_e32 v27, v27, v33
	s_waitcnt lgkmcnt(1)
	v_add_f32_e32 v27, v27, v36
	v_add_f32_e32 v27, v27, v37
	;; [unrolled: 3-line block ×3, first 2 shown]
	v_lshl_add_u64 v[30:31], v[4:5], 2, v[8:9]
	v_mul_f32_e32 v27, s33, v27
	global_atomic_add_f32 v[30:31], v27, off
	v_lshl_add_u64 v[8:9], v[8:9], 0, s[4:5]
.LBB67_32:                              ;   in Loop: Header=BB67_26 Depth=1
	s_or_b64 exec, exec, s[12:13]
	s_add_i32 s47, s47, -1
	s_add_u32 s45, s45, 0x80
	s_addc_u32 s46, s46, 0
	s_add_u32 s20, s20, s0
	s_addc_u32 s21, s21, s1
	;; [unrolled: 2-line block ×3, first 2 shown]
	s_add_u32 s30, s45, s18
	v_pk_fma_f32 v[6:7], v[14:15], v[6:7], v[10:11] op_sel_hi:[0,1,1]
	s_addc_u32 s31, s46, s19
	v_pk_fma_f32 v[10:11], v[28:29], v[12:13], v[6:7] op_sel_hi:[0,1,1]
	v_lshl_add_u64 v[16:17], v[16:17], 0, s[8:9]
	v_lshl_add_u64 v[18:19], v[18:19], 0, s[8:9]
	;; [unrolled: 1-line block ×3, first 2 shown]
	s_cmp_eq_u32 s47, 0
	v_lshl_add_u64 v[24:25], v[24:25], 0, s[0:1]
	s_cbranch_scc1 .LBB67_35
; %bb.33:                               ;   in Loop: Header=BB67_26 Depth=1
	s_waitcnt vmcnt(0)
	v_mov_b32_e32 v14, v26
	v_mov_b64_e32 v[6:7], v[22:23]
	s_branch .LBB67_26
.LBB67_34:
	v_mov_b64_e32 v[8:9], s[38:39]
	v_mov_b32_e32 v12, v13
	v_mov_b32_e32 v11, v13
	;; [unrolled: 1-line block ×3, first 2 shown]
	s_waitcnt vmcnt(1)
	v_mov_b64_e32 v[22:23], v[6:7]
	s_waitcnt vmcnt(0)
	v_mov_b32_e32 v26, v14
.LBB67_35:
	v_or_b32_e32 v16, 16, v0
	v_mad_u64_u32 v[6:7], s[0:1], s24, v16, 0
	v_mov_b32_e32 v14, v7
	v_mad_u64_u32 v[16:17], s[0:1], s25, v16, v[14:15]
	v_mov_b32_e32 v7, v16
	v_lshl_add_u64 v[6:7], v[6:7], 2, s[40:41]
	global_load_dword v27, v[6:7], off
	s_and_saveexec_b64 s[0:1], s[14:15]
	s_cbranch_execz .LBB67_37
; %bb.36:
	v_lshl_add_u64 v[2:3], v[2:3], 2, s[30:31]
	v_lshl_add_u64 v[6:7], s[16:17], 2, v[2:3]
	global_load_dword v12, v[2:3], off offset:64
	global_load_dword v13, v[6:7], off offset:64
.LBB67_37:
	s_or_b64 exec, exec, s[0:1]
	ds_read_b64 v[2:3], v35
	s_waitcnt vmcnt(0)
	v_mul_f32_e32 v16, v27, v12
	v_mul_f32_e32 v6, v26, v22
	s_waitcnt lgkmcnt(0)
	s_barrier
	v_fma_f32 v14, v22, v2, 0
	v_fma_f32 v18, v12, v2, 0
	v_mov_b32_e32 v12, v23
	v_fmac_f32_e32 v14, v23, v3
	v_fmac_f32_e32 v18, v13, v3
	v_pk_mul_f32 v[2:3], v[26:27], v[12:13]
	s_nop 0
	v_mov_b32_e32 v7, v2
	v_pk_add_f32 v[6:7], v[10:11], v[6:7]
	v_mov_b32_e32 v17, v3
	v_pk_add_f32 v[10:11], v[6:7], v[16:17]
	v_add_u32_e32 v2, v34, v1
	ds_write2_b32 v2, v14, v18 offset1:16
	s_waitcnt lgkmcnt(0)
	s_barrier
	s_and_saveexec_b64 s[0:1], s[6:7]
	s_cbranch_execz .LBB67_39
; %bb.38:
	ds_read2_b32 v[2:3], v29 offset1:32
	ds_read2_b32 v[6:7], v29 offset0:64 offset1:96
	ds_read2_b32 v[12:13], v29 offset0:128 offset1:160
	;; [unrolled: 1-line block ×3, first 2 shown]
	v_add_u32_e32 v14, 0x400, v29
	s_waitcnt lgkmcnt(3)
	v_add_f32_e32 v2, 0, v2
	v_add_f32_e32 v2, v2, v3
	s_waitcnt lgkmcnt(2)
	v_add_f32_e32 v2, v2, v6
	v_add_f32_e32 v2, v2, v7
	s_waitcnt lgkmcnt(1)
	v_add_f32_e32 v6, v2, v12
	ds_read2_b32 v[2:3], v14 offset1:32
	v_add_f32_e32 v6, v6, v13
	s_waitcnt lgkmcnt(1)
	v_add_f32_e32 v6, v6, v16
	v_add_f32_e32 v12, v6, v17
	ds_read2_b32 v[6:7], v14 offset0:64 offset1:96
	s_waitcnt lgkmcnt(1)
	v_add_f32_e32 v2, v12, v2
	ds_read2_b32 v[12:13], v14 offset0:128 offset1:160
	v_add_f32_e32 v16, v2, v3
	ds_read2_b32 v[2:3], v14 offset0:192 offset1:224
	s_waitcnt lgkmcnt(2)
	v_add_f32_e32 v6, v16, v6
	v_add_f32_e32 v6, v6, v7
	s_waitcnt lgkmcnt(1)
	v_add_f32_e32 v6, v6, v12
	v_add_f32_e32 v6, v6, v13
	s_waitcnt lgkmcnt(0)
	v_add_f32_e32 v2, v6, v2
	v_add_f32_e32 v6, v2, v3
	v_lshl_add_u64 v[2:3], v[4:5], 2, v[8:9]
	v_mul_f32_e32 v4, s33, v6
	global_atomic_add_f32 v[2:3], v4, off
.LBB67_39:
	s_or_b64 exec, exec, s[0:1]
	v_mov_b32_e32 v4, v1
.LBB67_40:
	v_lshl_add_u32 v1, v0, 2, v4
	v_add_u32_e32 v1, 0x800, v1
	ds_write2_b32 v1, v10, v11 offset1:16
	s_waitcnt lgkmcnt(0)
	s_barrier
	s_and_saveexec_b64 s[0:1], s[6:7]
	s_cbranch_execz .LBB67_43
; %bb.41:
	s_cmp_lt_u32 s2, s43
	v_cmp_gt_i32_e32 vcc, s42, v15
	s_cselect_b64 s[0:1], -1, 0
	s_or_b64 s[0:1], vcc, s[0:1]
	s_and_b64 exec, exec, s[0:1]
	s_cbranch_execz .LBB67_43
; %bb.42:
	v_mov_b32_e32 v1, 0x800
	v_add_u32_e32 v3, 1, v15
	v_add_u32_e32 v4, 2, v15
	;; [unrolled: 1-line block ×3, first 2 shown]
	s_waitcnt vmcnt(1)
	v_add_u32_e32 v6, 4, v15
	s_waitcnt vmcnt(0)
	v_add_u32_e32 v7, 5, v15
	v_add_u32_e32 v8, 6, v15
	;; [unrolled: 1-line block ×3, first 2 shown]
	v_lshl_add_u32 v1, v15, 6, v1
	v_and_b32_e32 v3, 15, v3
	v_and_b32_e32 v4, 15, v4
	;; [unrolled: 1-line block ×7, first 2 shown]
	v_lshl_or_b32 v2, v0, 2, v1
	v_lshl_or_b32 v3, v3, 2, v1
	;; [unrolled: 1-line block ×8, first 2 shown]
	ds_read_b32 v2, v2
	ds_read_b32 v3, v3
	;; [unrolled: 1-line block ×8, first 2 shown]
	s_waitcnt lgkmcnt(7)
	v_add_f32_e32 v2, 0, v2
	s_waitcnt lgkmcnt(6)
	v_add_f32_e32 v2, v2, v3
	;; [unrolled: 2-line block ×8, first 2 shown]
	v_add_u32_e32 v3, 9, v15
	v_add_u32_e32 v4, 10, v15
	;; [unrolled: 1-line block ×6, first 2 shown]
	v_add_u32_e32 v9, -1, v15
	v_xor_b32_e32 v0, 8, v0
	v_and_b32_e32 v3, 15, v3
	v_and_b32_e32 v4, 15, v4
	;; [unrolled: 1-line block ×7, first 2 shown]
	v_lshl_or_b32 v0, v0, 2, v1
	v_lshl_or_b32 v3, v3, 2, v1
	;; [unrolled: 1-line block ×8, first 2 shown]
	ds_read_b32 v0, v0
	ds_read_b32 v3, v3
	;; [unrolled: 1-line block ×8, first 2 shown]
	s_waitcnt lgkmcnt(7)
	v_add_f32_e32 v0, v2, v0
	s_waitcnt lgkmcnt(6)
	v_add_f32_e32 v0, v0, v3
	;; [unrolled: 2-line block ×3, first 2 shown]
	s_mul_i32 s0, s10, s23
	s_mul_hi_u32 s1, s10, s22
	s_waitcnt lgkmcnt(4)
	v_add_f32_e32 v0, v0, v5
	s_add_i32 s0, s1, s0
	s_mul_i32 s1, s11, s22
	s_waitcnt lgkmcnt(3)
	v_add_f32_e32 v0, v0, v6
	s_add_i32 s1, s0, s1
	s_mul_i32 s0, s10, s22
	s_waitcnt lgkmcnt(2)
	v_add_f32_e32 v0, v0, v7
	s_lshl_b64 s[0:1], s[0:1], 2
	s_waitcnt lgkmcnt(1)
	v_add_f32_e32 v0, v0, v8
	s_add_u32 s0, s3, s0
	s_waitcnt lgkmcnt(0)
	v_add_f32_e32 v4, v0, v1
	v_mad_u64_u32 v[0:1], s[2:3], s10, v15, 0
	v_mov_b32_e32 v2, v1
	v_mad_u64_u32 v[2:3], s[2:3], s11, v15, v[2:3]
	s_addc_u32 s1, s44, s1
	v_mov_b32_e32 v1, v2
	v_lshl_add_u64 v[0:1], v[0:1], 2, s[0:1]
	v_mul_f32_e32 v2, s33, v4
	global_atomic_add_f32 v[0:1], v2, off
.LBB67_43:
	s_endpgm
	.section	.rodata,"a",@progbits
	.p2align	6, 0x0
	.amdhsa_kernel _ZL62rocblas_symv_kernel_upper_double_buffered_non_diagonal_genericILi32ELi8ELi2ELi0E24rocblas_internal_val_ptrIfEPKfPfEvbiT3_lT4_lllS6_lllT5_lllii
		.amdhsa_group_segment_fixed_size 4224
		.amdhsa_private_segment_fixed_size 0
		.amdhsa_kernarg_size 384
		.amdhsa_user_sgpr_count 2
		.amdhsa_user_sgpr_dispatch_ptr 0
		.amdhsa_user_sgpr_queue_ptr 0
		.amdhsa_user_sgpr_kernarg_segment_ptr 1
		.amdhsa_user_sgpr_dispatch_id 0
		.amdhsa_user_sgpr_kernarg_preload_length 0
		.amdhsa_user_sgpr_kernarg_preload_offset 0
		.amdhsa_user_sgpr_private_segment_size 0
		.amdhsa_uses_dynamic_stack 0
		.amdhsa_enable_private_segment 0
		.amdhsa_system_sgpr_workgroup_id_x 1
		.amdhsa_system_sgpr_workgroup_id_y 1
		.amdhsa_system_sgpr_workgroup_id_z 1
		.amdhsa_system_sgpr_workgroup_info 0
		.amdhsa_system_vgpr_workitem_id 1
		.amdhsa_next_free_vgpr 40
		.amdhsa_next_free_sgpr 52
		.amdhsa_accum_offset 40
		.amdhsa_reserve_vcc 1
		.amdhsa_float_round_mode_32 0
		.amdhsa_float_round_mode_16_64 0
		.amdhsa_float_denorm_mode_32 3
		.amdhsa_float_denorm_mode_16_64 3
		.amdhsa_dx10_clamp 1
		.amdhsa_ieee_mode 1
		.amdhsa_fp16_overflow 0
		.amdhsa_tg_split 0
		.amdhsa_exception_fp_ieee_invalid_op 0
		.amdhsa_exception_fp_denorm_src 0
		.amdhsa_exception_fp_ieee_div_zero 0
		.amdhsa_exception_fp_ieee_overflow 0
		.amdhsa_exception_fp_ieee_underflow 0
		.amdhsa_exception_fp_ieee_inexact 0
		.amdhsa_exception_int_div_zero 0
	.end_amdhsa_kernel
	.section	.text._ZL62rocblas_symv_kernel_upper_double_buffered_non_diagonal_genericILi32ELi8ELi2ELi0E24rocblas_internal_val_ptrIfEPKfPfEvbiT3_lT4_lllS6_lllT5_lllii,"axG",@progbits,_ZL62rocblas_symv_kernel_upper_double_buffered_non_diagonal_genericILi32ELi8ELi2ELi0E24rocblas_internal_val_ptrIfEPKfPfEvbiT3_lT4_lllS6_lllT5_lllii,comdat
.Lfunc_end67:
	.size	_ZL62rocblas_symv_kernel_upper_double_buffered_non_diagonal_genericILi32ELi8ELi2ELi0E24rocblas_internal_val_ptrIfEPKfPfEvbiT3_lT4_lllS6_lllT5_lllii, .Lfunc_end67-_ZL62rocblas_symv_kernel_upper_double_buffered_non_diagonal_genericILi32ELi8ELi2ELi0E24rocblas_internal_val_ptrIfEPKfPfEvbiT3_lT4_lllS6_lllT5_lllii
                                        ; -- End function
	.set _ZL62rocblas_symv_kernel_upper_double_buffered_non_diagonal_genericILi32ELi8ELi2ELi0E24rocblas_internal_val_ptrIfEPKfPfEvbiT3_lT4_lllS6_lllT5_lllii.num_vgpr, 40
	.set _ZL62rocblas_symv_kernel_upper_double_buffered_non_diagonal_genericILi32ELi8ELi2ELi0E24rocblas_internal_val_ptrIfEPKfPfEvbiT3_lT4_lllS6_lllT5_lllii.num_agpr, 0
	.set _ZL62rocblas_symv_kernel_upper_double_buffered_non_diagonal_genericILi32ELi8ELi2ELi0E24rocblas_internal_val_ptrIfEPKfPfEvbiT3_lT4_lllS6_lllT5_lllii.numbered_sgpr, 52
	.set _ZL62rocblas_symv_kernel_upper_double_buffered_non_diagonal_genericILi32ELi8ELi2ELi0E24rocblas_internal_val_ptrIfEPKfPfEvbiT3_lT4_lllS6_lllT5_lllii.num_named_barrier, 0
	.set _ZL62rocblas_symv_kernel_upper_double_buffered_non_diagonal_genericILi32ELi8ELi2ELi0E24rocblas_internal_val_ptrIfEPKfPfEvbiT3_lT4_lllS6_lllT5_lllii.private_seg_size, 0
	.set _ZL62rocblas_symv_kernel_upper_double_buffered_non_diagonal_genericILi32ELi8ELi2ELi0E24rocblas_internal_val_ptrIfEPKfPfEvbiT3_lT4_lllS6_lllT5_lllii.uses_vcc, 1
	.set _ZL62rocblas_symv_kernel_upper_double_buffered_non_diagonal_genericILi32ELi8ELi2ELi0E24rocblas_internal_val_ptrIfEPKfPfEvbiT3_lT4_lllS6_lllT5_lllii.uses_flat_scratch, 0
	.set _ZL62rocblas_symv_kernel_upper_double_buffered_non_diagonal_genericILi32ELi8ELi2ELi0E24rocblas_internal_val_ptrIfEPKfPfEvbiT3_lT4_lllS6_lllT5_lllii.has_dyn_sized_stack, 0
	.set _ZL62rocblas_symv_kernel_upper_double_buffered_non_diagonal_genericILi32ELi8ELi2ELi0E24rocblas_internal_val_ptrIfEPKfPfEvbiT3_lT4_lllS6_lllT5_lllii.has_recursion, 0
	.set _ZL62rocblas_symv_kernel_upper_double_buffered_non_diagonal_genericILi32ELi8ELi2ELi0E24rocblas_internal_val_ptrIfEPKfPfEvbiT3_lT4_lllS6_lllT5_lllii.has_indirect_call, 0
	.section	.AMDGPU.csdata,"",@progbits
; Kernel info:
; codeLenInByte = 3040
; TotalNumSgprs: 58
; NumVgprs: 40
; NumAgprs: 0
; TotalNumVgprs: 40
; ScratchSize: 0
; MemoryBound: 0
; FloatMode: 240
; IeeeMode: 1
; LDSByteSize: 4224 bytes/workgroup (compile time only)
; SGPRBlocks: 7
; VGPRBlocks: 4
; NumSGPRsForWavesPerEU: 58
; NumVGPRsForWavesPerEU: 40
; AccumOffset: 40
; Occupancy: 8
; WaveLimiterHint : 0
; COMPUTE_PGM_RSRC2:SCRATCH_EN: 0
; COMPUTE_PGM_RSRC2:USER_SGPR: 2
; COMPUTE_PGM_RSRC2:TRAP_HANDLER: 0
; COMPUTE_PGM_RSRC2:TGID_X_EN: 1
; COMPUTE_PGM_RSRC2:TGID_Y_EN: 1
; COMPUTE_PGM_RSRC2:TGID_Z_EN: 1
; COMPUTE_PGM_RSRC2:TIDIG_COMP_CNT: 1
; COMPUTE_PGM_RSRC3_GFX90A:ACCUM_OFFSET: 9
; COMPUTE_PGM_RSRC3_GFX90A:TG_SPLIT: 0
	.section	.text._ZL62rocblas_symv_kernel_upper_double_buffered_non_diagonal_genericILi32ELi8ELi2ELi1E24rocblas_internal_val_ptrIfEPKfPfEvbiT3_lT4_lllS6_lllT5_lllii,"axG",@progbits,_ZL62rocblas_symv_kernel_upper_double_buffered_non_diagonal_genericILi32ELi8ELi2ELi1E24rocblas_internal_val_ptrIfEPKfPfEvbiT3_lT4_lllS6_lllT5_lllii,comdat
	.globl	_ZL62rocblas_symv_kernel_upper_double_buffered_non_diagonal_genericILi32ELi8ELi2ELi1E24rocblas_internal_val_ptrIfEPKfPfEvbiT3_lT4_lllS6_lllT5_lllii ; -- Begin function _ZL62rocblas_symv_kernel_upper_double_buffered_non_diagonal_genericILi32ELi8ELi2ELi1E24rocblas_internal_val_ptrIfEPKfPfEvbiT3_lT4_lllS6_lllT5_lllii
	.p2align	8
	.type	_ZL62rocblas_symv_kernel_upper_double_buffered_non_diagonal_genericILi32ELi8ELi2ELi1E24rocblas_internal_val_ptrIfEPKfPfEvbiT3_lT4_lllS6_lllT5_lllii,@function
_ZL62rocblas_symv_kernel_upper_double_buffered_non_diagonal_genericILi32ELi8ELi2ELi1E24rocblas_internal_val_ptrIfEPKfPfEvbiT3_lT4_lllS6_lllT5_lllii: ; @_ZL62rocblas_symv_kernel_upper_double_buffered_non_diagonal_genericILi32ELi8ELi2ELi1E24rocblas_internal_val_ptrIfEPKfPfEvbiT3_lT4_lllS6_lllT5_lllii
; %bb.0:
	s_load_dword s5, s[0:1], 0x0
	s_load_dwordx16 s[8:23], s[0:1], 0x8
	s_waitcnt lgkmcnt(0)
	s_bitcmp0_b32 s5, 0
	s_cbranch_scc0 .LBB68_2
; %bb.1:
	s_mul_i32 s5, s11, s4
	s_mul_hi_u32 s6, s10, s4
	s_add_i32 s7, s6, s5
	s_mul_i32 s6, s10, s4
	s_lshl_b64 s[6:7], s[6:7], 2
	s_add_u32 s6, s8, s6
	s_addc_u32 s7, s9, s7
	s_load_dword s33, s[6:7], 0x0
	s_cbranch_execz .LBB68_3
	s_branch .LBB68_4
.LBB68_2:
                                        ; implicit-def: $sgpr33
.LBB68_3:
	s_waitcnt lgkmcnt(0)
	s_mov_b32 s33, s8
.LBB68_4:
	s_waitcnt lgkmcnt(0)
	v_cmp_eq_f32_e64 s[6:7], s33, 0
	s_and_b64 vcc, exec, s[6:7]
	s_cbranch_vccnz .LBB68_75
; %bb.5:
	s_load_dword s5, s[0:1], 0x84
	s_add_u32 s6, s0, 0x80
	s_addc_u32 s7, s1, 0
	s_cmp_eq_u32 s2, 0
	s_waitcnt lgkmcnt(0)
	v_cvt_f32_u32_e32 v1, s5
	v_rcp_iflag_f32_e32 v1, v1
	s_nop 0
	v_mul_f32_e32 v1, 0x4f7ffffe, v1
	v_cvt_u32_f32_e32 v1, v1
	s_nop 0
	v_readfirstlane_b32 s8, v1
	s_cbranch_scc1 .LBB68_75
; %bb.6:
	s_sub_i32 s9, 0, s5
	s_mul_i32 s9, s9, s8
	s_mul_hi_u32 s9, s8, s9
	s_add_i32 s8, s8, s9
	s_mul_hi_u32 s8, s2, s8
	s_mul_i32 s9, s8, s5
	s_sub_i32 s9, s2, s9
	s_add_i32 s10, s8, 1
	s_sub_i32 s11, s9, s5
	s_cmp_ge_u32 s9, s5
	s_cselect_b32 s8, s10, s8
	s_cselect_b32 s9, s11, s9
	s_add_i32 s10, s8, 1
	s_cmp_ge_u32 s9, s5
	s_cselect_b32 s36, s10, s8
	s_add_i32 s8, s5, -1
	s_cmp_lg_u32 s3, s8
	s_mov_b32 s51, s36
	s_cbranch_scc1 .LBB68_8
; %bb.7:
	s_mul_i32 s5, s36, s5
	s_sub_i32 s5, s2, s5
	s_add_i32 s51, s5, s36
.LBB68_8:
	s_cmp_eq_u32 s51, 0
	s_cbranch_scc1 .LBB68_75
; %bb.9:
	s_load_dwordx4 s[28:31], s[0:1], 0x48
	s_load_dword s46, s[6:7], 0x0
	v_and_b32_e32 v13, 0x3ff, v0
	v_bfe_u32 v1, v0, 10, 10
	v_lshl_add_u32 v14, v1, 5, v13
	s_waitcnt lgkmcnt(0)
	s_mul_i32 s5, s31, s4
	s_mul_hi_u32 s9, s30, s4
	s_mul_i32 s8, s30, s4
	s_add_i32 s9, s9, s5
	s_lshl_b64 s[34:35], s[8:9], 2
	s_add_u32 s5, s20, s34
	s_addc_u32 s8, s21, s35
	s_lshl_b64 s[30:31], s[22:23], 2
	s_add_u32 s5, s5, s30
	s_addc_u32 s44, s8, s31
	s_lshl_b32 s22, s2, 5
	s_ashr_i32 s23, s22, 31
	s_mul_i32 s8, s28, s23
	s_mul_hi_u32 s9, s28, s22
	s_add_i32 s8, s9, s8
	s_mul_i32 s9, s29, s22
	s_add_i32 s9, s8, s9
	s_mul_i32 s8, s28, s22
	s_lshl_b64 s[6:7], s[8:9], 2
	s_add_u32 s10, s5, s6
	s_addc_u32 s11, s44, s7
	s_add_i32 s46, s46, -1
	s_cmp_lg_u32 s2, s46
	s_cselect_b64 s[6:7], -1, 0
	v_cmp_eq_u32_e64 s[8:9], 0, v1
	s_mov_b64 s[24:25], -1
	s_and_b64 vcc, exec, s[6:7]
	s_cbranch_vccz .LBB68_13
; %bb.10:
	s_and_saveexec_b64 s[24:25], s[8:9]
	s_cbranch_execz .LBB68_12
; %bb.11:
	v_mad_u64_u32 v[2:3], s[26:27], s28, v13, 0
	v_mov_b32_e32 v4, v3
	v_mad_u64_u32 v[4:5], s[26:27], s29, v13, v[4:5]
	v_mov_b32_e32 v3, v4
	v_lshl_add_u64 v[2:3], v[2:3], 2, s[10:11]
	global_load_dword v1, v[2:3], off
	v_lshlrev_b32_e32 v2, 2, v13
	s_waitcnt vmcnt(0)
	ds_write_b32 v2, v1 offset:4096
.LBB68_12:
	s_or_b64 exec, exec, s[24:25]
	s_mov_b64 s[24:25], 0
.LBB68_13:
	s_load_dword s47, s[0:1], 0x78
	v_and_b32_e32 v0, 15, v0
	s_andn2_b64 vcc, exec, s[24:25]
	v_lshrrev_b32_e32 v4, 4, v14
	s_cbranch_vccnz .LBB68_19
; %bb.14:
	s_and_saveexec_b64 s[24:25], s[8:9]
	s_cbranch_execz .LBB68_18
; %bb.15:
	s_waitcnt lgkmcnt(0)
	v_cmp_gt_i32_e32 vcc, s47, v13
	v_mov_b32_e32 v1, 0
	s_and_saveexec_b64 s[26:27], vcc
	s_cbranch_execz .LBB68_17
; %bb.16:
	v_mad_u64_u32 v[2:3], s[38:39], s28, v13, 0
	v_mov_b32_e32 v6, v3
	v_mad_u64_u32 v[6:7], s[38:39], s29, v13, v[6:7]
	v_mov_b32_e32 v3, v6
	v_lshl_add_u64 v[2:3], v[2:3], 2, s[10:11]
	global_load_dword v1, v[2:3], off
.LBB68_17:
	s_or_b64 exec, exec, s[26:27]
	v_lshlrev_b32_e32 v2, 2, v13
	s_waitcnt vmcnt(0)
	ds_write_b32 v2, v1 offset:4096
.LBB68_18:
	s_or_b64 exec, exec, s[24:25]
	v_lshlrev_b32_e32 v1, 2, v0
	v_lshl_or_b32 v1, v4, 7, v1
	v_mov_b32_e32 v2, 0
	ds_write2_b32 v1, v2, v2 offset1:16
	v_add_u32_e32 v1, 0x800, v1
	ds_write2_b32 v1, v2, v2 offset1:16
.LBB68_19:
	s_waitcnt lgkmcnt(0)
	s_lshr_b32 s10, s47, 31
	s_add_i32 s10, s47, s10
	s_ashr_i32 s52, s10, 1
	s_mul_i32 s10, s19, s4
	s_mul_hi_u32 s11, s18, s4
	s_add_i32 s11, s11, s10
	s_mul_i32 s10, s18, s4
	s_lshl_b64 s[38:39], s[10:11], 2
	s_add_u32 s10, s12, s38
	s_addc_u32 s11, s13, s39
	s_lshl_b64 s[40:41], s[14:15], 2
	s_add_u32 s14, s10, s40
	s_addc_u32 s15, s11, s41
	s_mul_i32 s10, s16, s23
	s_mul_hi_u32 s11, s16, s22
	s_add_i32 s10, s11, s10
	s_mul_i32 s11, s17, s22
	s_add_i32 s11, s10, s11
	s_mul_i32 s10, s16, s22
	s_lshl_b64 s[10:11], s[10:11], 2
	s_add_u32 s49, s14, s10
	s_mul_i32 s3, s3, s36
	s_load_dwordx2 s[42:43], s[0:1], 0x58
	s_addc_u32 s50, s15, s11
	s_lshl_b32 s18, s3, 5
	v_lshlrev_b32_e32 v5, 1, v4
	v_mov_b32_e32 v1, 0
	s_ashr_i32 s19, s18, 31
	v_mad_u64_u32 v[2:3], s[10:11], s16, v5, v[0:1]
	s_lshl_b64 s[14:15], s[18:19], 2
	v_mov_b32_e32 v6, v3
	s_add_u32 s36, s49, s14
	v_mad_u64_u32 v[6:7], s[10:11], s17, v5, v[6:7]
	v_cndmask_b32_e64 v1, 0, 1, s[6:7]
	s_addc_u32 s37, s50, s15
	v_cmp_ne_u32_e64 s[10:11], 1, v1
	s_andn2_b64 vcc, exec, s[6:7]
	v_mov_b32_e32 v3, v6
	s_waitcnt lgkmcnt(0)
	s_barrier
	s_cbranch_vccnz .LBB68_21
; %bb.20:
	v_lshl_add_u64 v[6:7], v[2:3], 2, s[36:37]
	v_lshl_add_u64 v[8:9], s[16:17], 2, v[6:7]
	global_load_dword v10, v[6:7], off
	global_load_dword v11, v[8:9], off
	v_cmp_le_i32_e64 s[6:7], s52, v4
	s_cbranch_execz .LBB68_22
	s_branch .LBB68_29
.LBB68_21:
                                        ; implicit-def: $vgpr10_vgpr11
	v_cmp_le_i32_e64 s[6:7], s52, v4
.LBB68_22:
                                        ; implicit-def: $vgpr10_vgpr11
	s_and_saveexec_b64 s[24:25], s[6:7]
	s_xor_b64 s[6:7], exec, s[24:25]
	s_cbranch_execz .LBB68_26
; %bb.23:
	s_waitcnt vmcnt(1)
	v_mov_b32_e32 v10, 0
	v_cmp_eq_u32_e32 vcc, s52, v4
	s_waitcnt vmcnt(0)
	v_mov_b32_e32 v11, v10
	s_and_saveexec_b64 s[24:25], vcc
	s_cbranch_execz .LBB68_25
; %bb.24:
	v_lshl_add_u64 v[6:7], v[2:3], 2, s[36:37]
	global_load_dword v6, v[6:7], off
	v_mov_b32_e32 v7, v10
	s_waitcnt vmcnt(0)
	v_mov_b64_e32 v[10:11], v[6:7]
.LBB68_25:
	s_or_b64 exec, exec, s[24:25]
.LBB68_26:
	s_andn2_saveexec_b64 s[6:7], s[6:7]
	s_cbranch_execz .LBB68_28
; %bb.27:
	v_lshl_add_u64 v[6:7], v[2:3], 2, s[36:37]
	v_lshl_add_u64 v[8:9], s[16:17], 2, v[6:7]
	global_load_dword v10, v[6:7], off
	global_load_dword v11, v[8:9], off
.LBB68_28:
	s_or_b64 exec, exec, s[6:7]
.LBB68_29:
	s_load_dwordx2 s[6:7], s[0:1], 0x70
	s_load_dwordx4 s[24:27], s[0:1], 0x60
	v_lshlrev_b32_e32 v29, 7, v4
	s_waitcnt lgkmcnt(0)
	s_mul_i32 s1, s7, s4
	s_mul_hi_u32 s3, s6, s4
	s_mul_i32 s0, s6, s4
	s_add_i32 s1, s3, s1
	s_lshl_b64 s[0:1], s[0:1], 2
	s_add_u32 s3, s42, s0
	s_addc_u32 s4, s43, s1
	s_lshl_b64 s[0:1], s[24:25], 2
	s_add_u32 s3, s3, s0
	s_addc_u32 s48, s4, s1
	s_cmp_gt_i32 s51, 0
	s_cbranch_scc1 .LBB68_31
; %bb.30:
	v_lshlrev_b32_e32 v1, 7, v4
	v_mov_b32_e32 v9, 0
	v_mov_b32_e32 v8, 0
	s_cbranch_execz .LBB68_32
	s_branch .LBB68_72
.LBB68_31:
                                        ; implicit-def: $vgpr1
	v_mov_b32_e32 v9, 0
	v_mov_b32_e32 v8, 0
.LBB68_32:
	v_mad_u64_u32 v[6:7], s[0:1], s28, v0, 0
	v_mov_b32_e32 v8, v7
	v_mad_u64_u32 v[8:9], s[0:1], s29, v0, v[8:9]
	s_mul_i32 s0, s28, s19
	s_mul_hi_u32 s1, s28, s18
	s_add_i32 s0, s1, s0
	s_mul_i32 s1, s29, s18
	s_add_i32 s1, s0, s1
	s_mul_i32 s0, s28, s18
	s_lshl_b64 s[42:43], s[0:1], 2
	s_add_u32 s24, s5, s42
	v_mov_b32_e32 v7, v8
	s_addc_u32 s25, s44, s43
	v_lshl_add_u64 v[6:7], v[6:7], 2, s[24:25]
	global_load_dword v12, v[6:7], off
	s_mul_i32 s0, s26, s19
	s_mul_hi_u32 s1, s26, s18
	s_add_i32 s0, s1, s0
	s_mul_i32 s1, s27, s18
	s_add_i32 s1, s0, s1
	s_mul_i32 s0, s26, s18
	s_lshl_b64 s[0:1], s[0:1], 2
	s_add_u32 s44, s3, s0
	v_mov_b32_e32 v1, 0x1000
	s_addc_u32 s45, s48, s1
	v_cmp_le_i32_e64 s[6:7], s52, v4
	v_cmp_eq_u32_e64 s[4:5], s52, v4
	v_lshl_add_u32 v36, v5, 2, v1
	v_mad_u64_u32 v[4:5], s[0:1], s26, v13, 0
	v_mov_b32_e32 v6, v5
	v_mad_u64_u32 v[6:7], s[0:1], s27, v13, v[6:7]
	v_lshlrev_b32_e32 v35, 2, v0
	v_lshlrev_b32_e32 v34, 2, v13
	v_mov_b32_e32 v5, v6
	v_mov_b32_e32 v15, 0
	s_cmp_eq_u32 s51, 1
	s_cbranch_scc1 .LBB68_58
; %bb.33:
	s_lshl_b64 s[0:1], s[28:29], 7
	s_lshl_b64 s[18:19], s[26:27], 7
	s_add_i32 s51, s51, -1
	v_lshrrev_b32_e32 v1, 1, v14
	v_and_b32_e32 v8, 0x7ff8, v1
	v_mov_b32_e32 v9, 0
	s_add_u32 s24, s40, s38
	v_lshl_add_u64 v[6:7], s[22:23], 2, v[8:9]
	s_addc_u32 s25, s41, s39
	v_lshl_add_u64 v[14:15], v[6:7], 0, 4
	v_mov_b64_e32 v[18:19], s[24:25]
	v_mad_u64_u32 v[16:17], s[24:25], s16, v14, v[18:19]
	v_mul_lo_u32 v1, s16, v15
	v_mul_lo_u32 v8, s17, v14
	v_add3_u32 v17, v8, v17, v1
	v_lshlrev_b32_e32 v8, 2, v0
	v_lshl_add_u64 v[14:15], v[16:17], 0, v[8:9]
	v_lshl_add_u64 v[16:17], s[12:13], 0, v[14:15]
	v_mad_u64_u32 v[14:15], s[24:25], s16, v6, v[18:19]
	v_mul_lo_u32 v1, s16, v7
	v_mul_lo_u32 v6, s17, v6
	v_add3_u32 v15, v6, v15, v1
	v_lshl_add_u64 v[6:7], v[14:15], 0, v[8:9]
	v_lshl_add_u64 v[18:19], s[12:13], 0, v[6:7]
	s_add_u32 s12, s20, s34
	v_lshl_add_u64 v[6:7], s[14:15], 0, v[8:9]
	s_addc_u32 s13, s21, s35
	v_lshl_add_u64 v[14:15], v[6:7], 0, 64
	v_mov_b64_e32 v[22:23], s[12:13]
	v_mad_u64_u32 v[20:21], s[12:13], s28, v14, v[22:23]
	s_add_u32 s12, s42, s34
	s_addc_u32 s13, s43, s35
	s_add_u32 s34, s20, s12
	s_addc_u32 s35, s21, s13
	s_mov_b64 s[12:13], 0x80
	v_mul_lo_u32 v1, s28, v15
	v_mul_lo_u32 v8, s29, v14
	v_lshl_add_u64 v[6:7], v[6:7], 0, s[12:13]
	v_add3_u32 v21, v8, v21, v1
	v_mul_lo_u32 v1, s28, v7
	v_mul_lo_u32 v7, s29, v6
	v_mad_u64_u32 v[24:25], s[20:21], s28, v6, v[22:23]
	v_add3_u32 v25, v7, v25, v1
	v_mov_b64_e32 v[6:7], s[44:45]
	v_mov_b32_e32 v8, v9
	v_mov_b32_e32 v22, v9
	;; [unrolled: 1-line block ×3, first 2 shown]
.LBB68_34:                              ; =>This Inner Loop Header: Depth=1
	v_lshl_add_u64 v[14:15], v[20:21], 0, s[30:31]
	global_load_dword v28, v[14:15], off
	s_and_b64 vcc, exec, s[10:11]
	s_mov_b64 s[20:21], -1
                                        ; implicit-def: $vgpr15
                                        ; implicit-def: $vgpr30_vgpr31
	s_cbranch_vccnz .LBB68_38
; %bb.35:                               ;   in Loop: Header=BB68_34 Depth=1
	v_lshl_add_u64 v[14:15], v[18:19], 0, s[14:15]
	v_lshl_add_u64 v[26:27], v[16:17], 0, s[14:15]
	global_load_dword v14, v[14:15], off offset:64
	s_nop 0
	global_load_dword v15, v[26:27], off offset:64
	s_waitcnt vmcnt(0)
	v_mov_b64_e32 v[30:31], v[14:15]
	s_cbranch_execz .LBB68_39
.LBB68_36:                              ;   in Loop: Header=BB68_34 Depth=1
	ds_read_b64 v[32:33], v36
	s_and_b64 vcc, exec, s[10:11]
	s_mov_b64 s[20:21], -1
                                        ; implicit-def: $vgpr22_vgpr23
	s_cbranch_vccnz .LBB68_46
.LBB68_37:                              ;   in Loop: Header=BB68_34 Depth=1
	v_lshl_add_u64 v[22:23], v[18:19], 0, s[14:15]
	v_lshl_add_u64 v[26:27], v[16:17], 0, s[14:15]
	global_load_dword v22, v[22:23], off offset:128
	s_nop 0
	global_load_dword v23, v[26:27], off offset:128
	s_cbranch_execnz .LBB68_54
	s_branch .LBB68_47
.LBB68_38:                              ;   in Loop: Header=BB68_34 Depth=1
	s_andn2_b64 vcc, exec, s[20:21]
	s_cbranch_vccnz .LBB68_36
.LBB68_39:                              ;   in Loop: Header=BB68_34 Depth=1
                                        ; implicit-def: $vgpr30_vgpr31
	s_and_saveexec_b64 s[20:21], s[6:7]
	s_xor_b64 s[20:21], exec, s[20:21]
	s_cbranch_execz .LBB68_43
; %bb.40:                               ;   in Loop: Header=BB68_34 Depth=1
	v_mov_b64_e32 v[30:31], v[22:23]
	s_and_saveexec_b64 s[24:25], s[4:5]
	s_cbranch_execz .LBB68_42
; %bb.41:                               ;   in Loop: Header=BB68_34 Depth=1
	v_lshl_add_u64 v[14:15], v[18:19], 0, s[14:15]
	global_load_dword v22, v[14:15], off offset:64
	s_waitcnt vmcnt(0)
	v_mov_b64_e32 v[30:31], v[22:23]
.LBB68_42:                              ;   in Loop: Header=BB68_34 Depth=1
	s_or_b64 exec, exec, s[24:25]
.LBB68_43:                              ;   in Loop: Header=BB68_34 Depth=1
	s_andn2_saveexec_b64 s[20:21], s[20:21]
	s_cbranch_execz .LBB68_45
; %bb.44:                               ;   in Loop: Header=BB68_34 Depth=1
	v_lshl_add_u64 v[14:15], v[18:19], 0, s[14:15]
	global_load_dword v22, v[14:15], off offset:64
	v_lshl_add_u64 v[14:15], v[16:17], 0, s[14:15]
	global_load_dword v23, v[14:15], off offset:64
	s_waitcnt vmcnt(0)
	v_mov_b64_e32 v[30:31], v[22:23]
.LBB68_45:                              ;   in Loop: Header=BB68_34 Depth=1
	s_or_b64 exec, exec, s[20:21]
	v_mov_b32_e32 v14, v22
	v_mov_b32_e32 v15, v23
	ds_read_b64 v[32:33], v36
	s_and_b64 vcc, exec, s[10:11]
	s_mov_b64 s[20:21], -1
                                        ; implicit-def: $vgpr22_vgpr23
	s_cbranch_vccz .LBB68_37
.LBB68_46:                              ;   in Loop: Header=BB68_34 Depth=1
	s_andn2_b64 vcc, exec, s[20:21]
	s_cbranch_vccnz .LBB68_54
.LBB68_47:                              ;   in Loop: Header=BB68_34 Depth=1
                                        ; implicit-def: $vgpr22_vgpr23
	s_and_saveexec_b64 s[20:21], s[6:7]
	s_xor_b64 s[20:21], exec, s[20:21]
	s_cbranch_execz .LBB68_51
; %bb.48:                               ;   in Loop: Header=BB68_34 Depth=1
	s_waitcnt vmcnt(0)
	v_mov_b64_e32 v[22:23], v[10:11]
	s_and_saveexec_b64 s[24:25], s[4:5]
	s_cbranch_execz .LBB68_50
; %bb.49:                               ;   in Loop: Header=BB68_34 Depth=1
	v_lshl_add_u64 v[22:23], v[18:19], 0, s[14:15]
	global_load_dword v22, v[22:23], off offset:128
	v_mov_b32_e32 v23, v11
.LBB68_50:                              ;   in Loop: Header=BB68_34 Depth=1
	s_or_b64 exec, exec, s[24:25]
.LBB68_51:                              ;   in Loop: Header=BB68_34 Depth=1
	s_andn2_saveexec_b64 s[20:21], s[20:21]
	s_cbranch_execz .LBB68_53
; %bb.52:                               ;   in Loop: Header=BB68_34 Depth=1
	s_waitcnt vmcnt(0)
	v_lshl_add_u64 v[22:23], v[18:19], 0, s[14:15]
	v_lshl_add_u64 v[26:27], v[16:17], 0, s[14:15]
	global_load_dword v22, v[22:23], off offset:128
	s_nop 0
	global_load_dword v23, v[26:27], off offset:128
.LBB68_53:                              ;   in Loop: Header=BB68_34 Depth=1
	s_or_b64 exec, exec, s[20:21]
.LBB68_54:                              ;   in Loop: Header=BB68_34 Depth=1
	v_lshl_add_u64 v[26:27], v[24:25], 0, s[30:31]
	global_load_dword v26, v[26:27], off
	s_waitcnt vmcnt(4) lgkmcnt(0)
	v_fma_f32 v1, v10, v32, 0
	v_fma_f32 v27, v14, v32, 0
	s_waitcnt vmcnt(3)
	v_fmac_f32_e32 v1, v11, v33
	v_fmac_f32_e32 v27, v15, v33
	v_add_u32_e32 v32, v35, v29
	s_barrier
	ds_write2_b32 v32, v1, v27 offset1:16
	s_waitcnt lgkmcnt(0)
	s_barrier
	s_and_saveexec_b64 s[20:21], s[8:9]
	s_cbranch_execz .LBB68_56
; %bb.55:                               ;   in Loop: Header=BB68_34 Depth=1
	ds_read2_b32 v[32:33], v34 offset1:32
	ds_read2_b32 v[38:39], v34 offset0:64 offset1:96
	ds_read2_b32 v[40:41], v34 offset0:128 offset1:160
	;; [unrolled: 1-line block ×3, first 2 shown]
	v_add_u32_e32 v1, 0x400, v34
	s_waitcnt lgkmcnt(3)
	v_add_f32_e32 v27, 0, v32
	v_add_f32_e32 v27, v27, v33
	s_waitcnt lgkmcnt(2)
	v_add_f32_e32 v27, v27, v38
	v_add_f32_e32 v27, v27, v39
	ds_read2_b32 v[32:33], v1 offset1:32
	s_waitcnt lgkmcnt(2)
	v_add_f32_e32 v27, v27, v40
	v_add_f32_e32 v27, v27, v41
	ds_read2_b32 v[38:39], v1 offset0:64 offset1:96
	s_waitcnt lgkmcnt(2)
	v_add_f32_e32 v27, v27, v42
	v_add_f32_e32 v27, v27, v43
	ds_read2_b32 v[40:41], v1 offset0:128 offset1:160
	;; [unrolled: 4-line block ×3, first 2 shown]
	s_waitcnt lgkmcnt(2)
	v_add_f32_e32 v1, v27, v38
	v_add_f32_e32 v1, v1, v39
	s_waitcnt lgkmcnt(1)
	v_add_f32_e32 v1, v1, v40
	v_add_f32_e32 v1, v1, v41
	;; [unrolled: 3-line block ×3, first 2 shown]
	v_lshl_add_u64 v[32:33], v[4:5], 2, v[6:7]
	v_mul_f32_e32 v1, s33, v1
	global_atomic_add_f32 v[32:33], v1, off
	v_lshl_add_u64 v[6:7], v[6:7], 0, s[18:19]
.LBB68_56:                              ;   in Loop: Header=BB68_34 Depth=1
	s_or_b64 exec, exec, s[20:21]
	s_add_i32 s51, s51, -1
	s_add_u32 s49, s49, 0x80
	s_addc_u32 s50, s50, 0
	s_add_u32 s34, s34, s0
	s_addc_u32 s35, s35, s1
	;; [unrolled: 2-line block ×3, first 2 shown]
	s_add_u32 s36, s49, s14
	s_waitcnt vmcnt(2)
	v_pk_fma_f32 v[8:9], v[12:13], v[10:11], v[8:9] op_sel_hi:[0,1,1]
	s_addc_u32 s37, s50, s15
	s_waitcnt vmcnt(1)
	v_pk_fma_f32 v[8:9], v[28:29], v[30:31], v[8:9] op_sel_hi:[0,1,1]
	v_lshl_add_u64 v[16:17], v[16:17], 0, s[12:13]
	v_lshl_add_u64 v[18:19], v[18:19], 0, s[12:13]
	;; [unrolled: 1-line block ×3, first 2 shown]
	s_cmp_eq_u32 s51, 0
	v_lshl_add_u64 v[24:25], v[24:25], 0, s[0:1]
	s_cbranch_scc1 .LBB68_59
; %bb.57:                               ;   in Loop: Header=BB68_34 Depth=1
	s_waitcnt vmcnt(0)
	v_mov_b32_e32 v12, v26
	v_mov_b64_e32 v[10:11], v[22:23]
	v_mov_b32_e32 v22, v14
	v_mov_b32_e32 v23, v15
	s_branch .LBB68_34
.LBB68_58:
	v_mov_b64_e32 v[6:7], s[44:45]
	v_mov_b32_e32 v14, v15
	v_mov_b32_e32 v9, v15
	;; [unrolled: 1-line block ×3, first 2 shown]
	s_waitcnt vmcnt(1)
	v_mov_b64_e32 v[22:23], v[10:11]
	s_waitcnt vmcnt(0)
	v_mov_b32_e32 v26, v12
.LBB68_59:
	v_or_b32_e32 v1, 16, v0
	v_mad_u64_u32 v[10:11], s[0:1], s28, v1, 0
	v_mov_b32_e32 v12, v11
	v_mad_u64_u32 v[16:17], s[0:1], s29, v1, v[12:13]
	v_mov_b32_e32 v11, v16
	v_lshl_add_u64 v[10:11], v[10:11], 2, s[24:25]
	global_load_dword v27, v[10:11], off
	s_and_b64 vcc, exec, s[10:11]
	s_cbranch_vccnz .LBB68_61
; %bb.60:
	v_lshl_add_u64 v[10:11], v[2:3], 2, s[36:37]
	v_lshl_add_u64 v[16:17], s[16:17], 2, v[10:11]
	global_load_dword v1, v[16:17], off offset:64
	global_load_dword v12, v[10:11], off offset:64
	s_waitcnt vmcnt(1)
	v_mov_b64_e32 v[10:11], v[0:1]
	s_cbranch_execz .LBB68_62
	s_branch .LBB68_69
.LBB68_61:
                                        ; implicit-def: $vgpr1
                                        ; implicit-def: $vgpr12
                                        ; implicit-def: $vgpr10_vgpr11
.LBB68_62:
                                        ; implicit-def: $vgpr10_vgpr11
	s_and_saveexec_b64 s[0:1], s[6:7]
	s_xor_b64 s[0:1], exec, s[0:1]
	s_cbranch_execz .LBB68_66
; %bb.63:
	v_mov_b64_e32 v[10:11], v[14:15]
	s_and_saveexec_b64 s[6:7], s[4:5]
	s_cbranch_execz .LBB68_65
; %bb.64:
	v_lshl_add_u64 v[2:3], v[2:3], 2, s[36:37]
	global_load_dword v14, v[2:3], off offset:64
	s_waitcnt vmcnt(0)
	v_mov_b64_e32 v[10:11], v[14:15]
.LBB68_65:
	s_or_b64 exec, exec, s[6:7]
                                        ; implicit-def: $vgpr2_vgpr3
.LBB68_66:
	s_andn2_saveexec_b64 s[0:1], s[0:1]
	s_cbranch_execz .LBB68_68
; %bb.67:
	v_lshl_add_u64 v[2:3], v[2:3], 2, s[36:37]
	v_lshl_add_u64 v[10:11], s[16:17], 2, v[2:3]
	global_load_dword v14, v[2:3], off offset:64
	global_load_dword v15, v[10:11], off offset:64
	s_waitcnt vmcnt(0)
	v_mov_b64_e32 v[10:11], v[14:15]
.LBB68_68:
	s_or_b64 exec, exec, s[0:1]
	s_waitcnt vmcnt(0)
	v_mov_b32_e32 v12, v14
	v_mov_b32_e32 v1, v15
.LBB68_69:
	ds_read_b64 v[2:3], v36
	s_waitcnt vmcnt(0)
	v_mul_f32_e32 v16, v27, v12
	v_mov_b32_e32 v10, v23
	v_mul_f32_e32 v14, v26, v22
	s_waitcnt lgkmcnt(0)
	v_fma_f32 v18, v22, v2, 0
	v_fma_f32 v12, v12, v2, 0
	v_fmac_f32_e32 v18, v23, v3
	v_fmac_f32_e32 v12, v1, v3
	v_pk_mul_f32 v[2:3], v[26:27], v[10:11]
	v_add_u32_e32 v1, v35, v29
	v_mov_b32_e32 v15, v2
	v_pk_add_f32 v[8:9], v[8:9], v[14:15]
	v_mov_b32_e32 v17, v3
	v_pk_add_f32 v[8:9], v[8:9], v[16:17]
	s_barrier
	ds_write2_b32 v1, v18, v12 offset1:16
	s_waitcnt lgkmcnt(0)
	s_barrier
	s_and_saveexec_b64 s[0:1], s[8:9]
	s_cbranch_execz .LBB68_71
; %bb.70:
	ds_read2_b32 v[2:3], v34 offset1:32
	ds_read2_b32 v[10:11], v34 offset0:64 offset1:96
	ds_read2_b32 v[14:15], v34 offset0:128 offset1:160
	;; [unrolled: 1-line block ×3, first 2 shown]
	v_add_u32_e32 v1, 0x400, v34
	s_waitcnt lgkmcnt(3)
	v_add_f32_e32 v2, 0, v2
	v_add_f32_e32 v2, v2, v3
	s_waitcnt lgkmcnt(2)
	v_add_f32_e32 v2, v2, v10
	v_add_f32_e32 v2, v2, v11
	s_waitcnt lgkmcnt(1)
	v_add_f32_e32 v10, v2, v14
	ds_read2_b32 v[2:3], v1 offset1:32
	v_add_f32_e32 v10, v10, v15
	s_waitcnt lgkmcnt(1)
	v_add_f32_e32 v10, v10, v16
	v_add_f32_e32 v12, v10, v17
	ds_read2_b32 v[10:11], v1 offset0:64 offset1:96
	ds_read2_b32 v[14:15], v1 offset0:128 offset1:160
	s_waitcnt lgkmcnt(2)
	v_add_f32_e32 v2, v12, v2
	v_add_f32_e32 v12, v2, v3
	ds_read2_b32 v[2:3], v1 offset0:192 offset1:224
	s_waitcnt lgkmcnt(2)
	v_add_f32_e32 v1, v12, v10
	v_add_f32_e32 v1, v1, v11
	s_waitcnt lgkmcnt(1)
	v_add_f32_e32 v1, v1, v14
	v_add_f32_e32 v1, v1, v15
	;; [unrolled: 3-line block ×3, first 2 shown]
	v_lshl_add_u64 v[2:3], v[4:5], 2, v[6:7]
	v_mul_f32_e32 v1, s33, v1
	global_atomic_add_f32 v[2:3], v1, off
.LBB68_71:
	s_or_b64 exec, exec, s[0:1]
	v_mov_b32_e32 v1, v29
.LBB68_72:
	v_lshl_add_u32 v1, v0, 2, v1
	v_add_u32_e32 v1, 0x800, v1
	ds_write2_b32 v1, v8, v9 offset1:16
	s_waitcnt lgkmcnt(0)
	s_barrier
	s_and_saveexec_b64 s[0:1], s[8:9]
	s_cbranch_execz .LBB68_75
; %bb.73:
	s_cmp_lt_u32 s2, s46
	v_cmp_gt_i32_e32 vcc, s47, v13
	s_cselect_b64 s[0:1], -1, 0
	s_or_b64 s[0:1], vcc, s[0:1]
	s_and_b64 exec, exec, s[0:1]
	s_cbranch_execz .LBB68_75
; %bb.74:
	v_mov_b32_e32 v1, 0x800
	v_add_u32_e32 v3, 1, v13
	v_add_u32_e32 v4, 2, v13
	;; [unrolled: 1-line block ×7, first 2 shown]
	v_lshl_add_u32 v1, v13, 6, v1
	v_and_b32_e32 v3, 15, v3
	v_and_b32_e32 v4, 15, v4
	v_and_b32_e32 v5, 15, v5
	v_and_b32_e32 v6, 15, v6
	v_and_b32_e32 v7, 15, v7
	v_and_b32_e32 v8, 15, v8
	v_and_b32_e32 v9, 15, v9
	v_lshl_or_b32 v2, v0, 2, v1
	v_lshl_or_b32 v3, v3, 2, v1
	;; [unrolled: 1-line block ×8, first 2 shown]
	ds_read_b32 v2, v2
	ds_read_b32 v3, v3
	;; [unrolled: 1-line block ×8, first 2 shown]
	s_waitcnt lgkmcnt(7)
	v_add_f32_e32 v2, 0, v2
	s_waitcnt lgkmcnt(6)
	v_add_f32_e32 v2, v2, v3
	;; [unrolled: 2-line block ×8, first 2 shown]
	v_add_u32_e32 v3, 9, v13
	v_add_u32_e32 v4, 10, v13
	;; [unrolled: 1-line block ×6, first 2 shown]
	v_add_u32_e32 v9, -1, v13
	v_xor_b32_e32 v0, 8, v0
	v_and_b32_e32 v3, 15, v3
	v_and_b32_e32 v4, 15, v4
	;; [unrolled: 1-line block ×7, first 2 shown]
	v_lshl_or_b32 v0, v0, 2, v1
	v_lshl_or_b32 v3, v3, 2, v1
	;; [unrolled: 1-line block ×8, first 2 shown]
	ds_read_b32 v0, v0
	ds_read_b32 v3, v3
	;; [unrolled: 1-line block ×8, first 2 shown]
	s_waitcnt lgkmcnt(7)
	v_add_f32_e32 v0, v2, v0
	s_waitcnt lgkmcnt(6)
	v_add_f32_e32 v0, v0, v3
	;; [unrolled: 2-line block ×3, first 2 shown]
	s_mul_i32 s0, s26, s23
	s_mul_hi_u32 s1, s26, s22
	s_waitcnt lgkmcnt(4)
	v_add_f32_e32 v0, v0, v5
	s_add_i32 s0, s1, s0
	s_mul_i32 s1, s27, s22
	s_waitcnt lgkmcnt(3)
	v_add_f32_e32 v0, v0, v6
	s_add_i32 s1, s0, s1
	s_mul_i32 s0, s26, s22
	s_waitcnt lgkmcnt(2)
	v_add_f32_e32 v0, v0, v7
	s_lshl_b64 s[0:1], s[0:1], 2
	s_waitcnt lgkmcnt(1)
	v_add_f32_e32 v0, v0, v8
	s_add_u32 s0, s3, s0
	s_waitcnt lgkmcnt(0)
	v_add_f32_e32 v4, v0, v1
	v_mad_u64_u32 v[0:1], s[2:3], s26, v13, 0
	v_mov_b32_e32 v2, v1
	v_mad_u64_u32 v[2:3], s[2:3], s27, v13, v[2:3]
	s_addc_u32 s1, s48, s1
	v_mov_b32_e32 v1, v2
	v_lshl_add_u64 v[0:1], v[0:1], 2, s[0:1]
	v_mul_f32_e32 v2, s33, v4
	global_atomic_add_f32 v[0:1], v2, off
.LBB68_75:
	s_endpgm
	.section	.rodata,"a",@progbits
	.p2align	6, 0x0
	.amdhsa_kernel _ZL62rocblas_symv_kernel_upper_double_buffered_non_diagonal_genericILi32ELi8ELi2ELi1E24rocblas_internal_val_ptrIfEPKfPfEvbiT3_lT4_lllS6_lllT5_lllii
		.amdhsa_group_segment_fixed_size 4224
		.amdhsa_private_segment_fixed_size 0
		.amdhsa_kernarg_size 384
		.amdhsa_user_sgpr_count 2
		.amdhsa_user_sgpr_dispatch_ptr 0
		.amdhsa_user_sgpr_queue_ptr 0
		.amdhsa_user_sgpr_kernarg_segment_ptr 1
		.amdhsa_user_sgpr_dispatch_id 0
		.amdhsa_user_sgpr_kernarg_preload_length 0
		.amdhsa_user_sgpr_kernarg_preload_offset 0
		.amdhsa_user_sgpr_private_segment_size 0
		.amdhsa_uses_dynamic_stack 0
		.amdhsa_enable_private_segment 0
		.amdhsa_system_sgpr_workgroup_id_x 1
		.amdhsa_system_sgpr_workgroup_id_y 1
		.amdhsa_system_sgpr_workgroup_id_z 1
		.amdhsa_system_sgpr_workgroup_info 0
		.amdhsa_system_vgpr_workitem_id 1
		.amdhsa_next_free_vgpr 44
		.amdhsa_next_free_sgpr 53
		.amdhsa_accum_offset 44
		.amdhsa_reserve_vcc 1
		.amdhsa_float_round_mode_32 0
		.amdhsa_float_round_mode_16_64 0
		.amdhsa_float_denorm_mode_32 3
		.amdhsa_float_denorm_mode_16_64 3
		.amdhsa_dx10_clamp 1
		.amdhsa_ieee_mode 1
		.amdhsa_fp16_overflow 0
		.amdhsa_tg_split 0
		.amdhsa_exception_fp_ieee_invalid_op 0
		.amdhsa_exception_fp_denorm_src 0
		.amdhsa_exception_fp_ieee_div_zero 0
		.amdhsa_exception_fp_ieee_overflow 0
		.amdhsa_exception_fp_ieee_underflow 0
		.amdhsa_exception_fp_ieee_inexact 0
		.amdhsa_exception_int_div_zero 0
	.end_amdhsa_kernel
	.section	.text._ZL62rocblas_symv_kernel_upper_double_buffered_non_diagonal_genericILi32ELi8ELi2ELi1E24rocblas_internal_val_ptrIfEPKfPfEvbiT3_lT4_lllS6_lllT5_lllii,"axG",@progbits,_ZL62rocblas_symv_kernel_upper_double_buffered_non_diagonal_genericILi32ELi8ELi2ELi1E24rocblas_internal_val_ptrIfEPKfPfEvbiT3_lT4_lllS6_lllT5_lllii,comdat
.Lfunc_end68:
	.size	_ZL62rocblas_symv_kernel_upper_double_buffered_non_diagonal_genericILi32ELi8ELi2ELi1E24rocblas_internal_val_ptrIfEPKfPfEvbiT3_lT4_lllS6_lllT5_lllii, .Lfunc_end68-_ZL62rocblas_symv_kernel_upper_double_buffered_non_diagonal_genericILi32ELi8ELi2ELi1E24rocblas_internal_val_ptrIfEPKfPfEvbiT3_lT4_lllS6_lllT5_lllii
                                        ; -- End function
	.set _ZL62rocblas_symv_kernel_upper_double_buffered_non_diagonal_genericILi32ELi8ELi2ELi1E24rocblas_internal_val_ptrIfEPKfPfEvbiT3_lT4_lllS6_lllT5_lllii.num_vgpr, 44
	.set _ZL62rocblas_symv_kernel_upper_double_buffered_non_diagonal_genericILi32ELi8ELi2ELi1E24rocblas_internal_val_ptrIfEPKfPfEvbiT3_lT4_lllS6_lllT5_lllii.num_agpr, 0
	.set _ZL62rocblas_symv_kernel_upper_double_buffered_non_diagonal_genericILi32ELi8ELi2ELi1E24rocblas_internal_val_ptrIfEPKfPfEvbiT3_lT4_lllS6_lllT5_lllii.numbered_sgpr, 53
	.set _ZL62rocblas_symv_kernel_upper_double_buffered_non_diagonal_genericILi32ELi8ELi2ELi1E24rocblas_internal_val_ptrIfEPKfPfEvbiT3_lT4_lllS6_lllT5_lllii.num_named_barrier, 0
	.set _ZL62rocblas_symv_kernel_upper_double_buffered_non_diagonal_genericILi32ELi8ELi2ELi1E24rocblas_internal_val_ptrIfEPKfPfEvbiT3_lT4_lllS6_lllT5_lllii.private_seg_size, 0
	.set _ZL62rocblas_symv_kernel_upper_double_buffered_non_diagonal_genericILi32ELi8ELi2ELi1E24rocblas_internal_val_ptrIfEPKfPfEvbiT3_lT4_lllS6_lllT5_lllii.uses_vcc, 1
	.set _ZL62rocblas_symv_kernel_upper_double_buffered_non_diagonal_genericILi32ELi8ELi2ELi1E24rocblas_internal_val_ptrIfEPKfPfEvbiT3_lT4_lllS6_lllT5_lllii.uses_flat_scratch, 0
	.set _ZL62rocblas_symv_kernel_upper_double_buffered_non_diagonal_genericILi32ELi8ELi2ELi1E24rocblas_internal_val_ptrIfEPKfPfEvbiT3_lT4_lllS6_lllT5_lllii.has_dyn_sized_stack, 0
	.set _ZL62rocblas_symv_kernel_upper_double_buffered_non_diagonal_genericILi32ELi8ELi2ELi1E24rocblas_internal_val_ptrIfEPKfPfEvbiT3_lT4_lllS6_lllT5_lllii.has_recursion, 0
	.set _ZL62rocblas_symv_kernel_upper_double_buffered_non_diagonal_genericILi32ELi8ELi2ELi1E24rocblas_internal_val_ptrIfEPKfPfEvbiT3_lT4_lllS6_lllT5_lllii.has_indirect_call, 0
	.section	.AMDGPU.csdata,"",@progbits
; Kernel info:
; codeLenInByte = 3616
; TotalNumSgprs: 59
; NumVgprs: 44
; NumAgprs: 0
; TotalNumVgprs: 44
; ScratchSize: 0
; MemoryBound: 0
; FloatMode: 240
; IeeeMode: 1
; LDSByteSize: 4224 bytes/workgroup (compile time only)
; SGPRBlocks: 7
; VGPRBlocks: 5
; NumSGPRsForWavesPerEU: 59
; NumVGPRsForWavesPerEU: 44
; AccumOffset: 44
; Occupancy: 8
; WaveLimiterHint : 0
; COMPUTE_PGM_RSRC2:SCRATCH_EN: 0
; COMPUTE_PGM_RSRC2:USER_SGPR: 2
; COMPUTE_PGM_RSRC2:TRAP_HANDLER: 0
; COMPUTE_PGM_RSRC2:TGID_X_EN: 1
; COMPUTE_PGM_RSRC2:TGID_Y_EN: 1
; COMPUTE_PGM_RSRC2:TGID_Z_EN: 1
; COMPUTE_PGM_RSRC2:TIDIG_COMP_CNT: 1
; COMPUTE_PGM_RSRC3_GFX90A:ACCUM_OFFSET: 10
; COMPUTE_PGM_RSRC3_GFX90A:TG_SPLIT: 0
	.section	.text._ZL26rocblas_hemvn_kernel_upperILb0ELi64ELi4ELi33ELi32ELi16ElPKfS1_PfEviT6_lT7_lT5_lS4_lS5_lS3_lT8_i,"axG",@progbits,_ZL26rocblas_hemvn_kernel_upperILb0ELi64ELi4ELi33ELi32ELi16ElPKfS1_PfEviT6_lT7_lT5_lS4_lS5_lS3_lT8_i,comdat
	.globl	_ZL26rocblas_hemvn_kernel_upperILb0ELi64ELi4ELi33ELi32ELi16ElPKfS1_PfEviT6_lT7_lT5_lS4_lS5_lS3_lT8_i ; -- Begin function _ZL26rocblas_hemvn_kernel_upperILb0ELi64ELi4ELi33ELi32ELi16ElPKfS1_PfEviT6_lT7_lT5_lS4_lS5_lS3_lT8_i
	.p2align	8
	.type	_ZL26rocblas_hemvn_kernel_upperILb0ELi64ELi4ELi33ELi32ELi16ElPKfS1_PfEviT6_lT7_lT5_lS4_lS5_lS3_lT8_i,@function
_ZL26rocblas_hemvn_kernel_upperILb0ELi64ELi4ELi33ELi32ELi16ElPKfS1_PfEviT6_lT7_lT5_lS4_lS5_lS3_lT8_i: ; @_ZL26rocblas_hemvn_kernel_upperILb0ELi64ELi4ELi33ELi32ELi16ElPKfS1_PfEviT6_lT7_lT5_lS4_lS5_lS3_lT8_i
; %bb.0:
	s_load_dwordx2 s[6:7], s[0:1], 0x84
	s_add_u32 s4, s0, 0x78
	s_addc_u32 s5, s1, 0
	s_waitcnt lgkmcnt(0)
	s_lshr_b32 s8, s6, 16
	s_and_b32 s6, s6, 0xffff
	s_and_b32 s7, s7, 0xffff
	s_mul_i32 s6, s8, s6
	s_mul_i32 s6, s6, s7
	s_cmpk_lg_i32 s6, 0x100
	s_cbranch_scc1 .LBB69_128
; %bb.1:
	s_load_dwordx16 s[8:23], s[0:1], 0x8
	s_load_dwordx8 s[24:31], s[0:1], 0x48
	s_waitcnt lgkmcnt(0)
	s_mul_i32 s7, s11, s3
	s_mul_hi_u32 s11, s10, s3
	s_mul_i32 s6, s10, s3
	s_add_i32 s7, s11, s7
	s_lshl_b64 s[6:7], s[6:7], 2
	s_add_u32 s6, s8, s6
	s_addc_u32 s7, s9, s7
	s_mul_i32 s10, s31, s3
	s_load_dword s8, s[6:7], 0x0
	s_mul_hi_u32 s6, s30, s3
	s_add_i32 s7, s6, s10
	s_mul_i32 s6, s30, s3
	s_lshl_b64 s[6:7], s[6:7], 2
	s_add_u32 s6, s28, s6
	s_addc_u32 s7, s29, s7
	s_load_dword s9, s[6:7], 0x0
	s_waitcnt lgkmcnt(0)
	v_cmp_eq_f32_e64 s[6:7], s8, 0
	v_cmp_eq_f32_e64 s[8:9], s9, 1.0
	s_and_b64 s[8:9], s[6:7], s[8:9]
	s_and_b64 vcc, exec, s[8:9]
	s_cbranch_vccnz .LBB69_128
; %bb.2:
	s_and_b64 vcc, exec, s[6:7]
	s_cbranch_vccnz .LBB69_128
; %bb.3:
	s_load_dword s33, s[4:5], 0x0
	s_load_dwordx2 s[28:29], s[0:1], 0x68
	s_load_dword s37, s[0:1], 0x0
	s_mul_i32 s0, s27, s3
	s_mul_hi_u32 s1, s26, s3
	s_add_i32 s1, s1, s0
	s_mul_i32 s0, s26, s3
	s_lshl_b64 s[0:1], s[0:1], 2
	s_add_u32 s4, s20, s0
	s_addc_u32 s5, s21, s1
	s_lshl_b64 s[0:1], s[22:23], 2
	s_add_u32 s0, s4, s0
	s_addc_u32 s1, s5, s1
	s_waitcnt lgkmcnt(0)
	s_ashr_i32 s38, s37, 31
	s_lshr_b32 s5, s38, 26
	v_and_b32_e32 v64, 0x3ff, v0
	s_lshl_b32 s22, s2, 6
	s_add_i32 s5, s37, s5
	s_andn2_b32 s5, s5, 63
	v_add_u32_e32 v16, s22, v64
	s_add_i32 s4, s33, -1
	s_sub_i32 s36, s37, s5
	v_ashrrev_i32_e32 v17, 31, v16
	v_bfe_u32 v65, v0, 10, 10
	s_cmp_eq_u32 s2, s4
	v_mul_lo_u32 v2, s24, v17
	v_mul_lo_u32 v3, s25, v16
	v_mad_u64_u32 v[0:1], s[4:5], s24, v16, 0
	v_add3_u32 v1, v1, v2, v3
	s_cselect_b32 s20, s36, 0
	v_lshl_add_u64 v[4:5], v[0:1], 2, s[0:1]
	v_cmp_eq_u32_e64 s[0:1], 0, v65
	s_and_saveexec_b64 s[4:5], s[0:1]
	s_cbranch_execz .LBB69_7
; %bb.4:
	s_cmp_eq_u32 s20, 0
	s_cselect_b64 s[6:7], -1, 0
	v_cmp_gt_i32_e32 vcc, s20, v64
	s_or_b64 s[8:9], s[6:7], vcc
	v_mov_b32_e32 v0, 0
	s_and_saveexec_b64 s[6:7], s[8:9]
	s_cbranch_execz .LBB69_6
; %bb.5:
	global_load_dword v0, v[4:5], off
.LBB69_6:
	s_or_b64 exec, exec, s[6:7]
	v_lshlrev_b32_e32 v1, 2, v64
	s_waitcnt vmcnt(0)
	ds_write_b32 v1, v0 offset:4544
.LBB69_7:
	s_or_b64 exec, exec, s[4:5]
	s_mul_i32 s4, s19, s3
	s_mul_hi_u32 s5, s18, s3
	s_add_i32 s5, s5, s4
	s_mul_i32 s4, s18, s3
	s_lshl_b64 s[4:5], s[4:5], 2
	s_add_u32 s6, s12, s4
	s_addc_u32 s7, s13, s5
	s_lshl_b64 s[4:5], s[14:15], 2
	s_add_u32 s6, s6, s4
	s_addc_u32 s7, s7, s5
	s_ashr_i32 s23, s22, 31
	v_lshl_add_u32 v14, v65, 6, v64
	s_lshl_b64 s[4:5], s[22:23], 2
	v_and_b32_e32 v2, 31, v64
	v_lshrrev_b32_e32 v15, 5, v14
	s_add_u32 s4, s6, s4
	v_mov_b32_e32 v3, 0
	s_addc_u32 s5, s7, s5
	v_mad_u64_u32 v[6:7], s[6:7], s16, v15, v[2:3]
	v_mov_b32_e32 v0, v7
	v_mad_u64_u32 v[0:1], s[6:7], s17, v15, v[0:1]
	v_mov_b32_e32 v7, v0
	v_lshl_add_u64 v[0:1], v[6:7], 2, s[4:5]
	s_mul_hi_u32 s4, s16, s22
	s_mul_i32 s5, s16, s23
	s_add_i32 s4, s4, s5
	s_mul_i32 s5, s17, s22
	s_add_i32 s5, s4, s5
	s_cmp_eq_u32 s20, 0
	s_cselect_b64 s[18:19], -1, 0
	s_cmp_lg_u32 s20, 0
	s_mul_i32 s4, s16, s22
	s_cselect_b64 s[26:27], -1, 0
	v_lshl_add_u64 v[10:11], s[4:5], 2, v[0:1]
	s_and_b64 vcc, exec, s[26:27]
	v_cmp_gt_i32_e64 s[4:5], s20, v2
	v_lshlrev_b32_e32 v0, 2, v2
	s_cbranch_vccz .LBB69_17
; %bb.8:
	v_sub_co_u32_e32 v8, vcc, v10, v0
	s_ashr_i32 s21, s20, 31
	s_nop 0
	v_subbrev_co_u32_e32 v9, vcc, 0, v11, vcc
	v_lshl_add_u64 v[8:9], s[20:21], 2, v[8:9]
	v_lshl_add_u64 v[8:9], v[8:9], 0, -4
	v_cndmask_b32_e64 v9, v9, v11, s[4:5]
	v_cndmask_b32_e64 v8, v8, v10, s[4:5]
	v_cmp_gt_i32_e32 vcc, s20, v15
	s_and_saveexec_b64 s[6:7], vcc
	s_cbranch_execz .LBB69_10
; %bb.9:
	global_load_dword v3, v[8:9], off
.LBB69_10:
	s_or_b64 exec, exec, s[6:7]
	v_lshlrev_b32_e32 v1, 2, v2
	s_movk_i32 s6, 0x84
	v_mad_u32_u24 v13, v15, s6, v1
	s_waitcnt vmcnt(0)
	ds_write_b32 v13, v3
	v_add_u32_e32 v3, 8, v15
	v_mul_u32_u24_e32 v12, 0x84, v15
	v_cmp_gt_i32_e32 vcc, s20, v3
	v_mov_b32_e32 v13, 0
	v_mov_b32_e32 v18, 0
	s_and_saveexec_b64 s[6:7], vcc
	s_cbranch_execz .LBB69_12
; %bb.11:
	s_lshl_b64 s[8:9], s[16:17], 5
	v_lshl_add_u64 v[18:19], v[8:9], 0, s[8:9]
	global_load_dword v18, v[18:19], off
.LBB69_12:
	s_or_b64 exec, exec, s[6:7]
	v_add_u32_e32 v3, v12, v1
	v_add_u32_e32 v1, 16, v15
	v_cmp_gt_i32_e32 vcc, s20, v1
	s_waitcnt vmcnt(0)
	ds_write_b32 v3, v18 offset:1056
	s_and_saveexec_b64 s[6:7], vcc
	s_cbranch_execz .LBB69_14
; %bb.13:
	s_lshl_b64 s[8:9], s[16:17], 6
	v_lshl_add_u64 v[12:13], v[8:9], 0, s[8:9]
	global_load_dword v13, v[12:13], off
.LBB69_14:
	s_or_b64 exec, exec, s[6:7]
	v_add_u32_e32 v1, 24, v15
	v_cmp_gt_i32_e32 vcc, s20, v1
	v_mov_b32_e32 v1, 0
	v_mov_b32_e32 v12, 0
	s_waitcnt vmcnt(0)
	ds_write_b32 v3, v13 offset:2112
	s_and_saveexec_b64 s[6:7], vcc
	s_cbranch_execz .LBB69_16
; %bb.15:
	v_mov_b32_e32 v12, 0x60
	v_mad_u64_u32 v[12:13], s[8:9], s16, v12, v[8:9]
	s_mul_i32 s8, s17, 0x60
	s_nop 0
	v_add_u32_e32 v13, s8, v13
	global_load_dword v12, v[12:13], off
.LBB69_16:
	s_or_b64 exec, exec, s[6:7]
	v_lshl_add_u64 v[8:9], v[8:9], 0, v[0:1]
	s_lshl_b64 s[6:7], s[20:21], 2
	v_mov_b32_e32 v1, s7
	v_subrev_co_u32_e32 v8, vcc, s6, v8
	s_waitcnt vmcnt(0)
	ds_write_b32 v3, v12 offset:3168
	v_subb_co_u32_e32 v9, vcc, v9, v1, vcc
	v_lshl_add_u64 v[8:9], v[8:9], 0, 4
	v_cndmask_b32_e64 v9, v9, v11, s[4:5]
	v_cndmask_b32_e64 v8, v8, v10, s[4:5]
	s_branch .LBB69_19
.LBB69_17:
                                        ; implicit-def: $vgpr8_vgpr9
	s_cbranch_execz .LBB69_19
; %bb.18:
	s_lshl_b64 s[4:5], s[16:17], 5
	v_lshl_add_u64 v[8:9], v[10:11], 0, s[4:5]
	v_lshl_add_u64 v[12:13], v[8:9], 0, s[4:5]
	;; [unrolled: 1-line block ×3, first 2 shown]
	global_load_dword v1, v[10:11], off
	global_load_dword v3, v[8:9], off
	;; [unrolled: 1-line block ×4, first 2 shown]
	v_mul_u32_u24_e32 v8, 0x84, v15
	v_lshl_add_u32 v8, v2, 2, v8
	s_waitcnt vmcnt(3)
	ds_write_b32 v8, v1
	s_waitcnt vmcnt(2)
	ds_write_b32 v8, v3 offset:1056
	s_waitcnt vmcnt(1)
	ds_write_b32 v8, v20 offset:2112
	;; [unrolled: 2-line block ×3, first 2 shown]
	v_mov_b64_e32 v[8:9], v[10:11]
.LBB69_19:
	v_lshlrev_b32_e32 v20, 2, v2
	v_lshlrev_b32_e32 v18, 2, v15
	v_lshl_or_b32 v1, v2, 7, v20
	v_cmp_gt_u32_e64 s[4:5], v18, v2
	v_lshl_add_u32 v10, v18, 2, v1
	s_waitcnt lgkmcnt(0)
	s_barrier
	s_and_saveexec_b64 s[6:7], s[4:5]
	s_cbranch_execz .LBB69_21
; %bb.20:
	s_movk_i32 s8, 0x210
	v_mad_u32_u24 v3, v15, s8, v20
	ds_read_b32 v3, v3
	s_waitcnt lgkmcnt(0)
	ds_write_b32 v10, v3
.LBB69_21:
	s_or_b64 exec, exec, s[6:7]
	v_or_b32_e32 v3, 1, v18
	v_cmp_ge_u32_e64 s[6:7], v18, v2
	s_and_saveexec_b64 s[8:9], s[6:7]
	s_cbranch_execz .LBB69_23
; %bb.22:
	s_movk_i32 s10, 0x84
	v_mad_u32_u24 v11, v3, s10, v20
	ds_read_b32 v11, v11
	s_waitcnt lgkmcnt(0)
	ds_write_b32 v10, v11 offset:4
.LBB69_23:
	s_or_b64 exec, exec, s[8:9]
	v_or_b32_e32 v11, 2, v18
	v_cmp_gt_u32_e64 s[8:9], v11, v2
	s_and_saveexec_b64 s[10:11], s[8:9]
	s_cbranch_execz .LBB69_25
; %bb.24:
	s_movk_i32 s12, 0x84
	v_mad_u32_u24 v11, v11, s12, v20
	ds_read_b32 v11, v11
	s_waitcnt lgkmcnt(0)
	ds_write_b32 v10, v11 offset:8
.LBB69_25:
	s_or_b64 exec, exec, s[10:11]
	v_or_b32_e32 v12, 3, v18
	v_cmp_gt_u32_e64 s[10:11], v12, v2
	v_cmp_le_u32_e32 vcc, v12, v2
                                        ; implicit-def: $vgpr11
	s_and_saveexec_b64 s[12:13], vcc
	s_xor_b64 s[12:13], exec, s[12:13]
; %bb.26:
	v_mul_u32_u24_e32 v11, 0x84, v12
                                        ; implicit-def: $vgpr12
                                        ; implicit-def: $vgpr10
; %bb.27:
	s_andn2_saveexec_b64 s[12:13], s[12:13]
	s_cbranch_execz .LBB69_29
; %bb.28:
	s_movk_i32 s14, 0x84
	v_mad_u32_u24 v11, v12, s14, v20
	ds_read_b32 v13, v11
	v_mul_u32_u24_e32 v11, 0x84, v12
	s_waitcnt lgkmcnt(0)
	ds_write_b32 v10, v13 offset:12
.LBB69_29:
	s_or_b64 exec, exec, s[12:13]
	s_movk_i32 s12, 0x210
	v_mad_u32_u24 v10, v15, s12, v20
	s_movk_i32 s12, 0x84
	v_mad_u32_u24 v12, v3, s12, v20
	s_waitcnt lgkmcnt(0)
	s_barrier
	ds_read2_b32 v[22:23], v12 offset1:33
	v_lshlrev_b32_e32 v25, 2, v18
	ds_read_b32 v12, v10
	ds_read_b128 v[26:29], v25 offset:4544
	v_mov_b32_e32 v66, 0
	v_cmp_gt_u32_e64 s[12:13], 32, v14
	s_waitcnt lgkmcnt(2)
	v_mov_b32_e32 v13, v22
	v_add_u32_e32 v22, v20, v11
	ds_read_b32 v11, v22
	s_waitcnt lgkmcnt(1)
	v_pk_mul_f32 v[12:13], v[12:13], v[26:27]
	s_waitcnt lgkmcnt(0)
	v_add_f32_e32 v10, 0, v12
	v_add_f32_e32 v12, v10, v13
	v_mov_b32_e32 v10, v23
	v_pk_mul_f32 v[10:11], v[10:11], v[28:29]
	s_barrier
	v_add_f32_e32 v10, v12, v10
	v_add_f32_e32 v10, v10, v11
	v_mul_u32_u24_e32 v11, 33, v2
	v_lshlrev_b32_e32 v19, 2, v11
	v_lshl_add_u32 v21, v15, 2, v19
	ds_write_b32 v21, v10
	s_waitcnt lgkmcnt(0)
	s_barrier
	s_and_saveexec_b64 s[14:15], s[12:13]
	s_cbranch_execz .LBB69_31
; %bb.30:
	ds_read2_b32 v[10:11], v1 offset1:1
	ds_read2_b32 v[12:13], v1 offset0:2 offset1:3
	ds_read2_b32 v[26:27], v1 offset0:4 offset1:5
	;; [unrolled: 1-line block ×3, first 2 shown]
	s_waitcnt lgkmcnt(3)
	v_add_f32_e32 v1, v10, v11
	s_waitcnt lgkmcnt(2)
	v_add_f32_e32 v1, v1, v12
	v_add_f32_e32 v1, v1, v13
	s_waitcnt lgkmcnt(1)
	v_add_f32_e32 v1, v1, v26
	;; [unrolled: 3-line block ×3, first 2 shown]
	v_add_f32_e32 v66, v1, v29
.LBB69_31:
	s_or_b64 exec, exec, s[14:15]
	s_lshl_b64 s[14:15], s[16:17], 7
	v_lshl_add_u64 v[12:13], v[8:9], 0, s[14:15]
	s_mov_b64 s[14:15], 0x80
	s_lshl_b64 s[30:31], s[16:17], 5
	v_lshl_add_u64 v[8:9], v[12:13], 0, s[14:15]
	s_and_b64 vcc, exec, s[26:27]
	s_barrier
	s_cbranch_vccz .LBB69_41
; %bb.32:
	v_sub_co_u32_e32 v10, vcc, v12, v0
	s_ashr_i32 s21, s20, 31
	s_nop 0
	v_subbrev_co_u32_e32 v11, vcc, 0, v13, vcc
	v_or_b32_e32 v1, 32, v2
	v_lshl_add_u64 v[10:11], s[20:21], 2, v[10:11]
	v_lshl_add_u64 v[10:11], v[10:11], 0, -4
	v_cmp_gt_i32_e32 vcc, s20, v1
	s_sub_i32 s39, s20, 32
	v_mov_b32_e32 v23, 0
	v_cndmask_b32_e32 v11, v11, v9, vcc
	v_cndmask_b32_e32 v10, v10, v8, vcc
	v_cmp_gt_i32_e64 s[14:15], s39, v15
	v_mov_b32_e32 v24, 0
	s_and_saveexec_b64 s[34:35], s[14:15]
	s_cbranch_execz .LBB69_34
; %bb.33:
	global_load_dword v24, v[10:11], off
.LBB69_34:
	s_or_b64 exec, exec, s[34:35]
	s_movk_i32 s14, 0x84
	v_mad_u32_u24 v26, v15, s14, v20
	s_waitcnt vmcnt(0)
	ds_write_b32 v26, v24
	v_add_u32_e32 v24, 8, v15
	v_mul_u32_u24_e32 v1, 0x84, v15
	v_cmp_gt_i32_e64 s[14:15], s39, v24
	s_and_saveexec_b64 s[34:35], s[14:15]
	s_cbranch_execz .LBB69_36
; %bb.35:
	v_lshl_add_u64 v[26:27], v[10:11], 0, s[30:31]
	global_load_dword v23, v[26:27], off
.LBB69_36:
	s_or_b64 exec, exec, s[34:35]
	v_add_u32_e32 v1, v1, v20
	s_waitcnt vmcnt(0)
	ds_write_b32 v1, v23 offset:1056
	v_add_u32_e32 v23, 16, v15
	v_cmp_gt_i32_e64 s[14:15], s39, v23
	v_mov_b32_e32 v23, 0
	v_mov_b32_e32 v24, 0
	s_and_saveexec_b64 s[34:35], s[14:15]
	s_cbranch_execz .LBB69_38
; %bb.37:
	s_lshl_b64 s[14:15], s[16:17], 6
	v_lshl_add_u64 v[26:27], v[10:11], 0, s[14:15]
	global_load_dword v24, v[26:27], off
.LBB69_38:
	s_or_b64 exec, exec, s[34:35]
	s_waitcnt vmcnt(0)
	ds_write_b32 v1, v24 offset:2112
	v_add_u32_e32 v24, 24, v15
	v_cmp_gt_i32_e64 s[14:15], s39, v24
	s_and_saveexec_b64 s[34:35], s[14:15]
	s_cbranch_execz .LBB69_40
; %bb.39:
	v_mov_b32_e32 v23, 0x60
	v_mad_u64_u32 v[26:27], s[14:15], s16, v23, v[10:11]
	s_mul_i32 s14, s17, 0x60
	s_nop 0
	v_add_u32_e32 v27, s14, v27
	global_load_dword v23, v[26:27], off
.LBB69_40:
	s_or_b64 exec, exec, s[34:35]
	s_waitcnt vmcnt(0)
	ds_write_b32 v1, v23 offset:3168
	v_mov_b32_e32 v1, 0
	v_lshl_add_u64 v[10:11], v[10:11], 0, v[0:1]
	s_lshl_b64 s[14:15], s[20:21], 2
	v_mov_b32_e32 v1, s15
	v_subrev_co_u32_e64 v10, s[14:15], s14, v10
	s_nop 1
	v_subb_co_u32_e64 v11, s[14:15], v11, v1, s[14:15]
	s_mov_b64 s[14:15], 0x84
	s_nop 0
	v_lshl_add_u64 v[10:11], v[10:11], 0, s[14:15]
	v_cndmask_b32_e32 v11, v11, v9, vcc
	v_cndmask_b32_e32 v10, v10, v8, vcc
	v_mul_u32_u24_e32 v1, 0x210, v15
	s_branch .LBB69_43
.LBB69_41:
                                        ; implicit-def: $vgpr10_vgpr11
	v_mul_u32_u24_e32 v1, 0x210, v15
	s_cbranch_execz .LBB69_43
; %bb.42:
	v_lshl_add_u64 v[10:11], v[12:13], 0, s[30:31]
	v_lshl_add_u64 v[26:27], v[10:11], 0, s[30:31]
	;; [unrolled: 1-line block ×3, first 2 shown]
	global_load_dword v23, v[12:13], off offset:128
	global_load_dword v24, v[10:11], off offset:128
	;; [unrolled: 1-line block ×4, first 2 shown]
	s_movk_i32 s14, 0x84
	v_mad_u32_u24 v10, v15, s14, v20
	s_waitcnt vmcnt(3)
	ds_write_b32 v10, v23
	s_waitcnt vmcnt(2)
	ds_write_b32 v10, v24 offset:1056
	s_waitcnt vmcnt(1)
	ds_write_b32 v10, v30 offset:2112
	;; [unrolled: 2-line block ×3, first 2 shown]
	v_mov_b64_e32 v[10:11], v[8:9]
.LBB69_43:
	v_mul_u32_u24_e32 v3, 0x84, v3
	v_add_u32_e32 v23, v20, v1
	v_lshl_add_u32 v1, v18, 2, v19
	s_waitcnt lgkmcnt(0)
	s_barrier
	s_and_saveexec_b64 s[14:15], s[4:5]
	s_cbranch_execnz .LBB69_60
; %bb.44:
	s_or_b64 exec, exec, s[14:15]
	v_add_u32_e32 v24, v20, v3
	s_and_saveexec_b64 s[4:5], s[6:7]
	s_cbranch_execnz .LBB69_61
.LBB69_45:
	s_or_b64 exec, exec, s[4:5]
	s_and_saveexec_b64 s[4:5], s[8:9]
	s_cbranch_execnz .LBB69_62
.LBB69_46:
	s_or_b64 exec, exec, s[4:5]
	v_add_u32_e32 v25, 0x11c0, v25
	s_and_saveexec_b64 s[4:5], s[10:11]
	s_cbranch_execz .LBB69_48
.LBB69_47:
	ds_read_b32 v3, v22
	s_waitcnt lgkmcnt(0)
	ds_write_b32 v1, v3 offset:12
.LBB69_48:
	s_or_b64 exec, exec, s[4:5]
	s_waitcnt lgkmcnt(0)
	s_barrier
	ds_read2_b32 v[30:31], v24 offset1:33
	ds_read_b32 v8, v23
	ds_read_b128 v[26:29], v25 offset:128
	ds_read_b32 v13, v22
	v_cmp_eq_u32_e64 s[4:5], 1, v15
	s_waitcnt lgkmcnt(3)
	v_mov_b32_e32 v9, v30
	v_mov_b32_e32 v12, v31
	s_waitcnt lgkmcnt(1)
	v_pk_mul_f32 v[8:9], v[8:9], v[26:27]
	s_waitcnt lgkmcnt(0)
	v_add_f32_e32 v1, 0, v8
	v_add_f32_e32 v1, v1, v9
	v_pk_mul_f32 v[8:9], v[12:13], v[28:29]
	s_barrier
	v_add_f32_e32 v1, v1, v8
	v_add_f32_e32 v1, v1, v9
	ds_write_b32 v21, v1
	s_waitcnt lgkmcnt(0)
	s_barrier
	s_and_saveexec_b64 s[6:7], s[4:5]
	s_cbranch_execz .LBB69_50
; %bb.49:
	ds_read2_b32 v[8:9], v19 offset1:1
	ds_read2_b32 v[12:13], v19 offset0:2 offset1:3
	ds_read2_b32 v[26:27], v19 offset0:4 offset1:5
	;; [unrolled: 1-line block ×3, first 2 shown]
	s_waitcnt lgkmcnt(3)
	v_add_f32_e32 v1, v8, v9
	s_waitcnt lgkmcnt(2)
	v_add_f32_e32 v1, v1, v12
	v_add_f32_e32 v1, v1, v13
	s_waitcnt lgkmcnt(1)
	v_add_f32_e32 v1, v1, v26
	;; [unrolled: 3-line block ×3, first 2 shown]
	v_add_f32_e32 v66, v1, v29
.LBB69_50:
	s_or_b64 exec, exec, s[6:7]
	s_movk_i32 s6, 0xff80
	s_mov_b32 s7, -1
	v_lshl_add_u64 v[12:13], v[10:11], 0, s[6:7]
	s_and_b64 vcc, exec, s[26:27]
	s_barrier
	s_cbranch_vccz .LBB69_63
; %bb.51:
	v_sub_co_u32_e32 v26, vcc, v10, v0
	s_ashr_i32 s21, s20, 31
	s_nop 0
	v_subbrev_co_u32_e32 v27, vcc, 0, v11, vcc
	s_movk_i32 s6, 0xff7c
	v_lshl_add_u64 v[26:27], s[20:21], 2, v[26:27]
	s_mov_b32 s7, -1
	v_lshl_add_u64 v[26:27], v[26:27], 0, s[6:7]
	v_cmp_gt_i32_e32 vcc, s20, v2
	s_sub_i32 s10, s20, 32
	v_mov_b32_e32 v8, 0
	v_cndmask_b32_e32 v3, v27, v13, vcc
	v_cndmask_b32_e32 v2, v26, v12, vcc
	v_cmp_gt_i32_e64 s[6:7], s10, v15
	v_mov_b32_e32 v9, 0
	s_and_saveexec_b64 s[8:9], s[6:7]
	s_cbranch_execz .LBB69_53
; %bb.52:
	global_load_dword v9, v[2:3], off
.LBB69_53:
	s_or_b64 exec, exec, s[8:9]
	s_movk_i32 s6, 0x84
	v_mad_u32_u24 v26, v15, s6, v20
	s_waitcnt vmcnt(0)
	ds_write_b32 v26, v9
	v_add_u32_e32 v26, 8, v15
	v_mul_u32_u24_e32 v1, 0x84, v15
	v_cmp_gt_i32_e64 s[6:7], s10, v26
	s_and_saveexec_b64 s[8:9], s[6:7]
	s_cbranch_execz .LBB69_55
; %bb.54:
	v_lshl_add_u64 v[8:9], v[2:3], 0, s[30:31]
	global_load_dword v8, v[8:9], off
.LBB69_55:
	s_or_b64 exec, exec, s[8:9]
	v_add_u32_e32 v1, v1, v20
	v_add_u32_e32 v27, 16, v15
	s_waitcnt vmcnt(0)
	ds_write_b32 v1, v8 offset:1056
	v_cmp_gt_i32_e64 s[6:7], s10, v27
	v_mov_b32_e32 v8, 0
	v_mov_b32_e32 v9, 0
	s_and_saveexec_b64 s[8:9], s[6:7]
	s_cbranch_execz .LBB69_57
; %bb.56:
	s_lshl_b64 s[6:7], s[16:17], 6
	v_lshl_add_u64 v[28:29], v[2:3], 0, s[6:7]
	global_load_dword v9, v[28:29], off
.LBB69_57:
	s_or_b64 exec, exec, s[8:9]
	v_add_u32_e32 v28, 24, v15
	v_cmp_gt_i32_e64 s[6:7], s10, v28
	s_waitcnt vmcnt(0)
	ds_write_b32 v1, v9 offset:2112
	s_and_saveexec_b64 s[8:9], s[6:7]
	s_cbranch_execz .LBB69_59
; %bb.58:
	v_mov_b32_e32 v8, 0x60
	v_mad_u64_u32 v[8:9], s[6:7], s16, v8, v[2:3]
	s_mul_i32 s6, s17, 0x60
	s_nop 0
	v_add_u32_e32 v9, s6, v9
	global_load_dword v8, v[8:9], off
.LBB69_59:
	s_or_b64 exec, exec, s[8:9]
	s_waitcnt vmcnt(0)
	ds_write_b32 v1, v8 offset:3168
	v_mov_b32_e32 v1, 0
	v_lshl_add_u64 v[0:1], v[2:3], 0, v[0:1]
	s_lshl_b64 s[6:7], s[20:21], 2
	v_mov_b32_e32 v2, s7
	v_subrev_co_u32_e64 v0, s[6:7], s6, v0
	s_nop 1
	v_subb_co_u32_e64 v1, s[6:7], v1, v2, s[6:7]
	v_lshl_add_u64 v[0:1], v[0:1], 0, 4
	v_cndmask_b32_e32 v9, v1, v13, vcc
	v_cndmask_b32_e32 v8, v0, v12, vcc
	s_branch .LBB69_65
.LBB69_60:
	ds_read_b32 v8, v23
	s_waitcnt lgkmcnt(0)
	ds_write_b32 v1, v8
	s_or_b64 exec, exec, s[14:15]
	v_add_u32_e32 v24, v20, v3
	s_and_saveexec_b64 s[4:5], s[6:7]
	s_cbranch_execz .LBB69_45
.LBB69_61:
	ds_read_b32 v3, v24
	s_waitcnt lgkmcnt(0)
	ds_write_b32 v1, v3 offset:4
	s_or_b64 exec, exec, s[4:5]
	s_and_saveexec_b64 s[4:5], s[8:9]
	s_cbranch_execz .LBB69_46
.LBB69_62:
	ds_read_b32 v3, v24 offset:132
	s_waitcnt lgkmcnt(0)
	ds_write_b32 v1, v3 offset:8
	s_or_b64 exec, exec, s[4:5]
	v_add_u32_e32 v25, 0x11c0, v25
	s_and_saveexec_b64 s[4:5], s[10:11]
	s_cbranch_execnz .LBB69_47
	s_branch .LBB69_48
.LBB69_63:
                                        ; implicit-def: $vgpr8_vgpr9
                                        ; implicit-def: $vgpr26
                                        ; implicit-def: $vgpr27
                                        ; implicit-def: $vgpr28
	s_cbranch_execz .LBB69_65
; %bb.64:
	v_lshl_add_u64 v[0:1], v[10:11], 0, s[30:31]
	v_lshl_add_u64 v[2:3], v[0:1], 0, s[30:31]
	;; [unrolled: 1-line block ×3, first 2 shown]
	global_load_dword v29, v[10:11], off offset:-128
	global_load_dword v30, v[0:1], off offset:-128
	;; [unrolled: 1-line block ×4, first 2 shown]
	s_movk_i32 s6, 0x84
	v_add_u32_e32 v26, 8, v15
	v_add_u32_e32 v27, 16, v15
	;; [unrolled: 1-line block ×3, first 2 shown]
	v_mad_u32_u24 v0, v15, s6, v20
	v_mov_b64_e32 v[8:9], v[12:13]
	s_waitcnt vmcnt(3)
	ds_write_b32 v0, v29
	s_waitcnt vmcnt(2)
	ds_write_b32 v0, v30 offset:1056
	s_waitcnt vmcnt(1)
	ds_write_b32 v0, v31 offset:2112
	;; [unrolled: 2-line block ×3, first 2 shown]
.LBB69_65:
	v_add_u32_e32 v0, v19, v18
	s_waitcnt lgkmcnt(0)
	s_barrier
	ds_read_b32 v10, v0
	ds_read_b32 v30, v18 offset:4544
	v_lshlrev_b32_e32 v0, 2, v26
	v_lshlrev_b32_e32 v2, 2, v27
	v_add_u32_e32 v1, v19, v0
	v_add_u32_e32 v3, v19, v2
	v_lshlrev_b32_e32 v13, 2, v28
	v_add_u32_e32 v15, v19, v13
	ds_read_b32 v11, v1
	ds_read_b32 v26, v3
	;; [unrolled: 1-line block ×3, first 2 shown]
	ds_read_b32 v29, v13 offset:4544
	ds_read_b32 v28, v2 offset:4544
	;; [unrolled: 1-line block ×3, first 2 shown]
	ds_read_b32 v27, v15
	ds_read_b128 v[0:3], v25 offset:128
	ds_read_b32 v13, v22
	s_waitcnt lgkmcnt(3)
	v_pk_mul_f32 v[22:23], v[10:11], v[30:31]
	ds_read2_b32 v[10:11], v24 offset1:33
	v_add_f32_e32 v15, 0, v22
	s_waitcnt lgkmcnt(3)
	v_pk_mul_f32 v[26:27], v[26:27], v[28:29]
	v_add_f32_e32 v15, v15, v23
	v_add_f32_e32 v15, v15, v26
	;; [unrolled: 1-line block ×3, first 2 shown]
	s_waitcnt lgkmcnt(0)
	s_barrier
	ds_write_b32 v21, v15
	s_waitcnt lgkmcnt(0)
	s_barrier
	s_and_saveexec_b64 s[6:7], s[4:5]
	s_cbranch_execz .LBB69_67
; %bb.66:
	ds_read2_b32 v[22:23], v19 offset1:1
	ds_read2_b32 v[24:25], v19 offset0:2 offset1:3
	ds_read2_b32 v[26:27], v19 offset0:4 offset1:5
	;; [unrolled: 1-line block ×3, first 2 shown]
	s_waitcnt lgkmcnt(3)
	v_add_f32_e32 v15, v66, v22
	v_add_f32_e32 v15, v15, v23
	s_waitcnt lgkmcnt(2)
	v_add_f32_e32 v15, v15, v24
	v_add_f32_e32 v15, v15, v25
	s_waitcnt lgkmcnt(1)
	v_add_f32_e32 v15, v15, v26
	v_add_f32_e32 v15, v15, v27
	s_waitcnt lgkmcnt(0)
	v_add_f32_e32 v15, v15, v28
	v_add_f32_e32 v66, v15, v29
.LBB69_67:
	s_or_b64 exec, exec, s[6:7]
	v_fma_f32 v0, v12, v0, 0
	v_fmac_f32_e32 v0, v10, v1
	v_fmac_f32_e32 v0, v11, v2
	;; [unrolled: 1-line block ×3, first 2 shown]
	s_barrier
	ds_write_b32 v21, v0
	s_waitcnt lgkmcnt(0)
	s_barrier
	s_and_saveexec_b64 s[4:5], s[12:13]
	s_cbranch_execz .LBB69_69
; %bb.68:
	ds_read2_b32 v[0:1], v19 offset1:1
	ds_read2_b32 v[2:3], v19 offset0:2 offset1:3
	ds_read2_b32 v[10:11], v19 offset0:4 offset1:5
	;; [unrolled: 1-line block ×3, first 2 shown]
	s_waitcnt lgkmcnt(3)
	v_add_f32_e32 v0, v66, v0
	v_add_f32_e32 v0, v0, v1
	s_waitcnt lgkmcnt(2)
	v_add_f32_e32 v0, v0, v2
	v_add_f32_e32 v0, v0, v3
	;; [unrolled: 3-line block ×4, first 2 shown]
.LBB69_69:
	s_or_b64 exec, exec, s[4:5]
	s_mul_hi_u32 s4, s37, s3
	s_mul_i32 s38, s38, s3
	s_add_i32 s4, s4, s38
	s_mul_i32 s3, s37, s3
	s_mul_i32 s4, s4, s33
	s_mul_hi_u32 s5, s3, s33
	s_add_i32 s5, s5, s4
	s_mul_i32 s4, s3, s33
	s_lshl_b64 s[4:5], s[4:5], 2
	s_add_u32 s3, s28, s4
	s_addc_u32 s6, s29, s5
	s_mul_hi_i32 s5, s37, s2
	s_mul_i32 s4, s37, s2
	s_lshl_b64 s[4:5], s[4:5], 2
	s_add_u32 s8, s3, s4
	s_addc_u32 s9, s6, s5
	s_add_i32 s3, s2, 1
	s_cmp_ge_u32 s3, s33
	v_lshlrev_b32_e32 v18, 2, v64
	s_barrier
	s_cbranch_scc1 .LBB69_126
; %bb.70:
	s_mul_i32 s3, s24, s23
	s_mul_hi_u32 s4, s24, s22
	s_add_i32 s3, s4, s3
	s_mul_i32 s4, s25, s22
	s_add_i32 s5, s3, s4
	s_mul_i32 s4, s24, s22
	s_lshl_b64 s[4:5], s[4:5], 2
	v_mov_b32_e32 v0, s5
	v_subrev_co_u32_e32 v20, vcc, s4, v4
	s_movk_i32 s4, 0x430
	v_lshrrev_b32_e32 v1, 2, v14
	v_subb_co_u32_e32 v21, vcc, v5, v0, vcc
	v_and_b32_e32 v0, 15, v64
	v_mad_u32_u24 v71, v65, s4, v18
	s_movk_i32 s4, 0x10c
	v_and_b32_e32 v1, 0x7ffc, v1
	v_mad_u32_u24 v72, v0, s4, v1
	v_and_b32_e32 v1, 48, v64
	v_lshlrev_b32_e32 v19, 4, v65
	v_lshlrev_b32_e32 v1, 2, v1
	v_mad_u32_u24 v73, v0, s4, v1
	v_or_b32_e32 v1, 60, v18
	v_add_u32_e32 v3, 0x80, v19
	v_mul_u32_u24_e32 v54, 0x10c, v0
	v_mad_u32_u24 v74, v0, s4, v1
	v_mad_u64_u32 v[0:1], s[4:5], s16, v3, 0
	v_mov_b32_e32 v2, v1
	v_lshlrev_b64 v[4:5], 2, v[6:7]
	v_mad_u64_u32 v[2:3], s[4:5], s17, v3, v[2:3]
	v_sub_co_u32_e32 v0, vcc, v0, v4
	v_add_u32_e32 v7, 0x88, v19
	s_nop 0
	v_subb_co_u32_e32 v1, vcc, v2, v5, vcc
	v_mad_u64_u32 v[2:3], s[4:5], s16, v7, 0
	v_mov_b32_e32 v6, v3
	v_mad_u64_u32 v[6:7], s[4:5], s17, v7, v[6:7]
	v_sub_co_u32_e32 v2, vcc, v2, v4
	v_add_u32_e32 v11, 0x8c, v19
	s_nop 0
	v_subb_co_u32_e32 v3, vcc, v6, v5, vcc
	v_mad_u64_u32 v[6:7], s[4:5], s16, v11, 0
	v_mov_b32_e32 v10, v7
	;; [unrolled: 7-line block ×3, first 2 shown]
	v_mad_u64_u32 v[12:13], s[4:5], s17, v13, v[12:13]
	v_sub_co_u32_e32 v10, vcc, v10, v4
	v_add_u32_e32 v15, 0xc0, v19
	s_nop 0
	v_subb_co_u32_e32 v11, vcc, v12, v5, vcc
	v_mad_u64_u32 v[12:13], s[4:5], s16, v15, 0
	v_and_b32_e32 v55, 0x1fff0, v14
	v_cmp_gt_u32_e64 s[6:7], 64, v14
	v_mov_b32_e32 v14, v13
	v_mad_u64_u32 v[14:15], s[4:5], s17, v15, v[14:15]
	v_sub_co_u32_e32 v12, vcc, v12, v4
	v_add_u32_e32 v23, 0xc4, v19
	s_nop 0
	v_subb_co_u32_e32 v13, vcc, v14, v5, vcc
	v_mad_u64_u32 v[14:15], s[4:5], s16, v23, 0
	v_mov_b32_e32 v22, v15
	v_mad_u64_u32 v[22:23], s[4:5], s17, v23, v[22:23]
	v_sub_co_u32_e32 v14, vcc, v14, v4
	v_add_u32_e32 v25, 0xc8, v19
	s_nop 0
	v_subb_co_u32_e32 v15, vcc, v22, v5, vcc
	v_mad_u64_u32 v[22:23], s[4:5], s16, v25, 0
	v_mov_b32_e32 v24, v23
	v_mad_u64_u32 v[24:25], s[4:5], s17, v25, v[24:25]
	v_add_u32_e32 v25, 0xcc, v19
	v_sub_co_u32_e32 v34, vcc, v22, v4
	v_mad_u64_u32 v[22:23], s[4:5], s16, v25, 0
	s_nop 0
	v_subb_co_u32_e32 v35, vcc, v24, v5, vcc
	v_mov_b32_e32 v24, v23
	v_mad_u64_u32 v[24:25], s[4:5], s17, v25, v[24:25]
	v_add_u32_e32 v25, 0x100, v19
	v_sub_co_u32_e32 v36, vcc, v22, v4
	v_mad_u64_u32 v[22:23], s[4:5], s16, v25, 0
	s_nop 0
	v_subb_co_u32_e32 v37, vcc, v24, v5, vcc
	v_mov_b32_e32 v24, v23
	v_mad_u64_u32 v[24:25], s[4:5], s17, v25, v[24:25]
	v_add_u32_e32 v25, 0x104, v19
	v_sub_co_u32_e32 v38, vcc, v22, v4
	v_mad_u64_u32 v[22:23], s[4:5], s16, v25, 0
	s_nop 0
	v_subb_co_u32_e32 v39, vcc, v24, v5, vcc
	v_mov_b32_e32 v24, v23
	v_mad_u64_u32 v[24:25], s[4:5], s17, v25, v[24:25]
	v_add_u32_e32 v25, 0x108, v19
	v_sub_co_u32_e32 v40, vcc, v22, v4
	v_mad_u64_u32 v[22:23], s[4:5], s16, v25, 0
	s_nop 0
	v_subb_co_u32_e32 v41, vcc, v24, v5, vcc
	v_mov_b32_e32 v24, v23
	v_mad_u64_u32 v[24:25], s[4:5], s17, v25, v[24:25]
	v_add_u32_e32 v25, 0x10c, v19
	v_sub_co_u32_e32 v42, vcc, v22, v4
	v_mad_u64_u32 v[22:23], s[4:5], s16, v25, 0
	s_nop 0
	v_subb_co_u32_e32 v43, vcc, v24, v5, vcc
	v_mov_b32_e32 v24, v23
	v_mad_u64_u32 v[24:25], s[4:5], s17, v25, v[24:25]
	v_add_u32_e32 v25, 0x140, v19
	v_sub_co_u32_e32 v44, vcc, v22, v4
	v_mad_u64_u32 v[22:23], s[4:5], s16, v25, 0
	s_nop 0
	v_subb_co_u32_e32 v45, vcc, v24, v5, vcc
	v_mov_b32_e32 v24, v23
	v_mad_u64_u32 v[24:25], s[4:5], s17, v25, v[24:25]
	v_add_u32_e32 v25, 0x144, v19
	v_sub_co_u32_e32 v46, vcc, v22, v4
	v_mad_u64_u32 v[22:23], s[4:5], s16, v25, 0
	s_nop 0
	v_subb_co_u32_e32 v47, vcc, v24, v5, vcc
	v_mov_b32_e32 v24, v23
	v_mad_u64_u32 v[24:25], s[4:5], s17, v25, v[24:25]
	v_add_u32_e32 v25, 0x148, v19
	v_sub_co_u32_e32 v48, vcc, v22, v4
	v_mad_u64_u32 v[22:23], s[4:5], s16, v25, 0
	v_add_u32_e32 v69, 0x10c0, v19
	v_subb_co_u32_e32 v49, vcc, v24, v5, vcc
	v_mov_b32_e32 v24, v23
	v_add_u32_e32 v19, 0x14c, v19
	v_mad_u64_u32 v[24:25], s[4:5], s17, v25, v[24:25]
	v_sub_co_u32_e32 v50, vcc, v22, v4
	v_mad_u64_u32 v[22:23], s[4:5], s16, v19, 0
	s_nop 0
	v_subb_co_u32_e32 v51, vcc, v24, v5, vcc
	v_mov_b32_e32 v24, v23
	v_mad_u64_u32 v[24:25], s[4:5], s17, v19, v[24:25]
	v_sub_co_u32_e32 v4, vcc, v22, v4
	v_lshlrev_b32_e32 v67, 2, v65
	s_nop 0
	v_subb_co_u32_e32 v5, vcc, v24, v5, vcc
	s_add_i32 s3, s33, -2
	v_add_u32_e32 v68, 0x10c0, v18
	v_add_u32_e32 v70, 0x11c0, v18
	v_lshl_add_u64 v[22:23], v[8:9], 0, v[0:1]
	v_lshl_add_u64 v[24:25], v[8:9], 0, v[2:3]
	;; [unrolled: 1-line block ×16, first 2 shown]
	v_add_u32_e32 v75, v54, v55
	s_add_i32 s21, s22, 64
	v_mov_b32_e32 v19, 0
	s_lshl_b64 s[10:11], s[16:17], 8
	v_add_u32_e32 v76, 50, v67
	v_add_u32_e32 v77, 51, v67
	s_cmp_eq_u32 s3, s2
	s_cselect_b32 s16, s36, 0
	s_and_saveexec_b64 s[4:5], s[0:1]
	s_cbranch_execz .LBB69_74
.LBB69_71:
	s_cmp_eq_u32 s16, 0
	s_cselect_b64 s[12:13], -1, 0
	v_cmp_gt_i32_e32 vcc, s16, v64
	s_or_b64 s[14:15], s[12:13], vcc
	v_mov_b32_e32 v0, 0
	s_and_saveexec_b64 s[12:13], s[14:15]
	s_cbranch_execz .LBB69_73
; %bb.72:
	s_ashr_i32 s14, s21, 31
	s_mul_hi_u32 s15, s24, s21
	s_mul_i32 s14, s24, s14
	s_add_i32 s14, s15, s14
	s_mul_i32 s15, s25, s21
	s_add_i32 s15, s14, s15
	s_mul_i32 s14, s24, s21
	v_lshl_add_u64 v[0:1], s[14:15], 2, v[20:21]
	global_load_dword v0, v[0:1], off
.LBB69_73:
	s_or_b64 exec, exec, s[12:13]
	s_waitcnt vmcnt(0)
	ds_write_b32 v68, v0
.LBB69_74:                              ; =>This Inner Loop Header: Depth=1
	s_or_b64 exec, exec, s[4:5]
	s_cmp_eq_u32 s16, 0
	s_cselect_b64 s[12:13], -1, 0
	s_cmp_lg_u32 s16, 0
	s_cselect_b64 s[14:15], -1, 0
	v_lshl_add_u64 v[0:1], v[22:23], 0, v[18:19]
	s_mov_b64 s[4:5], -1
	s_and_b64 vcc, exec, s[14:15]
	s_waitcnt lgkmcnt(0)
	s_barrier
                                        ; implicit-def: $vgpr80
                                        ; implicit-def: $vgpr81
                                        ; implicit-def: $vgpr78
                                        ; implicit-def: $vgpr79
	s_cbranch_vccz .LBB69_84
; %bb.75:                               ;   in Loop: Header=BB69_74 Depth=1
	v_cmp_gt_i32_e32 vcc, s16, v67
	v_mov_b32_e32 v78, 0
	v_mov_b32_e32 v79, 0
	s_and_saveexec_b64 s[4:5], vcc
	s_cbranch_execz .LBB69_77
; %bb.76:                               ;   in Loop: Header=BB69_74 Depth=1
	global_load_dword v79, v[0:1], off
.LBB69_77:                              ;   in Loop: Header=BB69_74 Depth=1
	s_or_b64 exec, exec, s[4:5]
	v_or_b32_e32 v2, 1, v67
	v_cmp_gt_i32_e32 vcc, s16, v2
	s_and_saveexec_b64 s[4:5], vcc
	s_cbranch_execz .LBB69_79
; %bb.78:                               ;   in Loop: Header=BB69_74 Depth=1
	v_lshl_add_u64 v[2:3], v[28:29], 0, v[18:19]
	global_load_dword v78, v[2:3], off
.LBB69_79:                              ;   in Loop: Header=BB69_74 Depth=1
	s_or_b64 exec, exec, s[4:5]
	v_or_b32_e32 v2, 2, v67
	v_cmp_gt_i32_e32 vcc, s16, v2
	v_mov_b32_e32 v80, 0
	v_mov_b32_e32 v81, 0
	s_and_saveexec_b64 s[4:5], vcc
	s_cbranch_execz .LBB69_81
; %bb.80:                               ;   in Loop: Header=BB69_74 Depth=1
	v_lshl_add_u64 v[2:3], v[24:25], 0, v[18:19]
	global_load_dword v81, v[2:3], off
.LBB69_81:                              ;   in Loop: Header=BB69_74 Depth=1
	s_or_b64 exec, exec, s[4:5]
	v_or_b32_e32 v2, 3, v67
	v_cmp_gt_i32_e32 vcc, s16, v2
	s_and_saveexec_b64 s[4:5], vcc
	s_cbranch_execz .LBB69_83
; %bb.82:                               ;   in Loop: Header=BB69_74 Depth=1
	v_lshl_add_u64 v[2:3], v[26:27], 0, v[18:19]
	global_load_dword v80, v[2:3], off
.LBB69_83:                              ;   in Loop: Header=BB69_74 Depth=1
	s_or_b64 exec, exec, s[4:5]
	s_mov_b64 s[4:5], 0
.LBB69_84:                              ;   in Loop: Header=BB69_74 Depth=1
	s_and_b64 vcc, exec, s[4:5]
	s_cbranch_vccz .LBB69_86
; %bb.85:                               ;   in Loop: Header=BB69_74 Depth=1
	global_load_dword v79, v[0:1], off
	v_lshl_add_u64 v[0:1], v[28:29], 0, v[18:19]
	global_load_dword v78, v[0:1], off
	v_lshl_add_u64 v[0:1], v[24:25], 0, v[18:19]
	;; [unrolled: 2-line block ×3, first 2 shown]
	global_load_dword v80, v[0:1], off
.LBB69_86:                              ;   in Loop: Header=BB69_74 Depth=1
	ds_read_b32 v4, v70
	ds_read_b128 v[0:3], v69
	s_andn2_b64 vcc, exec, s[14:15]
                                        ; implicit-def: $vgpr84
                                        ; implicit-def: $vgpr85
                                        ; implicit-def: $vgpr82
                                        ; implicit-def: $vgpr83
	s_waitcnt vmcnt(0) lgkmcnt(1)
	v_mul_f32_e32 v5, v79, v4
	v_mul_f32_e32 v6, v78, v4
	;; [unrolled: 1-line block ×4, first 2 shown]
	ds_write2_b32 v71, v5, v6 offset1:67
	ds_write2_b32 v71, v7, v4 offset0:134 offset1:201
	s_waitcnt lgkmcnt(0)
	s_barrier
	ds_read2_b32 v[56:57], v75 offset1:1
	ds_read2_b32 v[54:55], v75 offset0:2 offset1:3
	v_cndmask_b32_e64 v6, 0, 1, s[14:15]
	v_lshl_add_u64 v[4:5], v[30:31], 0, v[18:19]
	v_cmp_ne_u32_e64 s[4:5], 1, v6
	s_mov_b64 s[14:15], -1
	s_waitcnt lgkmcnt(0)
	s_barrier
	s_cbranch_vccnz .LBB69_96
; %bb.87:                               ;   in Loop: Header=BB69_74 Depth=1
	v_add_u32_e32 v6, 16, v67
	v_cmp_gt_i32_e32 vcc, s16, v6
	v_mov_b32_e32 v82, 0
	v_mov_b32_e32 v83, 0
	s_and_saveexec_b64 s[14:15], vcc
	s_cbranch_execz .LBB69_89
; %bb.88:                               ;   in Loop: Header=BB69_74 Depth=1
	global_load_dword v83, v[4:5], off
.LBB69_89:                              ;   in Loop: Header=BB69_74 Depth=1
	s_or_b64 exec, exec, s[14:15]
	v_add_u32_e32 v6, 17, v67
	v_cmp_gt_i32_e32 vcc, s16, v6
	s_and_saveexec_b64 s[14:15], vcc
	s_cbranch_execz .LBB69_91
; %bb.90:                               ;   in Loop: Header=BB69_74 Depth=1
	v_lshl_add_u64 v[6:7], v[32:33], 0, v[18:19]
	global_load_dword v82, v[6:7], off
.LBB69_91:                              ;   in Loop: Header=BB69_74 Depth=1
	s_or_b64 exec, exec, s[14:15]
	v_add_u32_e32 v6, 18, v67
	v_cmp_gt_i32_e32 vcc, s16, v6
	v_mov_b32_e32 v84, 0
	v_mov_b32_e32 v85, 0
	s_and_saveexec_b64 s[14:15], vcc
	s_cbranch_execz .LBB69_93
; %bb.92:                               ;   in Loop: Header=BB69_74 Depth=1
	v_lshl_add_u64 v[6:7], v[34:35], 0, v[18:19]
	global_load_dword v85, v[6:7], off
.LBB69_93:                              ;   in Loop: Header=BB69_74 Depth=1
	s_or_b64 exec, exec, s[14:15]
	v_add_u32_e32 v6, 19, v67
	v_cmp_gt_i32_e32 vcc, s16, v6
	s_and_saveexec_b64 s[14:15], vcc
	s_cbranch_execz .LBB69_95
; %bb.94:                               ;   in Loop: Header=BB69_74 Depth=1
	v_lshl_add_u64 v[6:7], v[36:37], 0, v[18:19]
	global_load_dword v84, v[6:7], off
.LBB69_95:                              ;   in Loop: Header=BB69_74 Depth=1
	s_or_b64 exec, exec, s[14:15]
	s_mov_b64 s[14:15], 0
.LBB69_96:                              ;   in Loop: Header=BB69_74 Depth=1
	s_and_b64 vcc, exec, s[14:15]
	s_cbranch_vccz .LBB69_98
; %bb.97:                               ;   in Loop: Header=BB69_74 Depth=1
	global_load_dword v83, v[4:5], off
	v_lshl_add_u64 v[4:5], v[32:33], 0, v[18:19]
	global_load_dword v82, v[4:5], off
	v_lshl_add_u64 v[4:5], v[34:35], 0, v[18:19]
	;; [unrolled: 2-line block ×3, first 2 shown]
	global_load_dword v84, v[4:5], off
.LBB69_98:                              ;   in Loop: Header=BB69_74 Depth=1
	ds_read_b32 v8, v70
	ds_read_b128 v[4:7], v69 offset:64
	s_and_b64 vcc, exec, s[4:5]
	s_mov_b64 s[14:15], -1
                                        ; implicit-def: $vgpr88
                                        ; implicit-def: $vgpr89
                                        ; implicit-def: $vgpr86
                                        ; implicit-def: $vgpr87
	s_waitcnt vmcnt(0) lgkmcnt(1)
	v_mul_f32_e32 v9, v83, v8
	v_mul_f32_e32 v10, v82, v8
	v_mul_f32_e32 v11, v85, v8
	v_mul_f32_e32 v8, v84, v8
	ds_write2_b32 v71, v9, v10 offset1:67
	ds_write2_b32 v71, v11, v8 offset0:134 offset1:201
	s_waitcnt lgkmcnt(0)
	s_barrier
	ds_read2_b32 v[14:15], v75 offset1:1
	ds_read2_b32 v[12:13], v75 offset0:2 offset1:3
	v_lshl_add_u64 v[8:9], v[38:39], 0, v[18:19]
	s_waitcnt lgkmcnt(0)
	s_barrier
	s_cbranch_vccnz .LBB69_108
; %bb.99:                               ;   in Loop: Header=BB69_74 Depth=1
	v_add_u32_e32 v10, 32, v67
	v_cmp_gt_i32_e32 vcc, s16, v10
	v_mov_b32_e32 v86, 0
	v_mov_b32_e32 v87, 0
	s_and_saveexec_b64 s[14:15], vcc
	s_cbranch_execz .LBB69_101
; %bb.100:                              ;   in Loop: Header=BB69_74 Depth=1
	global_load_dword v87, v[8:9], off
.LBB69_101:                             ;   in Loop: Header=BB69_74 Depth=1
	s_or_b64 exec, exec, s[14:15]
	v_add_u32_e32 v10, 33, v67
	v_cmp_gt_i32_e32 vcc, s16, v10
	s_and_saveexec_b64 s[14:15], vcc
	s_cbranch_execz .LBB69_103
; %bb.102:                              ;   in Loop: Header=BB69_74 Depth=1
	v_lshl_add_u64 v[10:11], v[40:41], 0, v[18:19]
	global_load_dword v86, v[10:11], off
.LBB69_103:                             ;   in Loop: Header=BB69_74 Depth=1
	s_or_b64 exec, exec, s[14:15]
	v_add_u32_e32 v10, 34, v67
	v_cmp_gt_i32_e32 vcc, s16, v10
	v_mov_b32_e32 v88, 0
	v_mov_b32_e32 v89, 0
	s_and_saveexec_b64 s[14:15], vcc
	s_cbranch_execz .LBB69_105
; %bb.104:                              ;   in Loop: Header=BB69_74 Depth=1
	v_lshl_add_u64 v[10:11], v[42:43], 0, v[18:19]
	global_load_dword v89, v[10:11], off
.LBB69_105:                             ;   in Loop: Header=BB69_74 Depth=1
	s_or_b64 exec, exec, s[14:15]
	v_add_u32_e32 v10, 35, v67
	v_cmp_gt_i32_e32 vcc, s16, v10
	s_and_saveexec_b64 s[14:15], vcc
	s_cbranch_execz .LBB69_107
; %bb.106:                              ;   in Loop: Header=BB69_74 Depth=1
	v_lshl_add_u64 v[10:11], v[44:45], 0, v[18:19]
	global_load_dword v88, v[10:11], off
.LBB69_107:                             ;   in Loop: Header=BB69_74 Depth=1
	s_or_b64 exec, exec, s[14:15]
	s_mov_b64 s[14:15], 0
.LBB69_108:                             ;   in Loop: Header=BB69_74 Depth=1
	s_and_b64 vcc, exec, s[14:15]
	s_cbranch_vccz .LBB69_110
; %bb.109:                              ;   in Loop: Header=BB69_74 Depth=1
	global_load_dword v87, v[8:9], off
	v_lshl_add_u64 v[8:9], v[40:41], 0, v[18:19]
	global_load_dword v86, v[8:9], off
	v_lshl_add_u64 v[8:9], v[42:43], 0, v[18:19]
	;; [unrolled: 2-line block ×3, first 2 shown]
	global_load_dword v88, v[8:9], off
.LBB69_110:                             ;   in Loop: Header=BB69_74 Depth=1
	ds_read_b32 v58, v70
	ds_read_b128 v[8:11], v69 offset:128
	v_lshl_add_u64 v[62:63], v[46:47], 0, v[18:19]
	s_and_b64 vcc, exec, s[4:5]
	s_mov_b64 s[4:5], -1
	s_waitcnt vmcnt(0) lgkmcnt(1)
	v_mul_f32_e32 v59, v87, v58
	v_mul_f32_e32 v60, v86, v58
	;; [unrolled: 1-line block ×4, first 2 shown]
	ds_write2_b32 v71, v59, v60 offset1:67
	ds_write2_b32 v71, v61, v58 offset0:134 offset1:201
	s_waitcnt lgkmcnt(0)
	s_barrier
	ds_read2_b32 v[60:61], v75 offset1:1
	ds_read2_b32 v[58:59], v75 offset0:2 offset1:3
	s_waitcnt lgkmcnt(0)
	s_barrier
                                        ; implicit-def: $vgpr92
                                        ; implicit-def: $vgpr93
                                        ; implicit-def: $vgpr90
                                        ; implicit-def: $vgpr91
	s_cbranch_vccnz .LBB69_120
; %bb.111:                              ;   in Loop: Header=BB69_74 Depth=1
	v_add_u32_e32 v90, 48, v67
	v_cmp_gt_i32_e32 vcc, s16, v90
	v_mov_b32_e32 v90, 0
	v_mov_b32_e32 v91, 0
	s_and_saveexec_b64 s[4:5], vcc
	s_cbranch_execz .LBB69_113
; %bb.112:                              ;   in Loop: Header=BB69_74 Depth=1
	global_load_dword v91, v[62:63], off
.LBB69_113:                             ;   in Loop: Header=BB69_74 Depth=1
	s_or_b64 exec, exec, s[4:5]
	v_add_u32_e32 v92, 49, v67
	v_cmp_gt_i32_e32 vcc, s16, v92
	s_and_saveexec_b64 s[4:5], vcc
	s_cbranch_execz .LBB69_115
; %bb.114:                              ;   in Loop: Header=BB69_74 Depth=1
	v_lshl_add_u64 v[92:93], v[48:49], 0, v[18:19]
	global_load_dword v90, v[92:93], off
.LBB69_115:                             ;   in Loop: Header=BB69_74 Depth=1
	s_or_b64 exec, exec, s[4:5]
	v_cmp_gt_i32_e32 vcc, s16, v76
	v_mov_b32_e32 v92, 0
	v_mov_b32_e32 v93, 0
	s_and_saveexec_b64 s[4:5], vcc
	s_cbranch_execz .LBB69_117
; %bb.116:                              ;   in Loop: Header=BB69_74 Depth=1
	v_lshl_add_u64 v[94:95], v[50:51], 0, v[18:19]
	global_load_dword v93, v[94:95], off
.LBB69_117:                             ;   in Loop: Header=BB69_74 Depth=1
	s_or_b64 exec, exec, s[4:5]
	v_cmp_gt_i32_e32 vcc, s16, v77
	s_and_saveexec_b64 s[4:5], vcc
	s_cbranch_execz .LBB69_119
; %bb.118:                              ;   in Loop: Header=BB69_74 Depth=1
	v_lshl_add_u64 v[94:95], v[52:53], 0, v[18:19]
	global_load_dword v92, v[94:95], off
.LBB69_119:                             ;   in Loop: Header=BB69_74 Depth=1
	s_or_b64 exec, exec, s[4:5]
	s_mov_b64 s[4:5], 0
.LBB69_120:                             ;   in Loop: Header=BB69_74 Depth=1
	s_and_b64 vcc, exec, s[4:5]
	s_cbranch_vccz .LBB69_122
; %bb.121:                              ;   in Loop: Header=BB69_74 Depth=1
	global_load_dword v91, v[62:63], off
	v_lshl_add_u64 v[62:63], v[48:49], 0, v[18:19]
	global_load_dword v90, v[62:63], off
	v_lshl_add_u64 v[62:63], v[50:51], 0, v[18:19]
	;; [unrolled: 2-line block ×3, first 2 shown]
	global_load_dword v92, v[62:63], off
.LBB69_122:                             ;   in Loop: Header=BB69_74 Depth=1
	v_add_f32_e32 v60, 0, v60
	v_add_f32_e32 v60, v60, v61
	;; [unrolled: 1-line block ×4, first 2 shown]
	ds_read_b32 v58, v70
	v_add_f32_e32 v14, 0, v14
	v_add_f32_e32 v14, v14, v15
	;; [unrolled: 1-line block ×4, first 2 shown]
	ds_read_b128 v[12:15], v69 offset:192
	s_waitcnt vmcnt(0) lgkmcnt(1)
	v_mul_f32_e32 v59, v91, v58
	v_mul_f32_e32 v62, v90, v58
	ds_write2_b32 v71, v59, v62 offset1:67
	v_mul_f32_e32 v59, v93, v58
	v_mul_f32_e32 v58, v92, v58
	ds_write2_b32 v71, v59, v58 offset0:134 offset1:201
	s_waitcnt lgkmcnt(0)
	s_barrier
	ds_read2_b32 v[58:59], v75 offset1:1
	v_add_f32_e32 v56, 0, v56
	v_add_f32_e32 v62, v56, v57
	ds_read2_b32 v[56:57], v75 offset0:2 offset1:3
	v_add_f32_e32 v54, v62, v54
	v_add_f32_e32 v54, v54, v55
	s_waitcnt lgkmcnt(1)
	v_add_f32_e32 v55, 0, v58
	v_cmp_gt_i32_e32 vcc, s16, v64
	v_add_f32_e32 v55, v55, v59
	s_or_b64 s[4:5], s[12:13], vcc
	s_waitcnt lgkmcnt(0)
	v_add_f32_e32 v55, v55, v56
	s_and_b64 s[12:13], s[6:7], s[4:5]
	v_add_f32_e32 v55, v55, v57
	s_barrier
	ds_write2_b32 v72, v54, v61 offset1:16
	ds_write2_b32 v72, v60, v55 offset0:32 offset1:48
	s_waitcnt lgkmcnt(0)
	s_barrier
	s_and_saveexec_b64 s[4:5], s[12:13]
	s_cbranch_execz .LBB69_124
; %bb.123:                              ;   in Loop: Header=BB69_74 Depth=1
	ds_read2_b32 v[54:55], v73 offset1:1
	ds_read2_b32 v[56:57], v73 offset0:2 offset1:3
	ds_read2_b32 v[58:59], v73 offset0:4 offset1:5
	;; [unrolled: 1-line block ×4, first 2 shown]
	s_waitcnt lgkmcnt(4)
	v_add_f32_e32 v54, v54, v55
	s_waitcnt lgkmcnt(3)
	v_add_f32_e32 v54, v54, v56
	v_add_f32_e32 v54, v54, v57
	s_waitcnt lgkmcnt(2)
	v_add_f32_e32 v54, v54, v58
	;; [unrolled: 3-line block ×3, first 2 shown]
	v_add_f32_e32 v58, v54, v61
	ds_read2_b32 v[54:55], v73 offset0:10 offset1:11
	ds_read2_b32 v[56:57], v73 offset0:12 offset1:13
	ds_read_b32 v59, v73 offset:56
	s_waitcnt lgkmcnt(3)
	v_add_f32_e32 v58, v58, v62
	v_add_f32_e32 v58, v58, v63
	s_waitcnt lgkmcnt(2)
	v_add_f32_e32 v54, v58, v54
	ds_read_b32 v58, v74
	v_add_f32_e32 v54, v54, v55
	s_waitcnt lgkmcnt(2)
	v_add_f32_e32 v54, v54, v56
	v_add_f32_e32 v54, v54, v57
	s_waitcnt lgkmcnt(1)
	v_add_f32_e32 v54, v54, v59
	s_waitcnt lgkmcnt(0)
	v_add_f32_e32 v56, v54, v58
	v_add_u32_e32 v54, s21, v64
	v_ashrrev_i32_e32 v55, 31, v54
	v_lshl_add_u64 v[54:55], v[54:55], 2, s[8:9]
	global_store_dword v[54:55], v56, off
.LBB69_124:                             ;   in Loop: Header=BB69_74 Depth=1
	s_or_b64 exec, exec, s[4:5]
	v_fmac_f32_e32 v66, v79, v0
	v_fmac_f32_e32 v66, v78, v1
	;; [unrolled: 1-line block ×15, first 2 shown]
	s_add_i32 s4, s2, 1
	s_add_i32 s21, s21, 64
	;; [unrolled: 1-line block ×3, first 2 shown]
	v_fmac_f32_e32 v66, v92, v15
	v_lshl_add_u64 v[22:23], v[22:23], 0, s[10:11]
	v_lshl_add_u64 v[24:25], v[24:25], 0, s[10:11]
	;; [unrolled: 1-line block ×15, first 2 shown]
	s_cmp_ge_u32 s2, s33
	v_lshl_add_u64 v[52:53], v[52:53], 0, s[10:11]
	s_barrier
	s_cbranch_scc1 .LBB69_126
; %bb.125:                              ;   in Loop: Header=BB69_74 Depth=1
	s_mov_b32 s2, s4
	s_cmp_eq_u32 s3, s2
	s_cselect_b32 s16, s36, 0
	s_and_saveexec_b64 s[4:5], s[0:1]
	s_cbranch_execnz .LBB69_71
	s_branch .LBB69_74
.LBB69_126:
	s_movk_i32 s2, 0x10c
	v_cmp_gt_i32_e32 vcc, s20, v64
	v_mad_u32_u24 v0, v65, s2, v18
	s_or_b64 s[2:3], s[18:19], vcc
	s_and_b64 s[0:1], s[0:1], s[2:3]
	ds_write_b32 v0, v66
	s_waitcnt lgkmcnt(0)
	s_barrier
	s_and_saveexec_b64 s[2:3], s[0:1]
	s_cbranch_execz .LBB69_128
; %bb.127:
	ds_read2_b32 v[0:1], v18 offset1:67
	ds_read2_b32 v[2:3], v18 offset0:134 offset1:201
	s_waitcnt lgkmcnt(1)
	v_add_f32_e32 v0, v0, v1
	s_waitcnt lgkmcnt(0)
	v_add_f32_e32 v0, v0, v2
	v_add_f32_e32 v2, v0, v3
	v_lshl_add_u64 v[0:1], v[16:17], 2, s[8:9]
	global_store_dword v[0:1], v2, off
.LBB69_128:
	s_endpgm
	.section	.rodata,"a",@progbits
	.p2align	6, 0x0
	.amdhsa_kernel _ZL26rocblas_hemvn_kernel_upperILb0ELi64ELi4ELi33ELi32ELi16ElPKfS1_PfEviT6_lT7_lT5_lS4_lS5_lS3_lT8_i
		.amdhsa_group_segment_fixed_size 4800
		.amdhsa_private_segment_fixed_size 0
		.amdhsa_kernarg_size 376
		.amdhsa_user_sgpr_count 2
		.amdhsa_user_sgpr_dispatch_ptr 0
		.amdhsa_user_sgpr_queue_ptr 0
		.amdhsa_user_sgpr_kernarg_segment_ptr 1
		.amdhsa_user_sgpr_dispatch_id 0
		.amdhsa_user_sgpr_kernarg_preload_length 0
		.amdhsa_user_sgpr_kernarg_preload_offset 0
		.amdhsa_user_sgpr_private_segment_size 0
		.amdhsa_uses_dynamic_stack 0
		.amdhsa_enable_private_segment 0
		.amdhsa_system_sgpr_workgroup_id_x 1
		.amdhsa_system_sgpr_workgroup_id_y 0
		.amdhsa_system_sgpr_workgroup_id_z 1
		.amdhsa_system_sgpr_workgroup_info 0
		.amdhsa_system_vgpr_workitem_id 1
		.amdhsa_next_free_vgpr 96
		.amdhsa_next_free_sgpr 40
		.amdhsa_accum_offset 96
		.amdhsa_reserve_vcc 1
		.amdhsa_float_round_mode_32 0
		.amdhsa_float_round_mode_16_64 0
		.amdhsa_float_denorm_mode_32 3
		.amdhsa_float_denorm_mode_16_64 3
		.amdhsa_dx10_clamp 1
		.amdhsa_ieee_mode 1
		.amdhsa_fp16_overflow 0
		.amdhsa_tg_split 0
		.amdhsa_exception_fp_ieee_invalid_op 0
		.amdhsa_exception_fp_denorm_src 0
		.amdhsa_exception_fp_ieee_div_zero 0
		.amdhsa_exception_fp_ieee_overflow 0
		.amdhsa_exception_fp_ieee_underflow 0
		.amdhsa_exception_fp_ieee_inexact 0
		.amdhsa_exception_int_div_zero 0
	.end_amdhsa_kernel
	.section	.text._ZL26rocblas_hemvn_kernel_upperILb0ELi64ELi4ELi33ELi32ELi16ElPKfS1_PfEviT6_lT7_lT5_lS4_lS5_lS3_lT8_i,"axG",@progbits,_ZL26rocblas_hemvn_kernel_upperILb0ELi64ELi4ELi33ELi32ELi16ElPKfS1_PfEviT6_lT7_lT5_lS4_lS5_lS3_lT8_i,comdat
.Lfunc_end69:
	.size	_ZL26rocblas_hemvn_kernel_upperILb0ELi64ELi4ELi33ELi32ELi16ElPKfS1_PfEviT6_lT7_lT5_lS4_lS5_lS3_lT8_i, .Lfunc_end69-_ZL26rocblas_hemvn_kernel_upperILb0ELi64ELi4ELi33ELi32ELi16ElPKfS1_PfEviT6_lT7_lT5_lS4_lS5_lS3_lT8_i
                                        ; -- End function
	.set _ZL26rocblas_hemvn_kernel_upperILb0ELi64ELi4ELi33ELi32ELi16ElPKfS1_PfEviT6_lT7_lT5_lS4_lS5_lS3_lT8_i.num_vgpr, 96
	.set _ZL26rocblas_hemvn_kernel_upperILb0ELi64ELi4ELi33ELi32ELi16ElPKfS1_PfEviT6_lT7_lT5_lS4_lS5_lS3_lT8_i.num_agpr, 0
	.set _ZL26rocblas_hemvn_kernel_upperILb0ELi64ELi4ELi33ELi32ELi16ElPKfS1_PfEviT6_lT7_lT5_lS4_lS5_lS3_lT8_i.numbered_sgpr, 40
	.set _ZL26rocblas_hemvn_kernel_upperILb0ELi64ELi4ELi33ELi32ELi16ElPKfS1_PfEviT6_lT7_lT5_lS4_lS5_lS3_lT8_i.num_named_barrier, 0
	.set _ZL26rocblas_hemvn_kernel_upperILb0ELi64ELi4ELi33ELi32ELi16ElPKfS1_PfEviT6_lT7_lT5_lS4_lS5_lS3_lT8_i.private_seg_size, 0
	.set _ZL26rocblas_hemvn_kernel_upperILb0ELi64ELi4ELi33ELi32ELi16ElPKfS1_PfEviT6_lT7_lT5_lS4_lS5_lS3_lT8_i.uses_vcc, 1
	.set _ZL26rocblas_hemvn_kernel_upperILb0ELi64ELi4ELi33ELi32ELi16ElPKfS1_PfEviT6_lT7_lT5_lS4_lS5_lS3_lT8_i.uses_flat_scratch, 0
	.set _ZL26rocblas_hemvn_kernel_upperILb0ELi64ELi4ELi33ELi32ELi16ElPKfS1_PfEviT6_lT7_lT5_lS4_lS5_lS3_lT8_i.has_dyn_sized_stack, 0
	.set _ZL26rocblas_hemvn_kernel_upperILb0ELi64ELi4ELi33ELi32ELi16ElPKfS1_PfEviT6_lT7_lT5_lS4_lS5_lS3_lT8_i.has_recursion, 0
	.set _ZL26rocblas_hemvn_kernel_upperILb0ELi64ELi4ELi33ELi32ELi16ElPKfS1_PfEviT6_lT7_lT5_lS4_lS5_lS3_lT8_i.has_indirect_call, 0
	.section	.AMDGPU.csdata,"",@progbits
; Kernel info:
; codeLenInByte = 6736
; TotalNumSgprs: 46
; NumVgprs: 96
; NumAgprs: 0
; TotalNumVgprs: 96
; ScratchSize: 0
; MemoryBound: 0
; FloatMode: 240
; IeeeMode: 1
; LDSByteSize: 4800 bytes/workgroup (compile time only)
; SGPRBlocks: 5
; VGPRBlocks: 11
; NumSGPRsForWavesPerEU: 46
; NumVGPRsForWavesPerEU: 96
; AccumOffset: 96
; Occupancy: 5
; WaveLimiterHint : 0
; COMPUTE_PGM_RSRC2:SCRATCH_EN: 0
; COMPUTE_PGM_RSRC2:USER_SGPR: 2
; COMPUTE_PGM_RSRC2:TRAP_HANDLER: 0
; COMPUTE_PGM_RSRC2:TGID_X_EN: 1
; COMPUTE_PGM_RSRC2:TGID_Y_EN: 0
; COMPUTE_PGM_RSRC2:TGID_Z_EN: 1
; COMPUTE_PGM_RSRC2:TIDIG_COMP_CNT: 1
; COMPUTE_PGM_RSRC3_GFX90A:ACCUM_OFFSET: 23
; COMPUTE_PGM_RSRC3_GFX90A:TG_SPLIT: 0
	.section	.text._ZL36rocblas_hemvn_kernel_upper_block_sumILi64ElPKfPffEviT1_lS3_lT2_lT0_lPT3_i,"axG",@progbits,_ZL36rocblas_hemvn_kernel_upper_block_sumILi64ElPKfPffEviT1_lS3_lT2_lT0_lPT3_i,comdat
	.globl	_ZL36rocblas_hemvn_kernel_upper_block_sumILi64ElPKfPffEviT1_lS3_lT2_lT0_lPT3_i ; -- Begin function _ZL36rocblas_hemvn_kernel_upper_block_sumILi64ElPKfPffEviT1_lS3_lT2_lT0_lPT3_i
	.p2align	8
	.type	_ZL36rocblas_hemvn_kernel_upper_block_sumILi64ElPKfPffEviT1_lS3_lT2_lT0_lPT3_i,@function
_ZL36rocblas_hemvn_kernel_upper_block_sumILi64ElPKfPffEviT1_lS3_lT2_lT0_lPT3_i: ; @_ZL36rocblas_hemvn_kernel_upper_block_sumILi64ElPKfPffEviT1_lS3_lT2_lT0_lPT3_i
; %bb.0:
	s_load_dwordx8 s[4:11], s[0:1], 0x8
	s_waitcnt lgkmcnt(0)
	s_mul_i32 s7, s7, s3
	s_mul_hi_u32 s12, s6, s3
	s_add_i32 s7, s12, s7
	s_mul_i32 s6, s6, s3
	s_lshl_b64 s[6:7], s[6:7], 2
	s_add_u32 s4, s4, s6
	s_addc_u32 s5, s5, s7
	s_load_dword s12, s[4:5], 0x0
	s_mul_i32 s4, s11, s3
	s_mul_hi_u32 s5, s10, s3
	s_add_i32 s5, s5, s4
	s_mul_i32 s4, s10, s3
	s_lshl_b64 s[4:5], s[4:5], 2
	s_add_u32 s4, s8, s4
	s_addc_u32 s5, s9, s5
	s_load_dword s13, s[4:5], 0x0
	s_waitcnt lgkmcnt(0)
	v_cmp_eq_f32_e64 s[4:5], s12, 0
	v_cmp_eq_f32_e64 s[6:7], s13, 1.0
	s_and_b64 s[4:5], s[4:5], s[6:7]
	s_and_b64 vcc, exec, s[4:5]
	s_cbranch_vccnz .LBB70_19
; %bb.1:
	s_load_dwordx8 s[4:11], s[0:1], 0x30
	s_load_dwordx2 s[14:15], s[0:1], 0x28
	s_load_dword s16, s[0:1], 0x0
	v_lshl_or_b32 v0, s2, 6, v0
	s_waitcnt lgkmcnt(0)
	s_mul_i32 s9, s9, s3
	s_mul_hi_u32 s17, s8, s3
	s_mul_i32 s8, s8, s3
	s_add_i32 s9, s17, s9
	s_lshl_b64 s[8:9], s[8:9], 2
	s_add_u32 s8, s14, s8
	s_addc_u32 s9, s15, s9
	s_lshl_b64 s[4:5], s[4:5], 2
	s_add_u32 s8, s8, s4
	s_addc_u32 s9, s9, s5
	v_cmp_neq_f32_e64 s[4:5], s12, 0
	s_and_b64 vcc, exec, s[4:5]
	v_cmp_gt_i32_e64 s[4:5], s16, v0
	s_cbranch_vccnz .LBB70_6
; %bb.2:
	s_mov_b64 s[18:19], 0
	s_mov_b64 s[14:15], 0
                                        ; implicit-def: $vgpr1
                                        ; implicit-def: $vgpr2_vgpr3
	s_and_saveexec_b64 s[20:21], s[4:5]
	s_cbranch_execz .LBB70_7
; %bb.3:
	v_ashrrev_i32_e32 v2, 31, v0
	v_cmp_eq_f32_e64 s[4:5], s13, 0
	v_mul_lo_u32 v4, s7, v0
	v_mul_lo_u32 v5, s6, v2
	v_mad_u64_u32 v[2:3], s[14:15], s6, v0, 0
	v_mov_b32_e32 v1, 0
	v_add3_u32 v3, v3, v5, v4
	s_and_b64 vcc, exec, s[4:5]
	s_cbranch_vccnz .LBB70_5
; %bb.4:
	v_lshl_add_u64 v[4:5], v[2:3], 2, s[8:9]
	global_load_dword v1, v[4:5], off
	s_waitcnt vmcnt(0)
	v_mul_f32_e32 v1, s13, v1
.LBB70_5:
	s_mov_b64 s[14:15], exec
	s_or_b64 exec, exec, s[20:21]
	s_and_b64 vcc, exec, s[18:19]
	s_cbranch_vccnz .LBB70_8
	s_branch .LBB70_17
.LBB70_6:
	s_mov_b64 s[14:15], 0
                                        ; implicit-def: $vgpr1
                                        ; implicit-def: $vgpr2_vgpr3
	s_cbranch_execnz .LBB70_8
	s_branch .LBB70_17
.LBB70_7:
	s_or_b64 exec, exec, s[20:21]
	s_and_b64 vcc, exec, s[18:19]
	s_cbranch_vccz .LBB70_17
.LBB70_8:
	v_cmp_gt_i32_e32 vcc, s16, v0
                                        ; implicit-def: $vgpr1
                                        ; implicit-def: $vgpr2_vgpr3
	s_and_saveexec_b64 s[4:5], vcc
	s_cbranch_execz .LBB70_16
; %bb.9:
	v_ashrrev_i32_e32 v1, 31, v0
	s_cmp_lt_i32 s2, 0
	v_mov_b32_e32 v4, 0
	s_cbranch_scc1 .LBB70_12
; %bb.10:
	s_load_dword s0, s[0:1], 0x58
	s_ashr_i32 s17, s16, 31
	s_mul_hi_u32 s1, s16, s3
	s_mul_i32 s18, s17, s3
	s_add_i32 s1, s1, s18
	s_mul_i32 s3, s16, s3
	s_waitcnt lgkmcnt(0)
	s_mul_i32 s1, s1, s0
	s_mul_hi_u32 s18, s3, s0
	s_add_i32 s1, s18, s1
	s_mul_i32 s0, s3, s0
	s_lshl_b64 s[0:1], s[0:1], 2
	s_add_u32 s0, s10, s0
	s_addc_u32 s1, s11, s1
	v_lshl_add_u64 v[2:3], v[0:1], 2, s[0:1]
	s_add_i32 s2, s2, 1
	s_lshl_b64 s[0:1], s[16:17], 2
	v_mov_b32_e32 v4, 0
.LBB70_11:                              ; =>This Inner Loop Header: Depth=1
	global_load_dword v5, v[2:3], off
	s_add_i32 s2, s2, -1
	v_lshl_add_u64 v[2:3], v[2:3], 0, s[0:1]
	s_cmp_eq_u32 s2, 0
	s_waitcnt vmcnt(0)
	v_add_f32_e32 v4, v4, v5
	s_cbranch_scc0 .LBB70_11
.LBB70_12:
	v_cmp_eq_f32_e64 s[0:1], s13, 0
	s_and_b64 vcc, exec, s[0:1]
	v_mul_lo_u32 v5, s7, v0
	v_mul_lo_u32 v6, s6, v1
	s_cbranch_vccz .LBB70_20
; %bb.13:
	v_mad_u64_u32 v[2:3], s[0:1], s6, v0, 0
	v_mul_f32_e32 v1, s12, v4
	v_add3_u32 v3, v3, v6, v5
	s_cbranch_execnz .LBB70_15
.LBB70_14:
	v_mad_u64_u32 v[2:3], s[0:1], s6, v0, 0
	v_add3_u32 v3, v3, v6, v5
	v_lshl_add_u64 v[0:1], v[2:3], 2, s[8:9]
	global_load_dword v5, v[0:1], off
	s_waitcnt vmcnt(0)
	v_pk_mul_f32 v[0:1], s[12:13], v[4:5]
	s_nop 0
	v_add_f32_e32 v1, v0, v1
.LBB70_15:
	s_or_b64 s[14:15], s[14:15], exec
.LBB70_16:
	s_or_b64 exec, exec, s[4:5]
.LBB70_17:
	s_and_saveexec_b64 s[0:1], s[14:15]
	s_cbranch_execz .LBB70_19
; %bb.18:
	v_lshl_add_u64 v[2:3], v[2:3], 2, s[8:9]
	global_store_dword v[2:3], v1, off
.LBB70_19:
	s_endpgm
.LBB70_20:
                                        ; implicit-def: $vgpr1
                                        ; implicit-def: $vgpr2_vgpr3
	s_branch .LBB70_14
	.section	.rodata,"a",@progbits
	.p2align	6, 0x0
	.amdhsa_kernel _ZL36rocblas_hemvn_kernel_upper_block_sumILi64ElPKfPffEviT1_lS3_lT2_lT0_lPT3_i
		.amdhsa_group_segment_fixed_size 0
		.amdhsa_private_segment_fixed_size 0
		.amdhsa_kernarg_size 344
		.amdhsa_user_sgpr_count 2
		.amdhsa_user_sgpr_dispatch_ptr 0
		.amdhsa_user_sgpr_queue_ptr 0
		.amdhsa_user_sgpr_kernarg_segment_ptr 1
		.amdhsa_user_sgpr_dispatch_id 0
		.amdhsa_user_sgpr_kernarg_preload_length 0
		.amdhsa_user_sgpr_kernarg_preload_offset 0
		.amdhsa_user_sgpr_private_segment_size 0
		.amdhsa_uses_dynamic_stack 0
		.amdhsa_enable_private_segment 0
		.amdhsa_system_sgpr_workgroup_id_x 1
		.amdhsa_system_sgpr_workgroup_id_y 0
		.amdhsa_system_sgpr_workgroup_id_z 1
		.amdhsa_system_sgpr_workgroup_info 0
		.amdhsa_system_vgpr_workitem_id 0
		.amdhsa_next_free_vgpr 7
		.amdhsa_next_free_sgpr 22
		.amdhsa_accum_offset 8
		.amdhsa_reserve_vcc 1
		.amdhsa_float_round_mode_32 0
		.amdhsa_float_round_mode_16_64 0
		.amdhsa_float_denorm_mode_32 3
		.amdhsa_float_denorm_mode_16_64 3
		.amdhsa_dx10_clamp 1
		.amdhsa_ieee_mode 1
		.amdhsa_fp16_overflow 0
		.amdhsa_tg_split 0
		.amdhsa_exception_fp_ieee_invalid_op 0
		.amdhsa_exception_fp_denorm_src 0
		.amdhsa_exception_fp_ieee_div_zero 0
		.amdhsa_exception_fp_ieee_overflow 0
		.amdhsa_exception_fp_ieee_underflow 0
		.amdhsa_exception_fp_ieee_inexact 0
		.amdhsa_exception_int_div_zero 0
	.end_amdhsa_kernel
	.section	.text._ZL36rocblas_hemvn_kernel_upper_block_sumILi64ElPKfPffEviT1_lS3_lT2_lT0_lPT3_i,"axG",@progbits,_ZL36rocblas_hemvn_kernel_upper_block_sumILi64ElPKfPffEviT1_lS3_lT2_lT0_lPT3_i,comdat
.Lfunc_end70:
	.size	_ZL36rocblas_hemvn_kernel_upper_block_sumILi64ElPKfPffEviT1_lS3_lT2_lT0_lPT3_i, .Lfunc_end70-_ZL36rocblas_hemvn_kernel_upper_block_sumILi64ElPKfPffEviT1_lS3_lT2_lT0_lPT3_i
                                        ; -- End function
	.set _ZL36rocblas_hemvn_kernel_upper_block_sumILi64ElPKfPffEviT1_lS3_lT2_lT0_lPT3_i.num_vgpr, 7
	.set _ZL36rocblas_hemvn_kernel_upper_block_sumILi64ElPKfPffEviT1_lS3_lT2_lT0_lPT3_i.num_agpr, 0
	.set _ZL36rocblas_hemvn_kernel_upper_block_sumILi64ElPKfPffEviT1_lS3_lT2_lT0_lPT3_i.numbered_sgpr, 22
	.set _ZL36rocblas_hemvn_kernel_upper_block_sumILi64ElPKfPffEviT1_lS3_lT2_lT0_lPT3_i.num_named_barrier, 0
	.set _ZL36rocblas_hemvn_kernel_upper_block_sumILi64ElPKfPffEviT1_lS3_lT2_lT0_lPT3_i.private_seg_size, 0
	.set _ZL36rocblas_hemvn_kernel_upper_block_sumILi64ElPKfPffEviT1_lS3_lT2_lT0_lPT3_i.uses_vcc, 1
	.set _ZL36rocblas_hemvn_kernel_upper_block_sumILi64ElPKfPffEviT1_lS3_lT2_lT0_lPT3_i.uses_flat_scratch, 0
	.set _ZL36rocblas_hemvn_kernel_upper_block_sumILi64ElPKfPffEviT1_lS3_lT2_lT0_lPT3_i.has_dyn_sized_stack, 0
	.set _ZL36rocblas_hemvn_kernel_upper_block_sumILi64ElPKfPffEviT1_lS3_lT2_lT0_lPT3_i.has_recursion, 0
	.set _ZL36rocblas_hemvn_kernel_upper_block_sumILi64ElPKfPffEviT1_lS3_lT2_lT0_lPT3_i.has_indirect_call, 0
	.section	.AMDGPU.csdata,"",@progbits
; Kernel info:
; codeLenInByte = 648
; TotalNumSgprs: 28
; NumVgprs: 7
; NumAgprs: 0
; TotalNumVgprs: 7
; ScratchSize: 0
; MemoryBound: 0
; FloatMode: 240
; IeeeMode: 1
; LDSByteSize: 0 bytes/workgroup (compile time only)
; SGPRBlocks: 3
; VGPRBlocks: 0
; NumSGPRsForWavesPerEU: 28
; NumVGPRsForWavesPerEU: 7
; AccumOffset: 8
; Occupancy: 8
; WaveLimiterHint : 0
; COMPUTE_PGM_RSRC2:SCRATCH_EN: 0
; COMPUTE_PGM_RSRC2:USER_SGPR: 2
; COMPUTE_PGM_RSRC2:TRAP_HANDLER: 0
; COMPUTE_PGM_RSRC2:TGID_X_EN: 1
; COMPUTE_PGM_RSRC2:TGID_Y_EN: 0
; COMPUTE_PGM_RSRC2:TGID_Z_EN: 1
; COMPUTE_PGM_RSRC2:TIDIG_COMP_CNT: 0
; COMPUTE_PGM_RSRC3_GFX90A:ACCUM_OFFSET: 1
; COMPUTE_PGM_RSRC3_GFX90A:TG_SPLIT: 0
	.section	.text._ZL26rocblas_hemvn_kernel_upperILb0ELi64ELi4ELi33ELi32ELi16EiPKfS1_PfEviT6_lT7_lT5_lS4_lS5_lS3_lT8_i,"axG",@progbits,_ZL26rocblas_hemvn_kernel_upperILb0ELi64ELi4ELi33ELi32ELi16EiPKfS1_PfEviT6_lT7_lT5_lS4_lS5_lS3_lT8_i,comdat
	.globl	_ZL26rocblas_hemvn_kernel_upperILb0ELi64ELi4ELi33ELi32ELi16EiPKfS1_PfEviT6_lT7_lT5_lS4_lS5_lS3_lT8_i ; -- Begin function _ZL26rocblas_hemvn_kernel_upperILb0ELi64ELi4ELi33ELi32ELi16EiPKfS1_PfEviT6_lT7_lT5_lS4_lS5_lS3_lT8_i
	.p2align	8
	.type	_ZL26rocblas_hemvn_kernel_upperILb0ELi64ELi4ELi33ELi32ELi16EiPKfS1_PfEviT6_lT7_lT5_lS4_lS5_lS3_lT8_i,@function
_ZL26rocblas_hemvn_kernel_upperILb0ELi64ELi4ELi33ELi32ELi16EiPKfS1_PfEviT6_lT7_lT5_lS4_lS5_lS3_lT8_i: ; @_ZL26rocblas_hemvn_kernel_upperILb0ELi64ELi4ELi33ELi32ELi16EiPKfS1_PfEviT6_lT7_lT5_lS4_lS5_lS3_lT8_i
; %bb.0:
	s_load_dwordx2 s[4:5], s[0:1], 0x84
	s_add_u32 s20, s0, 0x78
	s_addc_u32 s21, s1, 0
	s_waitcnt lgkmcnt(0)
	s_lshr_b32 s6, s4, 16
	s_and_b32 s4, s4, 0xffff
	s_and_b32 s5, s5, 0xffff
	s_mul_i32 s4, s6, s4
	s_mul_i32 s4, s4, s5
	s_cmpk_lg_i32 s4, 0x100
	s_cbranch_scc1 .LBB71_128
; %bb.1:
	s_load_dwordx8 s[4:11], s[0:1], 0x8
	s_load_dwordx8 s[12:19], s[0:1], 0x50
	s_waitcnt lgkmcnt(0)
	s_mul_i32 s7, s7, s3
	s_mul_hi_u32 s22, s6, s3
	s_mul_i32 s6, s6, s3
	s_add_i32 s7, s22, s7
	s_lshl_b64 s[6:7], s[6:7], 2
	s_add_u32 s4, s4, s6
	s_addc_u32 s5, s5, s7
	s_mul_i32 s17, s17, s3
	s_load_dword s6, s[4:5], 0x0
	s_mul_hi_u32 s4, s16, s3
	s_add_i32 s5, s4, s17
	s_mul_i32 s4, s16, s3
	s_lshl_b64 s[4:5], s[4:5], 2
	s_add_u32 s4, s14, s4
	s_addc_u32 s5, s15, s5
	s_load_dword s7, s[4:5], 0x0
	s_waitcnt lgkmcnt(0)
	v_cmp_eq_f32_e64 s[4:5], s6, 0
	v_cmp_eq_f32_e64 s[6:7], s7, 1.0
	s_and_b64 s[6:7], s[4:5], s[6:7]
	s_and_b64 vcc, exec, s[6:7]
	s_cbranch_vccnz .LBB71_128
; %bb.2:
	s_and_b64 vcc, exec, s[4:5]
	s_cbranch_vccnz .LBB71_128
; %bb.3:
	s_load_dword s33, s[20:21], 0x0
	s_load_dword s36, s[0:1], 0x0
	s_load_dwordx4 s[4:7], s[0:1], 0x30
	s_load_dwordx2 s[14:15], s[0:1], 0x40
	s_load_dword s35, s[0:1], 0x48
	s_mul_i32 s13, s13, s3
	s_mul_hi_u32 s16, s12, s3
	s_add_i32 s13, s16, s13
	s_mul_i32 s12, s12, s3
	s_lshl_b64 s[12:13], s[12:13], 2
	s_waitcnt lgkmcnt(0)
	s_add_u32 s12, s6, s12
	s_addc_u32 s13, s7, s13
	s_lshl_b64 s[6:7], s[14:15], 2
	s_add_u32 s6, s12, s6
	s_addc_u32 s7, s13, s7
	s_ashr_i32 s37, s36, 31
	s_lshr_b32 s13, s37, 26
	v_and_b32_e32 v18, 0x3ff, v0
	s_lshl_b32 s24, s2, 6
	s_add_i32 s13, s36, s13
	s_andn2_b32 s13, s13, 63
	v_add_u32_e32 v16, s24, v18
	v_bfe_u32 v17, v0, 10, 10
	s_add_i32 s12, s33, -1
	s_sub_i32 s34, s36, s13
	v_mul_lo_u32 v0, s35, v16
	s_cmp_eq_u32 s2, s12
	v_ashrrev_i32_e32 v1, 31, v0
	s_cselect_b32 s16, s34, 0
	v_lshl_add_u64 v[6:7], v[0:1], 2, s[6:7]
	v_cmp_eq_u32_e64 s[12:13], 0, v17
	s_and_saveexec_b64 s[6:7], s[12:13]
	s_cbranch_execz .LBB71_7
; %bb.4:
	s_cmp_eq_u32 s16, 0
	s_cselect_b64 s[14:15], -1, 0
	v_cmp_gt_i32_e32 vcc, s16, v18
	s_or_b64 s[20:21], s[14:15], vcc
	v_mov_b32_e32 v0, 0
	s_and_saveexec_b64 s[14:15], s[20:21]
	s_cbranch_execz .LBB71_6
; %bb.5:
	global_load_dword v0, v[6:7], off
.LBB71_6:
	s_or_b64 exec, exec, s[14:15]
	v_lshlrev_b32_e32 v1, 2, v18
	s_waitcnt vmcnt(0)
	ds_write_b32 v1, v0 offset:4544
.LBB71_7:
	s_or_b64 exec, exec, s[6:7]
	s_mul_i32 s5, s5, s3
	s_mul_hi_u32 s6, s4, s3
	s_add_i32 s5, s6, s5
	s_mul_i32 s4, s4, s3
	s_lshl_b64 s[4:5], s[4:5], 2
	s_add_u32 s6, s8, s4
	s_addc_u32 s7, s9, s5
	s_lshl_b64 s[4:5], s[10:11], 2
	s_load_dword s22, s[0:1], 0x28
	s_add_u32 s4, s6, s4
	s_addc_u32 s5, s7, s5
	s_ashr_i32 s25, s24, 31
	v_lshl_add_u32 v14, v17, 6, v18
	s_lshl_b64 s[0:1], s[24:25], 2
	v_and_b32_e32 v2, 31, v18
	v_lshrrev_b32_e32 v15, 5, v14
	s_add_u32 s0, s4, s0
	s_addc_u32 s1, s5, s1
	s_waitcnt lgkmcnt(0)
	v_mad_u64_u32 v[4:5], s[4:5], s22, v15, v[2:3]
	v_ashrrev_i32_e32 v5, 31, v4
	v_lshl_add_u64 v[0:1], v[4:5], 2, s[0:1]
	s_mul_i32 s0, s22, s24
	s_ashr_i32 s1, s0, 31
	s_cmp_eq_u32 s16, 0
	s_cselect_b64 s[20:21], -1, 0
	s_cmp_lg_u32 s16, 0
	s_cselect_b64 s[28:29], -1, 0
	v_lshl_add_u64 v[10:11], s[0:1], 2, v[0:1]
	s_and_b64 vcc, exec, s[28:29]
	v_cmp_gt_i32_e64 s[0:1], s16, v2
	v_lshlrev_b32_e32 v0, 2, v2
	s_cbranch_vccz .LBB71_17
; %bb.8:
	v_sub_co_u32_e32 v8, vcc, v10, v0
	s_ashr_i32 s17, s16, 31
	s_nop 0
	v_subbrev_co_u32_e32 v9, vcc, 0, v11, vcc
	v_lshl_add_u64 v[8:9], s[16:17], 2, v[8:9]
	v_lshl_add_u64 v[8:9], v[8:9], 0, -4
	v_mov_b32_e32 v3, 0
	v_cndmask_b32_e64 v9, v9, v11, s[0:1]
	v_cndmask_b32_e64 v8, v8, v10, s[0:1]
	v_cmp_gt_i32_e32 vcc, s16, v15
	v_mov_b32_e32 v12, 0
	s_and_saveexec_b64 s[4:5], vcc
	s_cbranch_execz .LBB71_10
; %bb.9:
	global_load_dword v12, v[8:9], off
.LBB71_10:
	s_or_b64 exec, exec, s[4:5]
	s_movk_i32 s4, 0x84
	v_mad_u32_u24 v13, v15, s4, v0
	s_waitcnt vmcnt(0)
	ds_write_b32 v13, v12
	v_add_u32_e32 v12, 8, v15
	v_mul_u32_u24_e32 v1, 0x84, v15
	v_cmp_gt_i32_e32 vcc, s16, v12
	s_and_saveexec_b64 s[4:5], vcc
	s_cbranch_execz .LBB71_12
; %bb.11:
	s_lshl_b32 s6, s22, 3
	s_ashr_i32 s7, s6, 31
	v_lshl_add_u64 v[12:13], s[6:7], 2, v[8:9]
	global_load_dword v3, v[12:13], off
.LBB71_12:
	s_or_b64 exec, exec, s[4:5]
	v_add_u32_e32 v1, v1, v0
	s_waitcnt vmcnt(0)
	ds_write_b32 v1, v3 offset:1056
	v_add_u32_e32 v3, 16, v15
	v_cmp_gt_i32_e32 vcc, s16, v3
	v_mov_b32_e32 v3, 0
	v_mov_b32_e32 v12, 0
	s_and_saveexec_b64 s[4:5], vcc
	s_cbranch_execz .LBB71_14
; %bb.13:
	s_lshl_b32 s6, s22, 4
	s_ashr_i32 s7, s6, 31
	v_lshl_add_u64 v[12:13], s[6:7], 2, v[8:9]
	global_load_dword v12, v[12:13], off
.LBB71_14:
	s_or_b64 exec, exec, s[4:5]
	s_waitcnt vmcnt(0)
	ds_write_b32 v1, v12 offset:2112
	v_add_u32_e32 v12, 24, v15
	v_cmp_gt_i32_e32 vcc, s16, v12
	s_and_saveexec_b64 s[4:5], vcc
	s_cbranch_execz .LBB71_16
; %bb.15:
	s_mul_i32 s6, s22, 24
	s_ashr_i32 s7, s6, 31
	v_lshl_add_u64 v[12:13], s[6:7], 2, v[8:9]
	global_load_dword v3, v[12:13], off
.LBB71_16:
	s_or_b64 exec, exec, s[4:5]
	s_waitcnt vmcnt(0)
	ds_write_b32 v1, v3 offset:3168
	v_mov_b32_e32 v1, 0
	v_lshl_add_u64 v[8:9], v[8:9], 0, v[0:1]
	s_lshl_b64 s[4:5], s[16:17], 2
	v_mov_b32_e32 v1, s5
	v_subrev_co_u32_e32 v8, vcc, s4, v8
	s_nop 1
	v_subb_co_u32_e32 v9, vcc, v9, v1, vcc
	v_lshl_add_u64 v[8:9], v[8:9], 0, 4
	v_cndmask_b32_e64 v9, v9, v11, s[0:1]
	v_cndmask_b32_e64 v8, v8, v10, s[0:1]
	s_branch .LBB71_19
.LBB71_17:
                                        ; implicit-def: $vgpr8_vgpr9
	s_cbranch_execz .LBB71_19
; %bb.18:
	s_lshl_b32 s0, s22, 3
	s_ashr_i32 s1, s0, 31
	s_ashr_i32 s23, s22, 31
	v_lshl_add_u64 v[8:9], s[0:1], 2, v[10:11]
	s_lshl_b64 s[0:1], s[22:23], 5
	v_lshl_add_u64 v[12:13], v[8:9], 0, s[0:1]
	v_lshl_add_u64 v[20:21], v[12:13], 0, s[0:1]
	global_load_dword v1, v[10:11], off
	global_load_dword v3, v[8:9], off
	;; [unrolled: 1-line block ×4, first 2 shown]
	v_mul_u32_u24_e32 v8, 0x84, v15
	v_lshl_add_u32 v8, v2, 2, v8
	s_waitcnt vmcnt(3)
	ds_write_b32 v8, v1
	s_waitcnt vmcnt(2)
	ds_write_b32 v8, v3 offset:1056
	s_waitcnt vmcnt(1)
	ds_write_b32 v8, v19 offset:2112
	;; [unrolled: 2-line block ×3, first 2 shown]
	v_mov_b64_e32 v[8:9], v[10:11]
.LBB71_19:
	v_lshlrev_b32_e32 v20, 2, v15
	v_lshl_or_b32 v1, v2, 7, v0
	v_cmp_gt_u32_e64 s[4:5], v20, v2
	v_lshl_add_u32 v10, v20, 2, v1
	s_waitcnt lgkmcnt(0)
	s_barrier
	s_and_saveexec_b64 s[0:1], s[4:5]
	s_cbranch_execz .LBB71_21
; %bb.20:
	s_movk_i32 s6, 0x210
	v_mad_u32_u24 v3, v15, s6, v0
	ds_read_b32 v3, v3
	s_waitcnt lgkmcnt(0)
	ds_write_b32 v10, v3
.LBB71_21:
	s_or_b64 exec, exec, s[0:1]
	v_or_b32_e32 v3, 1, v20
	v_cmp_ge_u32_e64 s[6:7], v20, v2
	s_and_saveexec_b64 s[0:1], s[6:7]
	s_cbranch_execz .LBB71_23
; %bb.22:
	s_movk_i32 s8, 0x84
	v_mad_u32_u24 v11, v3, s8, v0
	ds_read_b32 v11, v11
	s_waitcnt lgkmcnt(0)
	ds_write_b32 v10, v11 offset:4
.LBB71_23:
	s_or_b64 exec, exec, s[0:1]
	v_or_b32_e32 v11, 2, v20
	v_cmp_gt_u32_e64 s[8:9], v11, v2
	s_and_saveexec_b64 s[0:1], s[8:9]
	s_cbranch_execz .LBB71_25
; %bb.24:
	s_movk_i32 s10, 0x84
	v_mad_u32_u24 v11, v11, s10, v0
	ds_read_b32 v11, v11
	s_waitcnt lgkmcnt(0)
	ds_write_b32 v10, v11 offset:8
.LBB71_25:
	s_or_b64 exec, exec, s[0:1]
	v_or_b32_e32 v12, 3, v20
	v_cmp_gt_u32_e64 s[10:11], v12, v2
	v_cmp_le_u32_e32 vcc, v12, v2
                                        ; implicit-def: $vgpr11
	s_and_saveexec_b64 s[0:1], vcc
	s_xor_b64 s[0:1], exec, s[0:1]
; %bb.26:
	v_mul_u32_u24_e32 v11, 0x84, v12
                                        ; implicit-def: $vgpr12
                                        ; implicit-def: $vgpr10
; %bb.27:
	s_andn2_saveexec_b64 s[0:1], s[0:1]
	s_cbranch_execz .LBB71_29
; %bb.28:
	s_movk_i32 s14, 0x84
	v_mad_u32_u24 v11, v12, s14, v0
	ds_read_b32 v13, v11
	v_mul_u32_u24_e32 v11, 0x84, v12
	s_waitcnt lgkmcnt(0)
	ds_write_b32 v10, v13 offset:12
.LBB71_29:
	s_or_b64 exec, exec, s[0:1]
	s_movk_i32 s0, 0x210
	v_mad_u32_u24 v10, v15, s0, v0
	s_movk_i32 s0, 0x84
	v_mad_u32_u24 v12, v3, s0, v0
	s_waitcnt lgkmcnt(0)
	s_barrier
	ds_read2_b32 v[24:25], v12 offset1:33
	v_lshlrev_b32_e32 v26, 2, v20
	ds_read_b32 v12, v10
	ds_read_b128 v[28:31], v26 offset:4544
	v_add_u32_e32 v23, v0, v11
	ds_read_b32 v11, v23
	s_waitcnt lgkmcnt(3)
	v_mov_b32_e32 v13, v24
	v_mov_b32_e32 v19, 0
	s_waitcnt lgkmcnt(1)
	v_pk_mul_f32 v[12:13], v[12:13], v[28:29]
	v_cmp_gt_u32_e64 s[0:1], 32, v14
	v_add_f32_e32 v10, 0, v12
	v_add_f32_e32 v12, v10, v13
	v_mov_b32_e32 v10, v25
	s_waitcnt lgkmcnt(0)
	v_pk_mul_f32 v[10:11], v[10:11], v[30:31]
	s_nop 0
	v_add_f32_e32 v10, v12, v10
	v_add_f32_e32 v10, v10, v11
	v_mul_u32_u24_e32 v11, 33, v2
	v_lshlrev_b32_e32 v21, 2, v11
	v_lshl_add_u32 v22, v15, 2, v21
	s_barrier
	ds_write_b32 v22, v10
	s_waitcnt lgkmcnt(0)
	s_barrier
	s_and_saveexec_b64 s[14:15], s[0:1]
	s_cbranch_execz .LBB71_31
; %bb.30:
	ds_read2_b32 v[10:11], v1 offset1:1
	ds_read2_b32 v[12:13], v1 offset0:2 offset1:3
	ds_read2_b32 v[24:25], v1 offset0:4 offset1:5
	ds_read2_b32 v[28:29], v1 offset0:6 offset1:7
	s_waitcnt lgkmcnt(3)
	v_add_f32_e32 v1, v10, v11
	s_waitcnt lgkmcnt(2)
	v_add_f32_e32 v1, v1, v12
	v_add_f32_e32 v1, v1, v13
	s_waitcnt lgkmcnt(1)
	v_add_f32_e32 v1, v1, v24
	;; [unrolled: 3-line block ×3, first 2 shown]
	v_add_f32_e32 v19, v1, v29
.LBB71_31:
	s_or_b64 exec, exec, s[14:15]
	s_lshl_b32 s26, s22, 5
	s_ashr_i32 s27, s26, 31
	v_lshl_add_u64 v[12:13], s[26:27], 2, v[8:9]
	s_mov_b64 s[14:15], 0x80
	v_lshl_add_u64 v[8:9], v[12:13], 0, s[14:15]
	s_and_b64 vcc, exec, s[28:29]
	s_barrier
	s_cbranch_vccz .LBB71_41
; %bb.32:
	v_sub_co_u32_e32 v10, vcc, v12, v0
	s_ashr_i32 s17, s16, 31
	s_nop 0
	v_subbrev_co_u32_e32 v11, vcc, 0, v13, vcc
	v_or_b32_e32 v1, 32, v2
	v_lshl_add_u64 v[10:11], s[16:17], 2, v[10:11]
	v_lshl_add_u64 v[10:11], v[10:11], 0, -4
	v_cmp_gt_i32_e32 vcc, s16, v1
	s_sub_i32 s23, s16, 32
	v_mov_b32_e32 v24, 0
	v_cndmask_b32_e32 v11, v11, v9, vcc
	v_cndmask_b32_e32 v10, v10, v8, vcc
	v_cmp_gt_i32_e64 s[14:15], s23, v15
	v_mov_b32_e32 v25, 0
	s_and_saveexec_b64 s[30:31], s[14:15]
	s_cbranch_execz .LBB71_34
; %bb.33:
	global_load_dword v25, v[10:11], off
.LBB71_34:
	s_or_b64 exec, exec, s[30:31]
	s_movk_i32 s14, 0x84
	v_mad_u32_u24 v27, v15, s14, v0
	s_waitcnt vmcnt(0)
	ds_write_b32 v27, v25
	v_add_u32_e32 v25, 8, v15
	v_mul_u32_u24_e32 v1, 0x84, v15
	v_cmp_gt_i32_e64 s[14:15], s23, v25
	s_and_saveexec_b64 s[30:31], s[14:15]
	s_cbranch_execz .LBB71_36
; %bb.35:
	s_lshl_b32 s14, s22, 3
	s_ashr_i32 s15, s14, 31
	v_lshl_add_u64 v[24:25], s[14:15], 2, v[10:11]
	global_load_dword v24, v[24:25], off
.LBB71_36:
	s_or_b64 exec, exec, s[30:31]
	v_add_u32_e32 v1, v1, v0
	s_waitcnt vmcnt(0)
	ds_write_b32 v1, v24 offset:1056
	v_add_u32_e32 v24, 16, v15
	v_cmp_gt_i32_e64 s[14:15], s23, v24
	v_mov_b32_e32 v24, 0
	v_mov_b32_e32 v25, 0
	s_and_saveexec_b64 s[30:31], s[14:15]
	s_cbranch_execz .LBB71_38
; %bb.37:
	s_lshl_b32 s14, s22, 4
	s_ashr_i32 s15, s14, 31
	v_lshl_add_u64 v[28:29], s[14:15], 2, v[10:11]
	global_load_dword v25, v[28:29], off
.LBB71_38:
	s_or_b64 exec, exec, s[30:31]
	s_waitcnt vmcnt(0)
	ds_write_b32 v1, v25 offset:2112
	v_add_u32_e32 v25, 24, v15
	v_cmp_gt_i32_e64 s[14:15], s23, v25
	s_and_saveexec_b64 s[30:31], s[14:15]
	s_cbranch_execz .LBB71_40
; %bb.39:
	s_mul_i32 s14, s22, 24
	s_ashr_i32 s15, s14, 31
	v_lshl_add_u64 v[24:25], s[14:15], 2, v[10:11]
	global_load_dword v24, v[24:25], off
.LBB71_40:
	s_or_b64 exec, exec, s[30:31]
	s_waitcnt vmcnt(0)
	ds_write_b32 v1, v24 offset:3168
	v_mov_b32_e32 v1, 0
	v_lshl_add_u64 v[10:11], v[10:11], 0, v[0:1]
	s_lshl_b64 s[14:15], s[16:17], 2
	v_mov_b32_e32 v1, s15
	v_subrev_co_u32_e64 v10, s[14:15], s14, v10
	s_nop 1
	v_subb_co_u32_e64 v11, s[14:15], v11, v1, s[14:15]
	s_mov_b64 s[14:15], 0x84
	s_nop 0
	v_lshl_add_u64 v[10:11], v[10:11], 0, s[14:15]
	v_cndmask_b32_e32 v11, v11, v9, vcc
	v_cndmask_b32_e32 v10, v10, v8, vcc
	v_mul_u32_u24_e32 v1, 0x210, v15
	s_branch .LBB71_43
.LBB71_41:
                                        ; implicit-def: $vgpr10_vgpr11
	v_mul_u32_u24_e32 v1, 0x210, v15
	s_cbranch_execz .LBB71_43
; %bb.42:
	s_lshl_b32 s14, s22, 3
	s_ashr_i32 s15, s14, 31
	s_ashr_i32 s23, s22, 31
	v_lshl_add_u64 v[10:11], s[14:15], 2, v[12:13]
	s_lshl_b64 s[14:15], s[22:23], 5
	v_lshl_add_u64 v[24:25], v[10:11], 0, s[14:15]
	v_lshl_add_u64 v[28:29], v[24:25], 0, s[14:15]
	global_load_dword v27, v[12:13], off offset:128
	global_load_dword v30, v[10:11], off offset:128
	;; [unrolled: 1-line block ×4, first 2 shown]
	s_movk_i32 s14, 0x84
	v_mad_u32_u24 v10, v15, s14, v0
	s_waitcnt vmcnt(3)
	ds_write_b32 v10, v27
	s_waitcnt vmcnt(2)
	ds_write_b32 v10, v30 offset:1056
	s_waitcnt vmcnt(1)
	ds_write_b32 v10, v31 offset:2112
	;; [unrolled: 2-line block ×3, first 2 shown]
	v_mov_b64_e32 v[10:11], v[8:9]
.LBB71_43:
	v_mul_u32_u24_e32 v3, 0x84, v3
	v_add_u32_e32 v24, v0, v1
	v_lshl_add_u32 v1, v20, 2, v21
	s_waitcnt lgkmcnt(0)
	s_barrier
	s_and_saveexec_b64 s[14:15], s[4:5]
	s_cbranch_execnz .LBB71_60
; %bb.44:
	s_or_b64 exec, exec, s[14:15]
	v_add_u32_e32 v25, v0, v3
	s_and_saveexec_b64 s[4:5], s[6:7]
	s_cbranch_execnz .LBB71_61
.LBB71_45:
	s_or_b64 exec, exec, s[4:5]
	s_and_saveexec_b64 s[4:5], s[8:9]
	s_cbranch_execnz .LBB71_62
.LBB71_46:
	s_or_b64 exec, exec, s[4:5]
	v_add_u32_e32 v26, 0x11c0, v26
	s_and_saveexec_b64 s[4:5], s[10:11]
	s_cbranch_execz .LBB71_48
.LBB71_47:
	ds_read_b32 v3, v23
	s_waitcnt lgkmcnt(0)
	ds_write_b32 v1, v3 offset:12
.LBB71_48:
	s_or_b64 exec, exec, s[4:5]
	s_waitcnt lgkmcnt(0)
	s_barrier
	ds_read2_b32 v[32:33], v25 offset1:33
	ds_read_b32 v8, v24
	ds_read_b128 v[28:31], v26 offset:128
	ds_read_b32 v13, v23
	v_cmp_eq_u32_e64 s[4:5], 1, v15
	s_waitcnt lgkmcnt(3)
	v_mov_b32_e32 v9, v32
	v_mov_b32_e32 v12, v33
	s_waitcnt lgkmcnt(1)
	v_pk_mul_f32 v[8:9], v[8:9], v[28:29]
	s_waitcnt lgkmcnt(0)
	v_add_f32_e32 v1, 0, v8
	v_add_f32_e32 v1, v1, v9
	v_pk_mul_f32 v[8:9], v[12:13], v[30:31]
	s_barrier
	v_add_f32_e32 v1, v1, v8
	v_add_f32_e32 v1, v1, v9
	ds_write_b32 v22, v1
	s_waitcnt lgkmcnt(0)
	s_barrier
	s_and_saveexec_b64 s[6:7], s[4:5]
	s_cbranch_execz .LBB71_50
; %bb.49:
	ds_read2_b32 v[8:9], v21 offset1:1
	ds_read2_b32 v[12:13], v21 offset0:2 offset1:3
	ds_read2_b32 v[28:29], v21 offset0:4 offset1:5
	;; [unrolled: 1-line block ×3, first 2 shown]
	s_waitcnt lgkmcnt(3)
	v_add_f32_e32 v1, v8, v9
	s_waitcnt lgkmcnt(2)
	v_add_f32_e32 v1, v1, v12
	v_add_f32_e32 v1, v1, v13
	s_waitcnt lgkmcnt(1)
	v_add_f32_e32 v1, v1, v28
	;; [unrolled: 3-line block ×3, first 2 shown]
	v_add_f32_e32 v19, v1, v31
.LBB71_50:
	s_or_b64 exec, exec, s[6:7]
	s_movk_i32 s6, 0xff80
	s_mov_b32 s7, -1
	v_lshl_add_u64 v[12:13], v[10:11], 0, s[6:7]
	s_and_b64 vcc, exec, s[28:29]
	s_barrier
	s_cbranch_vccz .LBB71_63
; %bb.51:
	v_sub_co_u32_e32 v28, vcc, v10, v0
	s_ashr_i32 s17, s16, 31
	s_nop 0
	v_subbrev_co_u32_e32 v29, vcc, 0, v11, vcc
	s_movk_i32 s6, 0xff7c
	v_lshl_add_u64 v[28:29], s[16:17], 2, v[28:29]
	s_mov_b32 s7, -1
	v_lshl_add_u64 v[28:29], v[28:29], 0, s[6:7]
	v_cmp_gt_i32_e32 vcc, s16, v2
	s_sub_i32 s10, s16, 32
	v_mov_b32_e32 v8, 0
	v_cndmask_b32_e32 v3, v29, v13, vcc
	v_cndmask_b32_e32 v2, v28, v12, vcc
	v_cmp_gt_i32_e64 s[6:7], s10, v15
	v_mov_b32_e32 v9, 0
	s_and_saveexec_b64 s[8:9], s[6:7]
	s_cbranch_execz .LBB71_53
; %bb.52:
	global_load_dword v9, v[2:3], off
.LBB71_53:
	s_or_b64 exec, exec, s[8:9]
	s_movk_i32 s6, 0x84
	v_mad_u32_u24 v27, v15, s6, v0
	s_waitcnt vmcnt(0)
	ds_write_b32 v27, v9
	v_add_u32_e32 v27, 8, v15
	v_mul_u32_u24_e32 v1, 0x84, v15
	v_cmp_gt_i32_e64 s[6:7], s10, v27
	s_and_saveexec_b64 s[8:9], s[6:7]
	s_cbranch_execz .LBB71_55
; %bb.54:
	s_lshl_b32 s6, s22, 3
	s_ashr_i32 s7, s6, 31
	v_lshl_add_u64 v[8:9], s[6:7], 2, v[2:3]
	global_load_dword v8, v[8:9], off
.LBB71_55:
	s_or_b64 exec, exec, s[8:9]
	v_add_u32_e32 v1, v1, v0
	v_add_u32_e32 v28, 16, v15
	s_waitcnt vmcnt(0)
	ds_write_b32 v1, v8 offset:1056
	v_cmp_gt_i32_e64 s[6:7], s10, v28
	v_mov_b32_e32 v8, 0
	v_mov_b32_e32 v9, 0
	s_and_saveexec_b64 s[8:9], s[6:7]
	s_cbranch_execz .LBB71_57
; %bb.56:
	s_lshl_b32 s6, s22, 4
	s_ashr_i32 s7, s6, 31
	v_lshl_add_u64 v[30:31], s[6:7], 2, v[2:3]
	global_load_dword v9, v[30:31], off
.LBB71_57:
	s_or_b64 exec, exec, s[8:9]
	v_add_u32_e32 v29, 24, v15
	v_cmp_gt_i32_e64 s[6:7], s10, v29
	s_waitcnt vmcnt(0)
	ds_write_b32 v1, v9 offset:2112
	s_and_saveexec_b64 s[8:9], s[6:7]
	s_cbranch_execz .LBB71_59
; %bb.58:
	s_mul_i32 s6, s22, 24
	s_ashr_i32 s7, s6, 31
	v_lshl_add_u64 v[8:9], s[6:7], 2, v[2:3]
	global_load_dword v8, v[8:9], off
.LBB71_59:
	s_or_b64 exec, exec, s[8:9]
	s_waitcnt vmcnt(0)
	ds_write_b32 v1, v8 offset:3168
	v_mov_b32_e32 v1, 0
	v_lshl_add_u64 v[2:3], v[2:3], 0, v[0:1]
	s_lshl_b64 s[6:7], s[16:17], 2
	v_mov_b32_e32 v1, s7
	v_subrev_co_u32_e64 v2, s[6:7], s6, v2
	s_nop 1
	v_subb_co_u32_e64 v3, s[6:7], v3, v1, s[6:7]
	v_lshl_add_u64 v[2:3], v[2:3], 0, 4
	v_cndmask_b32_e32 v9, v3, v13, vcc
	v_cndmask_b32_e32 v8, v2, v12, vcc
	s_branch .LBB71_65
.LBB71_60:
	ds_read_b32 v8, v24
	s_waitcnt lgkmcnt(0)
	ds_write_b32 v1, v8
	s_or_b64 exec, exec, s[14:15]
	v_add_u32_e32 v25, v0, v3
	s_and_saveexec_b64 s[4:5], s[6:7]
	s_cbranch_execz .LBB71_45
.LBB71_61:
	ds_read_b32 v3, v25
	s_waitcnt lgkmcnt(0)
	ds_write_b32 v1, v3 offset:4
	s_or_b64 exec, exec, s[4:5]
	s_and_saveexec_b64 s[4:5], s[8:9]
	s_cbranch_execz .LBB71_46
.LBB71_62:
	ds_read_b32 v3, v25 offset:132
	s_waitcnt lgkmcnt(0)
	ds_write_b32 v1, v3 offset:8
	s_or_b64 exec, exec, s[4:5]
	v_add_u32_e32 v26, 0x11c0, v26
	s_and_saveexec_b64 s[4:5], s[10:11]
	s_cbranch_execnz .LBB71_47
	s_branch .LBB71_48
.LBB71_63:
                                        ; implicit-def: $vgpr8_vgpr9
                                        ; implicit-def: $vgpr27
                                        ; implicit-def: $vgpr28
                                        ; implicit-def: $vgpr29
	s_cbranch_execz .LBB71_65
; %bb.64:
	s_lshl_b32 s6, s22, 3
	s_ashr_i32 s7, s6, 31
	s_ashr_i32 s23, s22, 31
	v_lshl_add_u64 v[2:3], s[6:7], 2, v[10:11]
	s_lshl_b64 s[6:7], s[22:23], 5
	v_lshl_add_u64 v[8:9], v[2:3], 0, s[6:7]
	v_lshl_add_u64 v[28:29], v[8:9], 0, s[6:7]
	global_load_dword v1, v[10:11], off offset:-128
	global_load_dword v30, v[2:3], off offset:-128
	;; [unrolled: 1-line block ×4, first 2 shown]
	s_movk_i32 s6, 0x84
	v_add_u32_e32 v27, 8, v15
	v_add_u32_e32 v28, 16, v15
	;; [unrolled: 1-line block ×3, first 2 shown]
	v_mad_u32_u24 v0, v15, s6, v0
	v_mov_b64_e32 v[8:9], v[12:13]
	s_waitcnt vmcnt(3)
	ds_write_b32 v0, v1
	s_waitcnt vmcnt(2)
	ds_write_b32 v0, v30 offset:1056
	s_waitcnt vmcnt(1)
	ds_write_b32 v0, v31 offset:2112
	;; [unrolled: 2-line block ×3, first 2 shown]
.LBB71_65:
	v_add_u32_e32 v0, v21, v20
	s_waitcnt lgkmcnt(0)
	s_barrier
	ds_read_b32 v10, v0
	ds_read_b32 v30, v20 offset:4544
	v_lshlrev_b32_e32 v0, 2, v27
	v_lshlrev_b32_e32 v2, 2, v28
	v_add_u32_e32 v1, v21, v0
	v_add_u32_e32 v3, v21, v2
	v_lshlrev_b32_e32 v13, 2, v29
	v_add_u32_e32 v15, v21, v13
	ds_read_b32 v11, v1
	ds_read_b32 v28, v3
	;; [unrolled: 1-line block ×3, first 2 shown]
	ds_read_b32 v33, v13 offset:4544
	ds_read_b32 v32, v2 offset:4544
	ds_read_b32 v31, v0 offset:4544
	ds_read_b32 v29, v15
	ds_read_b128 v[0:3], v26 offset:128
	ds_read_b32 v13, v23
	s_waitcnt lgkmcnt(3)
	v_pk_mul_f32 v[26:27], v[10:11], v[30:31]
	ds_read2_b32 v[10:11], v25 offset1:33
	v_add_f32_e32 v15, 0, v26
	s_waitcnt lgkmcnt(3)
	v_pk_mul_f32 v[28:29], v[28:29], v[32:33]
	v_add_f32_e32 v15, v15, v27
	v_add_f32_e32 v15, v15, v28
	;; [unrolled: 1-line block ×3, first 2 shown]
	s_waitcnt lgkmcnt(0)
	s_barrier
	ds_write_b32 v22, v15
	s_waitcnt lgkmcnt(0)
	s_barrier
	s_and_saveexec_b64 s[6:7], s[4:5]
	s_cbranch_execz .LBB71_67
; %bb.66:
	ds_read2_b32 v[24:25], v21 offset1:1
	ds_read2_b32 v[26:27], v21 offset0:2 offset1:3
	ds_read2_b32 v[28:29], v21 offset0:4 offset1:5
	;; [unrolled: 1-line block ×3, first 2 shown]
	s_waitcnt lgkmcnt(3)
	v_add_f32_e32 v15, v19, v24
	v_add_f32_e32 v15, v15, v25
	s_waitcnt lgkmcnt(2)
	v_add_f32_e32 v15, v15, v26
	v_add_f32_e32 v15, v15, v27
	;; [unrolled: 3-line block ×4, first 2 shown]
.LBB71_67:
	s_or_b64 exec, exec, s[6:7]
	v_fma_f32 v0, v12, v0, 0
	v_fmac_f32_e32 v0, v10, v1
	v_fmac_f32_e32 v0, v11, v2
	;; [unrolled: 1-line block ×3, first 2 shown]
	s_barrier
	ds_write_b32 v22, v0
	s_waitcnt lgkmcnt(0)
	s_barrier
	s_and_saveexec_b64 s[4:5], s[0:1]
	s_cbranch_execz .LBB71_69
; %bb.68:
	ds_read2_b32 v[0:1], v21 offset1:1
	ds_read2_b32 v[2:3], v21 offset0:2 offset1:3
	ds_read2_b32 v[10:11], v21 offset0:4 offset1:5
	;; [unrolled: 1-line block ×3, first 2 shown]
	s_waitcnt lgkmcnt(3)
	v_add_f32_e32 v0, v19, v0
	v_add_f32_e32 v0, v0, v1
	s_waitcnt lgkmcnt(2)
	v_add_f32_e32 v0, v0, v2
	v_add_f32_e32 v0, v0, v3
	s_waitcnt lgkmcnt(1)
	v_add_f32_e32 v0, v0, v10
	v_add_f32_e32 v0, v0, v11
	s_waitcnt lgkmcnt(0)
	v_add_f32_e32 v0, v0, v12
	v_add_f32_e32 v19, v0, v13
.LBB71_69:
	s_or_b64 exec, exec, s[4:5]
	s_mul_hi_u32 s0, s36, s3
	s_mul_i32 s37, s37, s3
	s_add_i32 s0, s0, s37
	s_mul_i32 s3, s36, s3
	s_mul_i32 s0, s0, s33
	s_mul_hi_u32 s1, s3, s33
	s_add_i32 s1, s1, s0
	s_mul_i32 s0, s3, s33
	s_lshl_b64 s[0:1], s[0:1], 2
	s_add_u32 s3, s18, s0
	s_addc_u32 s4, s19, s1
	s_mul_hi_i32 s1, s36, s2
	s_mul_i32 s0, s36, s2
	s_lshl_b64 s[0:1], s[0:1], 2
	s_add_u32 s6, s3, s0
	s_addc_u32 s7, s4, s1
	s_add_i32 s8, s2, 1
	s_cmp_ge_u32 s8, s33
	v_lshlrev_b32_e32 v86, 2, v18
	s_barrier
	s_cbranch_scc1 .LBB71_126
; %bb.70:
	s_mul_i32 s0, s35, s24
	v_mov_b32_e32 v3, 0x10c0
	s_ashr_i32 s1, s0, 31
	v_lshl_add_u32 v88, v17, 4, v3
	v_lshrrev_b32_e32 v3, 2, v14
	s_lshl_b64 s[0:1], s[0:1], 2
	v_and_b32_e32 v2, 15, v18
	s_movk_i32 s10, 0x10c
	v_and_b32_e32 v3, 0x7ffc, v3
	v_lshlrev_b32_e32 v87, 2, v17
	v_mov_b32_e32 v0, s1
	v_subrev_co_u32_e32 v20, vcc, s0, v6
	v_mad_u32_u24 v89, v2, s10, v3
	v_and_b32_e32 v3, 48, v18
	v_subb_co_u32_e32 v21, vcc, v7, v0, vcc
	v_mad_u64_u32 v[0:1], s[0:1], s22, v87, v[18:19]
	v_lshlrev_b32_e32 v3, 2, v3
	v_ashrrev_i32_e32 v1, 31, v0
	v_mad_u32_u24 v90, v2, s10, v3
	v_or_b32_e32 v3, 60, v86
	v_mul_u32_u24_e32 v10, 0x10c, v2
	s_lshl_b32 s4, s22, 4
	v_mad_u32_u24 v91, v2, s10, v3
	v_lshlrev_b64 v[2:3], 2, v[0:1]
	s_lshl_b32 s17, s35, 6
	s_ashr_i32 s5, s4, 31
	s_ashr_i32 s23, s22, 31
	s_lshl_b32 s24, s22, 1
	s_mul_i32 s30, s22, 3
	s_mul_i32 s35, s35, s8
	v_mad_i64_i32 v[26:27], s[28:29], v4, -4, v[2:3]
	s_lshl_b64 s[14:15], s[26:27], 2
	s_add_i32 s3, s33, -2
	s_ashr_i32 s25, s24, 31
	s_ashr_i32 s31, s30, 31
	s_lshl_b64 s[18:19], s[22:23], 2
	s_lshl_b32 s8, s35, 6
	s_lshl_b64 s[10:11], s[4:5], 4
	s_lshl_b64 s[28:29], s[22:23], 3
	v_lshl_add_u64 v[2:3], s[26:27], 0, v[0:1]
	s_add_u32 s36, s28, s14
	v_lshlrev_b64 v[2:3], 2, v[2:3]
	v_lshlrev_b64 v[6:7], 2, v[4:5]
	s_addc_u32 s37, s29, s15
	v_mad_i64_i32 v[4:5], s[38:39], s22, 12, v[2:3]
	s_add_u32 s38, s18, s14
	s_addc_u32 s39, s19, s15
	s_lshl_b64 s[24:25], s[24:25], 2
	s_add_u32 s40, s14, s24
	s_addc_u32 s41, s15, s25
	s_lshl_b64 s[30:31], s[30:31], 2
	v_lshl_add_u64 v[34:35], v[8:9], 0, s[40:41]
	s_add_u32 s40, s14, s30
	s_addc_u32 s41, s15, s31
	v_lshl_add_u64 v[36:37], v[8:9], 0, s[40:41]
	s_lshl_b64 s[40:41], s[4:5], 2
	s_add_u32 s42, s14, s40
	s_addc_u32 s43, s15, s41
	v_lshl_add_u64 v[32:33], v[8:9], 0, s[38:39]
	s_add_u32 s38, s38, s40
	s_addc_u32 s39, s39, s41
	v_lshl_add_u64 v[40:41], v[8:9], 0, s[38:39]
	;; [unrolled: 3-line block ×4, first 2 shown]
	s_add_u32 s38, s36, s40
	s_addc_u32 s39, s37, s41
	s_add_u32 s26, s26, s4
	s_addc_u32 s27, s27, s5
	v_lshl_add_u64 v[0:1], s[26:27], 0, v[0:1]
	v_lshlrev_b64 v[0:1], 2, v[0:1]
	v_mad_i64_i32 v[0:1], s[26:27], s22, 12, v[0:1]
	s_lshl_b64 s[26:27], s[4:5], 3
	v_lshl_add_u64 v[22:23], v[8:9], 0, s[14:15]
	s_add_u32 s14, s26, s14
	s_addc_u32 s15, s27, s15
	v_lshl_add_u64 v[46:47], v[8:9], 0, s[38:39]
	s_add_u32 s38, s14, s18
	s_addc_u32 s39, s15, s19
	s_add_u32 s40, s14, s24
	s_addc_u32 s41, s15, s25
	v_lshl_add_u64 v[50:51], v[8:9], 0, s[14:15]
	s_add_u32 s14, s14, s30
	s_addc_u32 s15, s15, s31
	v_lshl_add_u64 v[28:29], v[8:9], 0, s[36:37]
	s_add_u32 s36, s36, s26
	s_mul_i32 s44, s22, 12
	s_addc_u32 s37, s37, s27
	s_mul_hi_i32 s35, s22, 12
	s_add_u32 s26, s44, s26
	s_addc_u32 s27, s35, s27
	v_lshl_add_u64 v[48:49], v[8:9], 0, v[0:1]
	v_lshl_add_u64 v[0:1], s[26:27], 0, v[2:3]
	;; [unrolled: 1-line block ×3, first 2 shown]
	s_mul_i32 s35, s22, 0xc0
	v_mad_i64_i32 v[0:1], s[26:27], s4, 12, v[2:3]
	v_lshl_add_u64 v[38:39], v[8:9], 0, s[42:43]
	s_mul_hi_i32 s42, s4, 12
	s_add_u32 s26, s35, s28
	s_addc_u32 s27, s42, s29
	s_add_u32 s4, s22, s4
	v_lshl_add_u64 v[30:31], v[8:9], 0, v[4:5]
	s_addc_u32 s22, s23, s5
	v_mad_u64_u32 v[4:5], s[4:5], s4, 12, v[2:3]
	v_sub_co_u32_e32 v24, vcc, 0, v6
	v_mov_b32_e32 v6, v5
	s_nop 0
	v_subb_co_u32_e32 v25, vcc, 0, v7, vcc
	v_mad_u64_u32 v[6:7], s[4:5], s22, 12, v[6:7]
	v_mov_b32_e32 v5, v6
	v_lshl_add_u64 v[6:7], v[0:1], 0, s[18:19]
	v_lshl_add_u64 v[54:55], v[8:9], 0, v[0:1]
	;; [unrolled: 1-line block ×5, first 2 shown]
	s_movk_i32 s9, 0x430
	v_and_b32_e32 v11, 0x1fff0, v14
	v_lshl_add_u64 v[60:61], v[8:9], 0, v[0:1]
	v_lshl_add_u64 v[0:1], s[26:27], 0, v[2:3]
	v_cmp_gt_u32_e64 s[0:1], 64, v14
	v_add_u32_e32 v92, v10, v11
	v_lshl_add_u64 v[58:59], v[8:9], 0, v[6:7]
	v_lshl_add_u64 v[62:63], v[8:9], 0, v[0:1]
	;; [unrolled: 1-line block ×7, first 2 shown]
	v_add_u32_e32 v93, 0x10c0, v86
	v_add_u32_e32 v94, 0x11c0, v86
	v_mad_u32_u24 v95, v17, s9, v86
	v_or_b32_e32 v96, 1, v87
	v_or_b32_e32 v97, 2, v87
	;; [unrolled: 1-line block ×3, first 2 shown]
	v_add_u32_e32 v99, 16, v87
	v_add_u32_e32 v100, 17, v87
	;; [unrolled: 1-line block ×13, first 2 shown]
	s_cmp_eq_u32 s3, s2
	s_cselect_b32 s22, s34, 0
	s_and_saveexec_b64 s[4:5], s[12:13]
	s_cbranch_execz .LBB71_74
.LBB71_71:
	s_cmp_eq_u32 s22, 0
	s_cselect_b64 s[14:15], -1, 0
	v_cmp_gt_i32_e32 vcc, s22, v18
	s_or_b64 s[18:19], s[14:15], vcc
	v_mov_b32_e32 v0, 0
	s_and_saveexec_b64 s[14:15], s[18:19]
	s_cbranch_execz .LBB71_73
; %bb.72:
	s_ashr_i32 s9, s8, 31
	v_lshl_add_u64 v[0:1], s[8:9], 2, v[20:21]
	global_load_dword v0, v[0:1], off
.LBB71_73:
	s_or_b64 exec, exec, s[14:15]
	s_waitcnt vmcnt(0)
	ds_write_b32 v93, v0
.LBB71_74:                              ; =>This Inner Loop Header: Depth=1
	s_or_b64 exec, exec, s[4:5]
	s_cmp_eq_u32 s22, 0
	s_cselect_b64 s[14:15], -1, 0
	s_cmp_lg_u32 s22, 0
	s_cselect_b64 s[18:19], -1, 0
	v_lshl_add_u64 v[0:1], v[22:23], 0, v[26:27]
	s_mov_b64 s[4:5], -1
	s_and_b64 vcc, exec, s[18:19]
	s_waitcnt lgkmcnt(0)
	s_barrier
                                        ; implicit-def: $vgpr113
                                        ; implicit-def: $vgpr114
                                        ; implicit-def: $vgpr111
                                        ; implicit-def: $vgpr112
	s_cbranch_vccz .LBB71_84
; %bb.75:                               ;   in Loop: Header=BB71_74 Depth=1
	v_cmp_gt_i32_e32 vcc, s22, v87
	v_mov_b32_e32 v111, 0
	v_mov_b32_e32 v112, 0
	s_and_saveexec_b64 s[4:5], vcc
	s_cbranch_execz .LBB71_77
; %bb.76:                               ;   in Loop: Header=BB71_74 Depth=1
	global_load_dword v112, v[0:1], off
.LBB71_77:                              ;   in Loop: Header=BB71_74 Depth=1
	s_or_b64 exec, exec, s[4:5]
	v_cmp_gt_i32_e32 vcc, s22, v96
	s_and_saveexec_b64 s[4:5], vcc
	s_cbranch_execz .LBB71_79
; %bb.78:                               ;   in Loop: Header=BB71_74 Depth=1
	v_lshl_add_u64 v[2:3], v[32:33], 0, v[26:27]
	global_load_dword v111, v[2:3], off
.LBB71_79:                              ;   in Loop: Header=BB71_74 Depth=1
	s_or_b64 exec, exec, s[4:5]
	v_cmp_gt_i32_e32 vcc, s22, v97
	v_mov_b32_e32 v113, 0
	v_mov_b32_e32 v114, 0
	s_and_saveexec_b64 s[4:5], vcc
	s_cbranch_execz .LBB71_81
; %bb.80:                               ;   in Loop: Header=BB71_74 Depth=1
	v_lshl_add_u64 v[2:3], v[34:35], 0, v[26:27]
	global_load_dword v114, v[2:3], off
.LBB71_81:                              ;   in Loop: Header=BB71_74 Depth=1
	s_or_b64 exec, exec, s[4:5]
	v_cmp_gt_i32_e32 vcc, s22, v98
	s_and_saveexec_b64 s[4:5], vcc
	s_cbranch_execz .LBB71_83
; %bb.82:                               ;   in Loop: Header=BB71_74 Depth=1
	v_lshl_add_u64 v[2:3], v[36:37], 0, v[26:27]
	global_load_dword v113, v[2:3], off
.LBB71_83:                              ;   in Loop: Header=BB71_74 Depth=1
	s_or_b64 exec, exec, s[4:5]
	s_mov_b64 s[4:5], 0
.LBB71_84:                              ;   in Loop: Header=BB71_74 Depth=1
	s_and_b64 vcc, exec, s[4:5]
	s_cbranch_vccz .LBB71_86
; %bb.85:                               ;   in Loop: Header=BB71_74 Depth=1
	global_load_dword v112, v[0:1], off
	v_lshl_add_u64 v[0:1], v[32:33], 0, v[26:27]
	global_load_dword v111, v[0:1], off
	v_lshl_add_u64 v[0:1], v[28:29], 0, v[26:27]
	;; [unrolled: 2-line block ×3, first 2 shown]
	global_load_dword v113, v[0:1], off
.LBB71_86:                              ;   in Loop: Header=BB71_74 Depth=1
	ds_read_b32 v4, v94
	ds_read_b128 v[0:3], v88
	s_andn2_b64 vcc, exec, s[18:19]
                                        ; implicit-def: $vgpr117
                                        ; implicit-def: $vgpr118
                                        ; implicit-def: $vgpr115
                                        ; implicit-def: $vgpr116
	s_waitcnt vmcnt(0) lgkmcnt(1)
	v_mul_f32_e32 v5, v112, v4
	v_mul_f32_e32 v6, v111, v4
	;; [unrolled: 1-line block ×4, first 2 shown]
	ds_write2_b32 v95, v5, v6 offset1:67
	ds_write2_b32 v95, v7, v4 offset0:134 offset1:201
	s_waitcnt lgkmcnt(0)
	s_barrier
	ds_read2_b32 v[78:79], v92 offset1:1
	ds_read2_b32 v[76:77], v92 offset0:2 offset1:3
	v_cndmask_b32_e64 v6, 0, 1, s[18:19]
	v_lshl_add_u64 v[4:5], v[38:39], 0, v[26:27]
	v_cmp_ne_u32_e64 s[4:5], 1, v6
	s_mov_b64 s[18:19], -1
	s_waitcnt lgkmcnt(0)
	s_barrier
	s_cbranch_vccnz .LBB71_96
; %bb.87:                               ;   in Loop: Header=BB71_74 Depth=1
	v_cmp_gt_i32_e32 vcc, s22, v99
	v_mov_b32_e32 v115, 0
	v_mov_b32_e32 v116, 0
	s_and_saveexec_b64 s[18:19], vcc
	s_cbranch_execz .LBB71_89
; %bb.88:                               ;   in Loop: Header=BB71_74 Depth=1
	global_load_dword v116, v[4:5], off
.LBB71_89:                              ;   in Loop: Header=BB71_74 Depth=1
	s_or_b64 exec, exec, s[18:19]
	v_cmp_gt_i32_e32 vcc, s22, v100
	s_and_saveexec_b64 s[18:19], vcc
	s_cbranch_execz .LBB71_91
; %bb.90:                               ;   in Loop: Header=BB71_74 Depth=1
	v_lshl_add_u64 v[6:7], v[40:41], 0, v[26:27]
	global_load_dword v115, v[6:7], off
.LBB71_91:                              ;   in Loop: Header=BB71_74 Depth=1
	s_or_b64 exec, exec, s[18:19]
	v_cmp_gt_i32_e32 vcc, s22, v101
	v_mov_b32_e32 v117, 0
	v_mov_b32_e32 v118, 0
	s_and_saveexec_b64 s[18:19], vcc
	s_cbranch_execz .LBB71_93
; %bb.92:                               ;   in Loop: Header=BB71_74 Depth=1
	v_lshl_add_u64 v[6:7], v[42:43], 0, v[26:27]
	global_load_dword v118, v[6:7], off
.LBB71_93:                              ;   in Loop: Header=BB71_74 Depth=1
	s_or_b64 exec, exec, s[18:19]
	v_cmp_gt_i32_e32 vcc, s22, v102
	s_and_saveexec_b64 s[18:19], vcc
	s_cbranch_execz .LBB71_95
; %bb.94:                               ;   in Loop: Header=BB71_74 Depth=1
	v_lshl_add_u64 v[6:7], v[44:45], 0, v[26:27]
	global_load_dword v117, v[6:7], off
.LBB71_95:                              ;   in Loop: Header=BB71_74 Depth=1
	s_or_b64 exec, exec, s[18:19]
	s_mov_b64 s[18:19], 0
.LBB71_96:                              ;   in Loop: Header=BB71_74 Depth=1
	s_and_b64 vcc, exec, s[18:19]
	s_cbranch_vccz .LBB71_98
; %bb.97:                               ;   in Loop: Header=BB71_74 Depth=1
	global_load_dword v116, v[4:5], off
	v_lshl_add_u64 v[4:5], v[40:41], 0, v[26:27]
	global_load_dword v115, v[4:5], off
	v_lshl_add_u64 v[4:5], v[46:47], 0, v[26:27]
	;; [unrolled: 2-line block ×3, first 2 shown]
	global_load_dword v117, v[4:5], off
.LBB71_98:                              ;   in Loop: Header=BB71_74 Depth=1
	ds_read_b32 v8, v94
	ds_read_b128 v[4:7], v88 offset:64
	s_and_b64 vcc, exec, s[4:5]
	s_mov_b64 s[18:19], -1
                                        ; implicit-def: $vgpr121
                                        ; implicit-def: $vgpr122
                                        ; implicit-def: $vgpr119
                                        ; implicit-def: $vgpr120
	s_waitcnt vmcnt(0) lgkmcnt(1)
	v_mul_f32_e32 v9, v116, v8
	v_mul_f32_e32 v10, v115, v8
	v_mul_f32_e32 v11, v118, v8
	v_mul_f32_e32 v8, v117, v8
	ds_write2_b32 v95, v9, v10 offset1:67
	ds_write2_b32 v95, v11, v8 offset0:134 offset1:201
	s_waitcnt lgkmcnt(0)
	s_barrier
	ds_read2_b32 v[14:15], v92 offset1:1
	ds_read2_b32 v[12:13], v92 offset0:2 offset1:3
	v_lshl_add_u64 v[8:9], v[50:51], 0, v[26:27]
	s_waitcnt lgkmcnt(0)
	s_barrier
	s_cbranch_vccnz .LBB71_108
; %bb.99:                               ;   in Loop: Header=BB71_74 Depth=1
	v_cmp_gt_i32_e32 vcc, s22, v103
	v_mov_b32_e32 v119, 0
	v_mov_b32_e32 v120, 0
	s_and_saveexec_b64 s[18:19], vcc
	s_cbranch_execz .LBB71_101
; %bb.100:                              ;   in Loop: Header=BB71_74 Depth=1
	global_load_dword v120, v[8:9], off
.LBB71_101:                             ;   in Loop: Header=BB71_74 Depth=1
	s_or_b64 exec, exec, s[18:19]
	v_cmp_gt_i32_e32 vcc, s22, v104
	s_and_saveexec_b64 s[18:19], vcc
	s_cbranch_execz .LBB71_103
; %bb.102:                              ;   in Loop: Header=BB71_74 Depth=1
	v_lshl_add_u64 v[10:11], v[66:67], 0, v[26:27]
	global_load_dword v119, v[10:11], off
.LBB71_103:                             ;   in Loop: Header=BB71_74 Depth=1
	s_or_b64 exec, exec, s[18:19]
	v_cmp_gt_i32_e32 vcc, s22, v105
	v_mov_b32_e32 v121, 0
	v_mov_b32_e32 v122, 0
	s_and_saveexec_b64 s[18:19], vcc
	s_cbranch_execz .LBB71_105
; %bb.104:                              ;   in Loop: Header=BB71_74 Depth=1
	v_lshl_add_u64 v[10:11], v[68:69], 0, v[26:27]
	global_load_dword v122, v[10:11], off
.LBB71_105:                             ;   in Loop: Header=BB71_74 Depth=1
	s_or_b64 exec, exec, s[18:19]
	v_cmp_gt_i32_e32 vcc, s22, v106
	s_and_saveexec_b64 s[18:19], vcc
	s_cbranch_execz .LBB71_107
; %bb.106:                              ;   in Loop: Header=BB71_74 Depth=1
	v_lshl_add_u64 v[10:11], v[70:71], 0, v[26:27]
	global_load_dword v121, v[10:11], off
.LBB71_107:                             ;   in Loop: Header=BB71_74 Depth=1
	s_or_b64 exec, exec, s[18:19]
	s_mov_b64 s[18:19], 0
.LBB71_108:                             ;   in Loop: Header=BB71_74 Depth=1
	s_and_b64 vcc, exec, s[18:19]
	s_cbranch_vccz .LBB71_110
; %bb.109:                              ;   in Loop: Header=BB71_74 Depth=1
	global_load_dword v120, v[8:9], off
	v_lshl_add_u64 v[8:9], v[66:67], 0, v[26:27]
	global_load_dword v119, v[8:9], off
	v_lshl_add_u64 v[8:9], v[72:73], 0, v[26:27]
	;; [unrolled: 2-line block ×3, first 2 shown]
	global_load_dword v121, v[8:9], off
.LBB71_110:                             ;   in Loop: Header=BB71_74 Depth=1
	ds_read_b32 v75, v94
	ds_read_b128 v[8:11], v88 offset:128
	v_lshl_add_u64 v[84:85], v[54:55], 0, v[24:25]
	s_and_b64 vcc, exec, s[4:5]
	s_mov_b64 s[4:5], -1
	s_waitcnt vmcnt(0) lgkmcnt(1)
	v_mul_f32_e32 v80, v120, v75
	v_mul_f32_e32 v81, v119, v75
	;; [unrolled: 1-line block ×4, first 2 shown]
	ds_write2_b32 v95, v80, v81 offset1:67
	ds_write2_b32 v95, v82, v75 offset0:134 offset1:201
	s_waitcnt lgkmcnt(0)
	s_barrier
	ds_read2_b32 v[82:83], v92 offset1:1
	ds_read2_b32 v[80:81], v92 offset0:2 offset1:3
	s_waitcnt lgkmcnt(0)
	s_barrier
                                        ; implicit-def: $vgpr125
                                        ; implicit-def: $vgpr126
                                        ; implicit-def: $vgpr123
                                        ; implicit-def: $vgpr124
	s_cbranch_vccnz .LBB71_120
; %bb.111:                              ;   in Loop: Header=BB71_74 Depth=1
	v_cmp_gt_i32_e32 vcc, s22, v107
	v_mov_b32_e32 v123, 0
	v_mov_b32_e32 v124, 0
	s_and_saveexec_b64 s[4:5], vcc
	s_cbranch_execz .LBB71_113
; %bb.112:                              ;   in Loop: Header=BB71_74 Depth=1
	global_load_dword v124, v[84:85], off
.LBB71_113:                             ;   in Loop: Header=BB71_74 Depth=1
	s_or_b64 exec, exec, s[4:5]
	v_cmp_gt_i32_e32 vcc, s22, v108
	s_and_saveexec_b64 s[4:5], vcc
	s_cbranch_execz .LBB71_115
; %bb.114:                              ;   in Loop: Header=BB71_74 Depth=1
	v_lshl_add_u64 v[126:127], v[56:57], 0, v[24:25]
	global_load_dword v123, v[126:127], off
.LBB71_115:                             ;   in Loop: Header=BB71_74 Depth=1
	s_or_b64 exec, exec, s[4:5]
	v_cmp_gt_i32_e32 vcc, s22, v109
	v_mov_b32_e32 v125, 0
	v_mov_b32_e32 v126, 0
	s_and_saveexec_b64 s[4:5], vcc
	s_cbranch_execz .LBB71_117
; %bb.116:                              ;   in Loop: Header=BB71_74 Depth=1
	v_lshl_add_u64 v[126:127], v[58:59], 0, v[24:25]
	global_load_dword v126, v[126:127], off
.LBB71_117:                             ;   in Loop: Header=BB71_74 Depth=1
	s_or_b64 exec, exec, s[4:5]
	v_cmp_gt_i32_e32 vcc, s22, v110
	s_and_saveexec_b64 s[4:5], vcc
	s_cbranch_execz .LBB71_119
; %bb.118:                              ;   in Loop: Header=BB71_74 Depth=1
	v_lshl_add_u64 v[128:129], v[60:61], 0, v[24:25]
	global_load_dword v125, v[128:129], off
.LBB71_119:                             ;   in Loop: Header=BB71_74 Depth=1
	s_or_b64 exec, exec, s[4:5]
	s_mov_b64 s[4:5], 0
.LBB71_120:                             ;   in Loop: Header=BB71_74 Depth=1
	s_and_b64 vcc, exec, s[4:5]
	s_cbranch_vccz .LBB71_122
; %bb.121:                              ;   in Loop: Header=BB71_74 Depth=1
	global_load_dword v124, v[84:85], off
	v_lshl_add_u64 v[84:85], v[56:57], 0, v[24:25]
	global_load_dword v123, v[84:85], off
	v_lshl_add_u64 v[84:85], v[62:63], 0, v[24:25]
	;; [unrolled: 2-line block ×3, first 2 shown]
	global_load_dword v125, v[84:85], off
.LBB71_122:                             ;   in Loop: Header=BB71_74 Depth=1
	v_add_f32_e32 v75, 0, v82
	v_add_f32_e32 v75, v75, v83
	;; [unrolled: 1-line block ×3, first 2 shown]
	ds_read_b32 v80, v94
	v_add_f32_e32 v14, 0, v14
	v_add_f32_e32 v14, v14, v15
	;; [unrolled: 1-line block ×5, first 2 shown]
	ds_read_b128 v[12:15], v88 offset:192
	s_waitcnt vmcnt(0) lgkmcnt(1)
	v_mul_f32_e32 v81, v124, v80
	v_mul_f32_e32 v83, v123, v80
	ds_write2_b32 v95, v81, v83 offset1:67
	v_mul_f32_e32 v81, v126, v80
	v_mul_f32_e32 v80, v125, v80
	ds_write2_b32 v95, v81, v80 offset0:134 offset1:201
	s_waitcnt lgkmcnt(0)
	s_barrier
	ds_read2_b32 v[80:81], v92 offset1:1
	v_add_f32_e32 v78, 0, v78
	v_add_f32_e32 v83, v78, v79
	ds_read2_b32 v[78:79], v92 offset0:2 offset1:3
	v_add_f32_e32 v76, v83, v76
	v_add_f32_e32 v76, v76, v77
	s_waitcnt lgkmcnt(1)
	v_add_f32_e32 v77, 0, v80
	v_cmp_gt_i32_e32 vcc, s22, v18
	v_add_f32_e32 v77, v77, v81
	s_or_b64 s[4:5], s[14:15], vcc
	s_waitcnt lgkmcnt(0)
	v_add_f32_e32 v77, v77, v78
	s_and_b64 s[14:15], s[0:1], s[4:5]
	v_add_f32_e32 v77, v77, v79
	s_barrier
	ds_write2_b32 v89, v76, v82 offset1:16
	ds_write2_b32 v89, v75, v77 offset0:32 offset1:48
	s_waitcnt lgkmcnt(0)
	s_barrier
	s_and_saveexec_b64 s[4:5], s[14:15]
	s_cbranch_execz .LBB71_124
; %bb.123:                              ;   in Loop: Header=BB71_74 Depth=1
	ds_read2_b32 v[76:77], v90 offset1:1
	ds_read2_b32 v[78:79], v90 offset0:2 offset1:3
	ds_read2_b32 v[80:81], v90 offset0:4 offset1:5
	;; [unrolled: 1-line block ×4, first 2 shown]
	s_waitcnt lgkmcnt(4)
	v_add_f32_e32 v75, v76, v77
	s_waitcnt lgkmcnt(3)
	v_add_f32_e32 v75, v75, v78
	v_add_f32_e32 v75, v75, v79
	s_waitcnt lgkmcnt(2)
	v_add_f32_e32 v75, v75, v80
	v_add_f32_e32 v75, v75, v81
	s_waitcnt lgkmcnt(1)
	v_add_f32_e32 v75, v75, v82
	v_add_f32_e32 v75, v75, v83
	ds_read2_b32 v[76:77], v90 offset0:10 offset1:11
	ds_read2_b32 v[78:79], v90 offset0:12 offset1:13
	ds_read_b32 v80, v90 offset:56
	s_waitcnt lgkmcnt(3)
	v_add_f32_e32 v75, v75, v84
	v_add_f32_e32 v75, v75, v85
	s_waitcnt lgkmcnt(2)
	v_add_f32_e32 v75, v75, v76
	ds_read_b32 v76, v91
	v_add_f32_e32 v75, v75, v77
	s_waitcnt lgkmcnt(2)
	v_add_f32_e32 v75, v75, v78
	v_add_f32_e32 v75, v75, v79
	s_waitcnt lgkmcnt(1)
	v_add_f32_e32 v75, v75, v80
	s_waitcnt lgkmcnt(0)
	v_add_f32_e32 v78, v75, v76
	v_ashrrev_i32_e32 v75, 31, v74
	v_lshl_add_u64 v[76:77], v[74:75], 2, s[6:7]
	global_store_dword v[76:77], v78, off
.LBB71_124:                             ;   in Loop: Header=BB71_74 Depth=1
	s_or_b64 exec, exec, s[4:5]
	v_fmac_f32_e32 v19, v112, v0
	v_fmac_f32_e32 v19, v111, v1
	;; [unrolled: 1-line block ×15, first 2 shown]
	s_add_i32 s4, s2, 1
	s_add_i32 s8, s8, s17
	s_add_i32 s2, s2, 2
	v_fmac_f32_e32 v19, v125, v15
	v_add_u32_e32 v74, 64, v74
	v_lshl_add_u64 v[22:23], v[22:23], 0, s[10:11]
	v_lshl_add_u64 v[28:29], v[28:29], 0, s[10:11]
	;; [unrolled: 1-line block ×23, first 2 shown]
	s_cmp_ge_u32 s2, s33
	v_lshl_add_u64 v[64:65], v[64:65], 0, s[10:11]
	s_barrier
	s_cbranch_scc1 .LBB71_126
; %bb.125:                              ;   in Loop: Header=BB71_74 Depth=1
	s_mov_b32 s2, s4
	s_cmp_eq_u32 s3, s2
	s_cselect_b32 s22, s34, 0
	s_and_saveexec_b64 s[4:5], s[12:13]
	s_cbranch_execnz .LBB71_71
	s_branch .LBB71_74
.LBB71_126:
	s_movk_i32 s0, 0x10c
	v_cmp_gt_i32_e32 vcc, s16, v18
	v_mad_u32_u24 v0, v17, s0, v86
	s_or_b64 s[0:1], s[20:21], vcc
	s_and_b64 s[0:1], s[12:13], s[0:1]
	ds_write_b32 v0, v19
	s_waitcnt lgkmcnt(0)
	s_barrier
	s_and_saveexec_b64 s[2:3], s[0:1]
	s_cbranch_execz .LBB71_128
; %bb.127:
	ds_read2_b32 v[0:1], v86 offset1:67
	ds_read2_b32 v[2:3], v86 offset0:134 offset1:201
	v_ashrrev_i32_e32 v17, 31, v16
	s_waitcnt lgkmcnt(1)
	v_add_f32_e32 v0, v0, v1
	s_waitcnt lgkmcnt(0)
	v_add_f32_e32 v0, v0, v2
	v_add_f32_e32 v2, v0, v3
	v_lshl_add_u64 v[0:1], v[16:17], 2, s[6:7]
	global_store_dword v[0:1], v2, off
.LBB71_128:
	s_endpgm
	.section	.rodata,"a",@progbits
	.p2align	6, 0x0
	.amdhsa_kernel _ZL26rocblas_hemvn_kernel_upperILb0ELi64ELi4ELi33ELi32ELi16EiPKfS1_PfEviT6_lT7_lT5_lS4_lS5_lS3_lT8_i
		.amdhsa_group_segment_fixed_size 4800
		.amdhsa_private_segment_fixed_size 0
		.amdhsa_kernarg_size 376
		.amdhsa_user_sgpr_count 2
		.amdhsa_user_sgpr_dispatch_ptr 0
		.amdhsa_user_sgpr_queue_ptr 0
		.amdhsa_user_sgpr_kernarg_segment_ptr 1
		.amdhsa_user_sgpr_dispatch_id 0
		.amdhsa_user_sgpr_kernarg_preload_length 0
		.amdhsa_user_sgpr_kernarg_preload_offset 0
		.amdhsa_user_sgpr_private_segment_size 0
		.amdhsa_uses_dynamic_stack 0
		.amdhsa_enable_private_segment 0
		.amdhsa_system_sgpr_workgroup_id_x 1
		.amdhsa_system_sgpr_workgroup_id_y 0
		.amdhsa_system_sgpr_workgroup_id_z 1
		.amdhsa_system_sgpr_workgroup_info 0
		.amdhsa_system_vgpr_workitem_id 1
		.amdhsa_next_free_vgpr 130
		.amdhsa_next_free_sgpr 45
		.amdhsa_accum_offset 132
		.amdhsa_reserve_vcc 1
		.amdhsa_float_round_mode_32 0
		.amdhsa_float_round_mode_16_64 0
		.amdhsa_float_denorm_mode_32 3
		.amdhsa_float_denorm_mode_16_64 3
		.amdhsa_dx10_clamp 1
		.amdhsa_ieee_mode 1
		.amdhsa_fp16_overflow 0
		.amdhsa_tg_split 0
		.amdhsa_exception_fp_ieee_invalid_op 0
		.amdhsa_exception_fp_denorm_src 0
		.amdhsa_exception_fp_ieee_div_zero 0
		.amdhsa_exception_fp_ieee_overflow 0
		.amdhsa_exception_fp_ieee_underflow 0
		.amdhsa_exception_fp_ieee_inexact 0
		.amdhsa_exception_int_div_zero 0
	.end_amdhsa_kernel
	.section	.text._ZL26rocblas_hemvn_kernel_upperILb0ELi64ELi4ELi33ELi32ELi16EiPKfS1_PfEviT6_lT7_lT5_lS4_lS5_lS3_lT8_i,"axG",@progbits,_ZL26rocblas_hemvn_kernel_upperILb0ELi64ELi4ELi33ELi32ELi16EiPKfS1_PfEviT6_lT7_lT5_lS4_lS5_lS3_lT8_i,comdat
.Lfunc_end71:
	.size	_ZL26rocblas_hemvn_kernel_upperILb0ELi64ELi4ELi33ELi32ELi16EiPKfS1_PfEviT6_lT7_lT5_lS4_lS5_lS3_lT8_i, .Lfunc_end71-_ZL26rocblas_hemvn_kernel_upperILb0ELi64ELi4ELi33ELi32ELi16EiPKfS1_PfEviT6_lT7_lT5_lS4_lS5_lS3_lT8_i
                                        ; -- End function
	.set _ZL26rocblas_hemvn_kernel_upperILb0ELi64ELi4ELi33ELi32ELi16EiPKfS1_PfEviT6_lT7_lT5_lS4_lS5_lS3_lT8_i.num_vgpr, 130
	.set _ZL26rocblas_hemvn_kernel_upperILb0ELi64ELi4ELi33ELi32ELi16EiPKfS1_PfEviT6_lT7_lT5_lS4_lS5_lS3_lT8_i.num_agpr, 0
	.set _ZL26rocblas_hemvn_kernel_upperILb0ELi64ELi4ELi33ELi32ELi16EiPKfS1_PfEviT6_lT7_lT5_lS4_lS5_lS3_lT8_i.numbered_sgpr, 45
	.set _ZL26rocblas_hemvn_kernel_upperILb0ELi64ELi4ELi33ELi32ELi16EiPKfS1_PfEviT6_lT7_lT5_lS4_lS5_lS3_lT8_i.num_named_barrier, 0
	.set _ZL26rocblas_hemvn_kernel_upperILb0ELi64ELi4ELi33ELi32ELi16EiPKfS1_PfEviT6_lT7_lT5_lS4_lS5_lS3_lT8_i.private_seg_size, 0
	.set _ZL26rocblas_hemvn_kernel_upperILb0ELi64ELi4ELi33ELi32ELi16EiPKfS1_PfEviT6_lT7_lT5_lS4_lS5_lS3_lT8_i.uses_vcc, 1
	.set _ZL26rocblas_hemvn_kernel_upperILb0ELi64ELi4ELi33ELi32ELi16EiPKfS1_PfEviT6_lT7_lT5_lS4_lS5_lS3_lT8_i.uses_flat_scratch, 0
	.set _ZL26rocblas_hemvn_kernel_upperILb0ELi64ELi4ELi33ELi32ELi16EiPKfS1_PfEviT6_lT7_lT5_lS4_lS5_lS3_lT8_i.has_dyn_sized_stack, 0
	.set _ZL26rocblas_hemvn_kernel_upperILb0ELi64ELi4ELi33ELi32ELi16EiPKfS1_PfEviT6_lT7_lT5_lS4_lS5_lS3_lT8_i.has_recursion, 0
	.set _ZL26rocblas_hemvn_kernel_upperILb0ELi64ELi4ELi33ELi32ELi16EiPKfS1_PfEviT6_lT7_lT5_lS4_lS5_lS3_lT8_i.has_indirect_call, 0
	.section	.AMDGPU.csdata,"",@progbits
; Kernel info:
; codeLenInByte = 6588
; TotalNumSgprs: 51
; NumVgprs: 130
; NumAgprs: 0
; TotalNumVgprs: 130
; ScratchSize: 0
; MemoryBound: 0
; FloatMode: 240
; IeeeMode: 1
; LDSByteSize: 4800 bytes/workgroup (compile time only)
; SGPRBlocks: 6
; VGPRBlocks: 16
; NumSGPRsForWavesPerEU: 51
; NumVGPRsForWavesPerEU: 130
; AccumOffset: 132
; Occupancy: 3
; WaveLimiterHint : 1
; COMPUTE_PGM_RSRC2:SCRATCH_EN: 0
; COMPUTE_PGM_RSRC2:USER_SGPR: 2
; COMPUTE_PGM_RSRC2:TRAP_HANDLER: 0
; COMPUTE_PGM_RSRC2:TGID_X_EN: 1
; COMPUTE_PGM_RSRC2:TGID_Y_EN: 0
; COMPUTE_PGM_RSRC2:TGID_Z_EN: 1
; COMPUTE_PGM_RSRC2:TIDIG_COMP_CNT: 1
; COMPUTE_PGM_RSRC3_GFX90A:ACCUM_OFFSET: 32
; COMPUTE_PGM_RSRC3_GFX90A:TG_SPLIT: 0
	.section	.text._ZL36rocblas_hemvn_kernel_upper_block_sumILi64EiPKfPffEviT1_lS3_lT2_lT0_lPT3_i,"axG",@progbits,_ZL36rocblas_hemvn_kernel_upper_block_sumILi64EiPKfPffEviT1_lS3_lT2_lT0_lPT3_i,comdat
	.globl	_ZL36rocblas_hemvn_kernel_upper_block_sumILi64EiPKfPffEviT1_lS3_lT2_lT0_lPT3_i ; -- Begin function _ZL36rocblas_hemvn_kernel_upper_block_sumILi64EiPKfPffEviT1_lS3_lT2_lT0_lPT3_i
	.p2align	8
	.type	_ZL36rocblas_hemvn_kernel_upper_block_sumILi64EiPKfPffEviT1_lS3_lT2_lT0_lPT3_i,@function
_ZL36rocblas_hemvn_kernel_upper_block_sumILi64EiPKfPffEviT1_lS3_lT2_lT0_lPT3_i: ; @_ZL36rocblas_hemvn_kernel_upper_block_sumILi64EiPKfPffEviT1_lS3_lT2_lT0_lPT3_i
; %bb.0:
	s_load_dwordx8 s[8:15], s[0:1], 0x8
	s_waitcnt lgkmcnt(0)
	s_mul_i32 s4, s11, s3
	s_mul_hi_u32 s5, s10, s3
	s_add_i32 s5, s5, s4
	s_mul_i32 s4, s10, s3
	s_lshl_b64 s[4:5], s[4:5], 2
	s_add_u32 s4, s8, s4
	s_addc_u32 s5, s9, s5
	s_load_dword s8, s[4:5], 0x0
	s_mul_i32 s4, s15, s3
	s_mul_hi_u32 s5, s14, s3
	s_add_i32 s5, s5, s4
	s_mul_i32 s4, s14, s3
	s_lshl_b64 s[4:5], s[4:5], 2
	s_add_u32 s4, s12, s4
	s_addc_u32 s5, s13, s5
	s_load_dword s9, s[4:5], 0x0
	s_waitcnt lgkmcnt(0)
	v_cmp_eq_f32_e64 s[4:5], s8, 0
	v_cmp_eq_f32_e64 s[6:7], s9, 1.0
	s_and_b64 s[4:5], s[4:5], s[6:7]
	s_and_b64 vcc, exec, s[4:5]
	s_cbranch_vccnz .LBB72_19
; %bb.1:
	s_load_dwordx4 s[4:7], s[0:1], 0x40
	s_load_dwordx4 s[16:19], s[0:1], 0x28
	s_load_dword s20, s[0:1], 0x38
	s_load_dword s14, s[0:1], 0x0
	v_lshl_or_b32 v0, s2, 6, v0
	s_waitcnt lgkmcnt(0)
	s_mul_i32 s5, s5, s3
	s_mul_hi_u32 s10, s4, s3
	s_add_i32 s5, s10, s5
	s_mul_i32 s4, s4, s3
	s_lshl_b64 s[4:5], s[4:5], 2
	s_add_u32 s10, s16, s4
	s_addc_u32 s11, s17, s5
	s_lshl_b64 s[4:5], s[18:19], 2
	s_add_u32 s10, s10, s4
	s_addc_u32 s11, s11, s5
	v_cmp_neq_f32_e64 s[4:5], s8, 0
	s_and_b64 vcc, exec, s[4:5]
	v_cmp_gt_i32_e64 s[4:5], s14, v0
	s_cbranch_vccnz .LBB72_6
; %bb.2:
	s_mov_b64 s[16:17], 0
	s_mov_b64 s[12:13], 0
                                        ; implicit-def: $vgpr4
                                        ; implicit-def: $vgpr2_vgpr3
	s_and_saveexec_b64 s[18:19], s[4:5]
	s_cbranch_execz .LBB72_7
; %bb.3:
	v_cmp_eq_f32_e64 s[4:5], s9, 0
	v_mul_lo_u32 v2, s20, v0
	v_mov_b32_e32 v4, 0
	v_ashrrev_i32_e32 v3, 31, v2
	s_and_b64 vcc, exec, s[4:5]
	s_cbranch_vccnz .LBB72_5
; %bb.4:
	v_lshl_add_u64 v[4:5], v[2:3], 2, s[10:11]
	global_load_dword v1, v[4:5], off
	s_waitcnt vmcnt(0)
	v_mul_f32_e32 v4, s9, v1
.LBB72_5:
	s_mov_b64 s[12:13], exec
	s_or_b64 exec, exec, s[18:19]
	s_and_b64 vcc, exec, s[16:17]
	s_cbranch_vccnz .LBB72_8
	s_branch .LBB72_17
.LBB72_6:
	s_mov_b64 s[12:13], 0
                                        ; implicit-def: $vgpr4
                                        ; implicit-def: $vgpr2_vgpr3
	s_cbranch_execnz .LBB72_8
	s_branch .LBB72_17
.LBB72_7:
	s_or_b64 exec, exec, s[18:19]
	s_and_b64 vcc, exec, s[16:17]
	s_cbranch_vccz .LBB72_17
.LBB72_8:
	v_cmp_gt_i32_e32 vcc, s14, v0
                                        ; implicit-def: $vgpr4
                                        ; implicit-def: $vgpr2_vgpr3
	s_and_saveexec_b64 s[4:5], vcc
	s_cbranch_execz .LBB72_16
; %bb.9:
	s_cmp_lt_i32 s2, 0
	v_mov_b32_e32 v1, 0
	s_cbranch_scc1 .LBB72_12
; %bb.10:
	s_load_dword s0, s[0:1], 0x58
	s_ashr_i32 s15, s14, 31
	s_mul_hi_u32 s1, s14, s3
	s_mul_i32 s16, s15, s3
	s_add_i32 s1, s1, s16
	s_mul_i32 s3, s14, s3
	s_waitcnt lgkmcnt(0)
	s_mul_i32 s1, s1, s0
	s_mul_hi_u32 s16, s3, s0
	s_add_i32 s1, s16, s1
	s_mul_i32 s0, s3, s0
	s_lshl_b64 s[0:1], s[0:1], 2
	s_add_u32 s0, s6, s0
	s_addc_u32 s1, s7, s1
	v_mov_b32_e32 v1, 0
	v_lshl_add_u64 v[2:3], v[0:1], 2, s[0:1]
	s_add_i32 s2, s2, 1
	s_lshl_b64 s[0:1], s[14:15], 2
.LBB72_11:                              ; =>This Inner Loop Header: Depth=1
	global_load_dword v4, v[2:3], off
	s_add_i32 s2, s2, -1
	v_lshl_add_u64 v[2:3], v[2:3], 0, s[0:1]
	s_cmp_eq_u32 s2, 0
	s_waitcnt vmcnt(0)
	v_add_f32_e32 v1, v1, v4
	s_cbranch_scc0 .LBB72_11
.LBB72_12:
	v_cmp_eq_f32_e64 s[0:1], s9, 0
	v_mul_lo_u32 v2, s20, v0
	s_and_b64 vcc, exec, s[0:1]
	v_ashrrev_i32_e32 v3, 31, v2
	s_cbranch_vccz .LBB72_20
; %bb.13:
	v_mul_f32_e32 v4, s8, v1
	s_cbranch_execnz .LBB72_15
.LBB72_14:
	v_lshl_add_u64 v[4:5], v[2:3], 2, s[10:11]
	global_load_dword v5, v[4:5], off
	v_mov_b32_e32 v4, v1
	s_waitcnt vmcnt(0)
	v_pk_mul_f32 v[0:1], s[8:9], v[4:5]
	s_nop 0
	v_add_f32_e32 v4, v0, v1
.LBB72_15:
	s_or_b64 s[12:13], s[12:13], exec
.LBB72_16:
	s_or_b64 exec, exec, s[4:5]
.LBB72_17:
	s_and_saveexec_b64 s[0:1], s[12:13]
	s_cbranch_execz .LBB72_19
; %bb.18:
	v_lshl_add_u64 v[0:1], v[2:3], 2, s[10:11]
	global_store_dword v[0:1], v4, off
.LBB72_19:
	s_endpgm
.LBB72_20:
                                        ; implicit-def: $vgpr4
	s_branch .LBB72_14
	.section	.rodata,"a",@progbits
	.p2align	6, 0x0
	.amdhsa_kernel _ZL36rocblas_hemvn_kernel_upper_block_sumILi64EiPKfPffEviT1_lS3_lT2_lT0_lPT3_i
		.amdhsa_group_segment_fixed_size 0
		.amdhsa_private_segment_fixed_size 0
		.amdhsa_kernarg_size 344
		.amdhsa_user_sgpr_count 2
		.amdhsa_user_sgpr_dispatch_ptr 0
		.amdhsa_user_sgpr_queue_ptr 0
		.amdhsa_user_sgpr_kernarg_segment_ptr 1
		.amdhsa_user_sgpr_dispatch_id 0
		.amdhsa_user_sgpr_kernarg_preload_length 0
		.amdhsa_user_sgpr_kernarg_preload_offset 0
		.amdhsa_user_sgpr_private_segment_size 0
		.amdhsa_uses_dynamic_stack 0
		.amdhsa_enable_private_segment 0
		.amdhsa_system_sgpr_workgroup_id_x 1
		.amdhsa_system_sgpr_workgroup_id_y 0
		.amdhsa_system_sgpr_workgroup_id_z 1
		.amdhsa_system_sgpr_workgroup_info 0
		.amdhsa_system_vgpr_workitem_id 0
		.amdhsa_next_free_vgpr 6
		.amdhsa_next_free_sgpr 21
		.amdhsa_accum_offset 8
		.amdhsa_reserve_vcc 1
		.amdhsa_float_round_mode_32 0
		.amdhsa_float_round_mode_16_64 0
		.amdhsa_float_denorm_mode_32 3
		.amdhsa_float_denorm_mode_16_64 3
		.amdhsa_dx10_clamp 1
		.amdhsa_ieee_mode 1
		.amdhsa_fp16_overflow 0
		.amdhsa_tg_split 0
		.amdhsa_exception_fp_ieee_invalid_op 0
		.amdhsa_exception_fp_denorm_src 0
		.amdhsa_exception_fp_ieee_div_zero 0
		.amdhsa_exception_fp_ieee_overflow 0
		.amdhsa_exception_fp_ieee_underflow 0
		.amdhsa_exception_fp_ieee_inexact 0
		.amdhsa_exception_int_div_zero 0
	.end_amdhsa_kernel
	.section	.text._ZL36rocblas_hemvn_kernel_upper_block_sumILi64EiPKfPffEviT1_lS3_lT2_lT0_lPT3_i,"axG",@progbits,_ZL36rocblas_hemvn_kernel_upper_block_sumILi64EiPKfPffEviT1_lS3_lT2_lT0_lPT3_i,comdat
.Lfunc_end72:
	.size	_ZL36rocblas_hemvn_kernel_upper_block_sumILi64EiPKfPffEviT1_lS3_lT2_lT0_lPT3_i, .Lfunc_end72-_ZL36rocblas_hemvn_kernel_upper_block_sumILi64EiPKfPffEviT1_lS3_lT2_lT0_lPT3_i
                                        ; -- End function
	.set _ZL36rocblas_hemvn_kernel_upper_block_sumILi64EiPKfPffEviT1_lS3_lT2_lT0_lPT3_i.num_vgpr, 6
	.set _ZL36rocblas_hemvn_kernel_upper_block_sumILi64EiPKfPffEviT1_lS3_lT2_lT0_lPT3_i.num_agpr, 0
	.set _ZL36rocblas_hemvn_kernel_upper_block_sumILi64EiPKfPffEviT1_lS3_lT2_lT0_lPT3_i.numbered_sgpr, 21
	.set _ZL36rocblas_hemvn_kernel_upper_block_sumILi64EiPKfPffEviT1_lS3_lT2_lT0_lPT3_i.num_named_barrier, 0
	.set _ZL36rocblas_hemvn_kernel_upper_block_sumILi64EiPKfPffEviT1_lS3_lT2_lT0_lPT3_i.private_seg_size, 0
	.set _ZL36rocblas_hemvn_kernel_upper_block_sumILi64EiPKfPffEviT1_lS3_lT2_lT0_lPT3_i.uses_vcc, 1
	.set _ZL36rocblas_hemvn_kernel_upper_block_sumILi64EiPKfPffEviT1_lS3_lT2_lT0_lPT3_i.uses_flat_scratch, 0
	.set _ZL36rocblas_hemvn_kernel_upper_block_sumILi64EiPKfPffEviT1_lS3_lT2_lT0_lPT3_i.has_dyn_sized_stack, 0
	.set _ZL36rocblas_hemvn_kernel_upper_block_sumILi64EiPKfPffEviT1_lS3_lT2_lT0_lPT3_i.has_recursion, 0
	.set _ZL36rocblas_hemvn_kernel_upper_block_sumILi64EiPKfPffEviT1_lS3_lT2_lT0_lPT3_i.has_indirect_call, 0
	.section	.AMDGPU.csdata,"",@progbits
; Kernel info:
; codeLenInByte = 596
; TotalNumSgprs: 27
; NumVgprs: 6
; NumAgprs: 0
; TotalNumVgprs: 6
; ScratchSize: 0
; MemoryBound: 0
; FloatMode: 240
; IeeeMode: 1
; LDSByteSize: 0 bytes/workgroup (compile time only)
; SGPRBlocks: 3
; VGPRBlocks: 0
; NumSGPRsForWavesPerEU: 27
; NumVGPRsForWavesPerEU: 6
; AccumOffset: 8
; Occupancy: 8
; WaveLimiterHint : 0
; COMPUTE_PGM_RSRC2:SCRATCH_EN: 0
; COMPUTE_PGM_RSRC2:USER_SGPR: 2
; COMPUTE_PGM_RSRC2:TRAP_HANDLER: 0
; COMPUTE_PGM_RSRC2:TGID_X_EN: 1
; COMPUTE_PGM_RSRC2:TGID_Y_EN: 0
; COMPUTE_PGM_RSRC2:TGID_Z_EN: 1
; COMPUTE_PGM_RSRC2:TIDIG_COMP_CNT: 0
; COMPUTE_PGM_RSRC3_GFX90A:ACCUM_OFFSET: 1
; COMPUTE_PGM_RSRC3_GFX90A:TG_SPLIT: 0
	.section	.text._ZL26rocblas_hemvn_kernel_upperILb0ELi64ELi4ELi33ELi32ELi16ElfPKfPfEviT6_lT7_lT5_lS4_lS5_lS3_lT8_i,"axG",@progbits,_ZL26rocblas_hemvn_kernel_upperILb0ELi64ELi4ELi33ELi32ELi16ElfPKfPfEviT6_lT7_lT5_lS4_lS5_lS3_lT8_i,comdat
	.globl	_ZL26rocblas_hemvn_kernel_upperILb0ELi64ELi4ELi33ELi32ELi16ElfPKfPfEviT6_lT7_lT5_lS4_lS5_lS3_lT8_i ; -- Begin function _ZL26rocblas_hemvn_kernel_upperILb0ELi64ELi4ELi33ELi32ELi16ElfPKfPfEviT6_lT7_lT5_lS4_lS5_lS3_lT8_i
	.p2align	8
	.type	_ZL26rocblas_hemvn_kernel_upperILb0ELi64ELi4ELi33ELi32ELi16ElfPKfPfEviT6_lT7_lT5_lS4_lS5_lS3_lT8_i,@function
_ZL26rocblas_hemvn_kernel_upperILb0ELi64ELi4ELi33ELi32ELi16ElfPKfPfEviT6_lT7_lT5_lS4_lS5_lS3_lT8_i: ; @_ZL26rocblas_hemvn_kernel_upperILb0ELi64ELi4ELi33ELi32ELi16ElfPKfPfEviT6_lT7_lT5_lS4_lS5_lS3_lT8_i
; %bb.0:
	s_load_dwordx2 s[6:7], s[0:1], 0x7c
	s_add_u32 s4, s0, 0x70
	s_addc_u32 s5, s1, 0
	s_waitcnt lgkmcnt(0)
	s_lshr_b32 s8, s6, 16
	s_and_b32 s6, s6, 0xffff
	s_and_b32 s7, s7, 0xffff
	s_mul_i32 s6, s8, s6
	s_mul_i32 s6, s6, s7
	s_cmpk_lg_i32 s6, 0x100
	s_cbranch_scc1 .LBB73_128
; %bb.1:
	s_load_dwordx2 s[34:35], s[0:1], 0x0
	s_load_dword s8, s[0:1], 0x50
	s_waitcnt lgkmcnt(0)
	v_cmp_eq_f32_e64 s[6:7], s35, 0
	v_cmp_eq_f32_e64 s[8:9], s8, 1.0
	s_and_b64 s[8:9], s[6:7], s[8:9]
	s_and_b64 vcc, exec, s[8:9]
	s_cbranch_vccnz .LBB73_128
; %bb.2:
	s_and_b64 vcc, exec, s[6:7]
	s_cbranch_vccnz .LBB73_128
; %bb.3:
	s_load_dwordx16 s[16:31], s[0:1], 0x10
	s_load_dword s33, s[4:5], 0x0
	v_and_b32_e32 v64, 0x3ff, v0
	v_bfe_u32 v65, v0, 10, 10
	v_cmp_eq_u32_e64 s[14:15], 0, v65
	s_waitcnt lgkmcnt(0)
	s_mul_i32 s5, s31, s3
	s_mul_hi_u32 s6, s30, s3
	s_mul_i32 s4, s30, s3
	s_add_i32 s5, s6, s5
	s_lshl_b64 s[4:5], s[4:5], 2
	s_add_u32 s6, s24, s4
	s_addc_u32 s7, s25, s5
	s_lshl_b64 s[4:5], s[26:27], 2
	s_add_u32 s4, s6, s4
	s_addc_u32 s5, s7, s5
	s_ashr_i32 s38, s34, 31
	s_lshr_b32 s7, s38, 26
	s_lshl_b32 s26, s2, 6
	s_add_i32 s7, s34, s7
	s_andn2_b32 s7, s7, 63
	v_add_u32_e32 v16, s26, v64
	s_add_i32 s6, s33, -1
	s_sub_i32 s35, s34, s7
	v_ashrrev_i32_e32 v17, 31, v16
	s_cmp_eq_u32 s2, s6
	v_mul_lo_u32 v2, s28, v17
	v_mul_lo_u32 v3, s29, v16
	v_mad_u64_u32 v[0:1], s[6:7], s28, v16, 0
	v_add3_u32 v1, v1, v2, v3
	s_cselect_b32 s24, s35, 0
	v_lshl_add_u64 v[4:5], v[0:1], 2, s[4:5]
	s_and_saveexec_b64 s[4:5], s[14:15]
	s_cbranch_execz .LBB73_7
; %bb.4:
	s_cmp_eq_u32 s24, 0
	s_cselect_b64 s[6:7], -1, 0
	v_cmp_gt_i32_e32 vcc, s24, v64
	s_or_b64 s[8:9], s[6:7], vcc
	v_mov_b32_e32 v0, 0
	s_and_saveexec_b64 s[6:7], s[8:9]
	s_cbranch_execz .LBB73_6
; %bb.5:
	global_load_dword v0, v[4:5], off
.LBB73_6:
	s_or_b64 exec, exec, s[6:7]
	v_lshlrev_b32_e32 v1, 2, v64
	s_waitcnt vmcnt(0)
	ds_write_b32 v1, v0 offset:4544
.LBB73_7:
	s_or_b64 exec, exec, s[4:5]
	s_mul_i32 s4, s23, s3
	s_mul_hi_u32 s5, s22, s3
	s_add_i32 s5, s5, s4
	s_mul_i32 s4, s22, s3
	s_lshl_b64 s[4:5], s[4:5], 2
	s_add_u32 s6, s16, s4
	s_addc_u32 s7, s17, s5
	s_lshl_b64 s[4:5], s[18:19], 2
	s_add_u32 s6, s6, s4
	s_addc_u32 s7, s7, s5
	s_ashr_i32 s27, s26, 31
	v_lshl_add_u32 v14, v65, 6, v64
	s_lshl_b64 s[4:5], s[26:27], 2
	v_and_b32_e32 v2, 31, v64
	v_lshrrev_b32_e32 v15, 5, v14
	s_add_u32 s4, s6, s4
	v_mov_b32_e32 v3, 0
	s_addc_u32 s5, s7, s5
	v_mad_u64_u32 v[6:7], s[6:7], s20, v15, v[2:3]
	v_mov_b32_e32 v0, v7
	v_mad_u64_u32 v[0:1], s[6:7], s21, v15, v[0:1]
	v_mov_b32_e32 v7, v0
	v_lshl_add_u64 v[0:1], v[6:7], 2, s[4:5]
	s_mul_hi_u32 s4, s20, s26
	s_mul_i32 s5, s20, s27
	s_add_i32 s4, s4, s5
	s_mul_i32 s5, s21, s26
	s_add_i32 s5, s4, s5
	s_cmp_eq_u32 s24, 0
	s_cselect_b64 s[18:19], -1, 0
	s_cmp_lg_u32 s24, 0
	s_mul_i32 s4, s20, s26
	s_cselect_b64 s[22:23], -1, 0
	v_lshl_add_u64 v[10:11], s[4:5], 2, v[0:1]
	s_and_b64 vcc, exec, s[22:23]
	v_cmp_gt_i32_e64 s[4:5], s24, v2
	v_lshlrev_b32_e32 v0, 2, v2
	s_cbranch_vccz .LBB73_17
; %bb.8:
	v_sub_co_u32_e32 v8, vcc, v10, v0
	s_ashr_i32 s25, s24, 31
	s_nop 0
	v_subbrev_co_u32_e32 v9, vcc, 0, v11, vcc
	v_lshl_add_u64 v[8:9], s[24:25], 2, v[8:9]
	v_lshl_add_u64 v[8:9], v[8:9], 0, -4
	v_cndmask_b32_e64 v9, v9, v11, s[4:5]
	v_cndmask_b32_e64 v8, v8, v10, s[4:5]
	v_cmp_gt_i32_e32 vcc, s24, v15
	s_and_saveexec_b64 s[6:7], vcc
	s_cbranch_execz .LBB73_10
; %bb.9:
	global_load_dword v3, v[8:9], off
.LBB73_10:
	s_or_b64 exec, exec, s[6:7]
	v_lshlrev_b32_e32 v1, 2, v2
	s_movk_i32 s6, 0x84
	v_mad_u32_u24 v13, v15, s6, v1
	s_waitcnt vmcnt(0)
	ds_write_b32 v13, v3
	v_add_u32_e32 v3, 8, v15
	v_mul_u32_u24_e32 v12, 0x84, v15
	v_cmp_gt_i32_e32 vcc, s24, v3
	v_mov_b32_e32 v13, 0
	v_mov_b32_e32 v18, 0
	s_and_saveexec_b64 s[6:7], vcc
	s_cbranch_execz .LBB73_12
; %bb.11:
	s_lshl_b64 s[8:9], s[20:21], 5
	v_lshl_add_u64 v[18:19], v[8:9], 0, s[8:9]
	global_load_dword v18, v[18:19], off
.LBB73_12:
	s_or_b64 exec, exec, s[6:7]
	v_add_u32_e32 v3, v12, v1
	v_add_u32_e32 v1, 16, v15
	v_cmp_gt_i32_e32 vcc, s24, v1
	s_waitcnt vmcnt(0)
	ds_write_b32 v3, v18 offset:1056
	s_and_saveexec_b64 s[6:7], vcc
	s_cbranch_execz .LBB73_14
; %bb.13:
	s_lshl_b64 s[8:9], s[20:21], 6
	v_lshl_add_u64 v[12:13], v[8:9], 0, s[8:9]
	global_load_dword v13, v[12:13], off
.LBB73_14:
	s_or_b64 exec, exec, s[6:7]
	v_add_u32_e32 v1, 24, v15
	v_cmp_gt_i32_e32 vcc, s24, v1
	v_mov_b32_e32 v1, 0
	v_mov_b32_e32 v12, 0
	s_waitcnt vmcnt(0)
	ds_write_b32 v3, v13 offset:2112
	s_and_saveexec_b64 s[6:7], vcc
	s_cbranch_execz .LBB73_16
; %bb.15:
	v_mov_b32_e32 v12, 0x60
	v_mad_u64_u32 v[12:13], s[8:9], s20, v12, v[8:9]
	s_mul_i32 s8, s21, 0x60
	s_nop 0
	v_add_u32_e32 v13, s8, v13
	global_load_dword v12, v[12:13], off
.LBB73_16:
	s_or_b64 exec, exec, s[6:7]
	v_lshl_add_u64 v[8:9], v[8:9], 0, v[0:1]
	s_lshl_b64 s[6:7], s[24:25], 2
	v_mov_b32_e32 v1, s7
	v_subrev_co_u32_e32 v8, vcc, s6, v8
	s_waitcnt vmcnt(0)
	ds_write_b32 v3, v12 offset:3168
	v_subb_co_u32_e32 v9, vcc, v9, v1, vcc
	v_lshl_add_u64 v[8:9], v[8:9], 0, 4
	v_cndmask_b32_e64 v9, v9, v11, s[4:5]
	v_cndmask_b32_e64 v8, v8, v10, s[4:5]
	s_branch .LBB73_19
.LBB73_17:
                                        ; implicit-def: $vgpr8_vgpr9
	s_cbranch_execz .LBB73_19
; %bb.18:
	s_lshl_b64 s[4:5], s[20:21], 5
	v_lshl_add_u64 v[8:9], v[10:11], 0, s[4:5]
	v_lshl_add_u64 v[12:13], v[8:9], 0, s[4:5]
	;; [unrolled: 1-line block ×3, first 2 shown]
	global_load_dword v1, v[10:11], off
	global_load_dword v3, v[8:9], off
	;; [unrolled: 1-line block ×4, first 2 shown]
	v_mul_u32_u24_e32 v8, 0x84, v15
	v_lshl_add_u32 v8, v2, 2, v8
	s_waitcnt vmcnt(3)
	ds_write_b32 v8, v1
	s_waitcnt vmcnt(2)
	ds_write_b32 v8, v3 offset:1056
	s_waitcnt vmcnt(1)
	ds_write_b32 v8, v20 offset:2112
	;; [unrolled: 2-line block ×3, first 2 shown]
	v_mov_b64_e32 v[8:9], v[10:11]
.LBB73_19:
	v_lshlrev_b32_e32 v20, 2, v2
	v_lshlrev_b32_e32 v18, 2, v15
	v_lshl_or_b32 v1, v2, 7, v20
	v_cmp_gt_u32_e64 s[6:7], v18, v2
	v_lshl_add_u32 v10, v18, 2, v1
	s_waitcnt lgkmcnt(0)
	s_barrier
	s_and_saveexec_b64 s[4:5], s[6:7]
	s_cbranch_execz .LBB73_21
; %bb.20:
	s_movk_i32 s8, 0x210
	v_mad_u32_u24 v3, v15, s8, v20
	ds_read_b32 v3, v3
	s_waitcnt lgkmcnt(0)
	ds_write_b32 v10, v3
.LBB73_21:
	s_or_b64 exec, exec, s[4:5]
	v_or_b32_e32 v3, 1, v18
	v_cmp_ge_u32_e64 s[8:9], v18, v2
	s_and_saveexec_b64 s[4:5], s[8:9]
	s_cbranch_execz .LBB73_23
; %bb.22:
	s_movk_i32 s10, 0x84
	v_mad_u32_u24 v11, v3, s10, v20
	ds_read_b32 v11, v11
	s_waitcnt lgkmcnt(0)
	ds_write_b32 v10, v11 offset:4
.LBB73_23:
	s_or_b64 exec, exec, s[4:5]
	v_or_b32_e32 v11, 2, v18
	v_cmp_gt_u32_e64 s[10:11], v11, v2
	s_and_saveexec_b64 s[4:5], s[10:11]
	s_cbranch_execz .LBB73_25
; %bb.24:
	s_movk_i32 s12, 0x84
	v_mad_u32_u24 v11, v11, s12, v20
	ds_read_b32 v11, v11
	s_waitcnt lgkmcnt(0)
	ds_write_b32 v10, v11 offset:8
.LBB73_25:
	s_or_b64 exec, exec, s[4:5]
	v_or_b32_e32 v12, 3, v18
	v_cmp_gt_u32_e64 s[12:13], v12, v2
	v_cmp_le_u32_e32 vcc, v12, v2
                                        ; implicit-def: $vgpr11
	s_and_saveexec_b64 s[4:5], vcc
	s_xor_b64 s[4:5], exec, s[4:5]
; %bb.26:
	v_mul_u32_u24_e32 v11, 0x84, v12
                                        ; implicit-def: $vgpr12
                                        ; implicit-def: $vgpr10
; %bb.27:
	s_andn2_saveexec_b64 s[4:5], s[4:5]
	s_cbranch_execz .LBB73_29
; %bb.28:
	s_movk_i32 s16, 0x84
	v_mad_u32_u24 v11, v12, s16, v20
	ds_read_b32 v13, v11
	v_mul_u32_u24_e32 v11, 0x84, v12
	s_waitcnt lgkmcnt(0)
	ds_write_b32 v10, v13 offset:12
.LBB73_29:
	s_or_b64 exec, exec, s[4:5]
	s_movk_i32 s4, 0x210
	v_mad_u32_u24 v10, v15, s4, v20
	s_movk_i32 s4, 0x84
	v_mad_u32_u24 v12, v3, s4, v20
	s_waitcnt lgkmcnt(0)
	s_barrier
	ds_read2_b32 v[22:23], v12 offset1:33
	v_lshlrev_b32_e32 v25, 2, v18
	ds_read_b32 v12, v10
	ds_read_b128 v[26:29], v25 offset:4544
	v_mov_b32_e32 v66, 0
	v_cmp_gt_u32_e64 s[4:5], 32, v14
	s_waitcnt lgkmcnt(2)
	v_mov_b32_e32 v13, v22
	v_add_u32_e32 v22, v20, v11
	ds_read_b32 v11, v22
	s_waitcnt lgkmcnt(1)
	v_pk_mul_f32 v[12:13], v[12:13], v[26:27]
	s_waitcnt lgkmcnt(0)
	v_add_f32_e32 v10, 0, v12
	v_add_f32_e32 v12, v10, v13
	v_mov_b32_e32 v10, v23
	v_pk_mul_f32 v[10:11], v[10:11], v[28:29]
	s_barrier
	v_add_f32_e32 v10, v12, v10
	v_add_f32_e32 v10, v10, v11
	v_mul_u32_u24_e32 v11, 33, v2
	v_lshlrev_b32_e32 v19, 2, v11
	v_lshl_add_u32 v21, v15, 2, v19
	ds_write_b32 v21, v10
	s_waitcnt lgkmcnt(0)
	s_barrier
	s_and_saveexec_b64 s[16:17], s[4:5]
	s_cbranch_execz .LBB73_31
; %bb.30:
	ds_read2_b32 v[10:11], v1 offset1:1
	ds_read2_b32 v[12:13], v1 offset0:2 offset1:3
	ds_read2_b32 v[26:27], v1 offset0:4 offset1:5
	;; [unrolled: 1-line block ×3, first 2 shown]
	s_waitcnt lgkmcnt(3)
	v_add_f32_e32 v1, v10, v11
	s_waitcnt lgkmcnt(2)
	v_add_f32_e32 v1, v1, v12
	v_add_f32_e32 v1, v1, v13
	s_waitcnt lgkmcnt(1)
	v_add_f32_e32 v1, v1, v26
	;; [unrolled: 3-line block ×3, first 2 shown]
	v_add_f32_e32 v66, v1, v29
.LBB73_31:
	s_or_b64 exec, exec, s[16:17]
	s_lshl_b64 s[16:17], s[20:21], 7
	v_lshl_add_u64 v[12:13], v[8:9], 0, s[16:17]
	s_mov_b64 s[16:17], 0x80
	s_lshl_b64 s[30:31], s[20:21], 5
	v_lshl_add_u64 v[8:9], v[12:13], 0, s[16:17]
	s_and_b64 vcc, exec, s[22:23]
	s_barrier
	s_cbranch_vccz .LBB73_41
; %bb.32:
	v_sub_co_u32_e32 v10, vcc, v12, v0
	s_ashr_i32 s25, s24, 31
	s_nop 0
	v_subbrev_co_u32_e32 v11, vcc, 0, v13, vcc
	v_or_b32_e32 v1, 32, v2
	v_lshl_add_u64 v[10:11], s[24:25], 2, v[10:11]
	v_lshl_add_u64 v[10:11], v[10:11], 0, -4
	v_cmp_gt_i32_e32 vcc, s24, v1
	s_sub_i32 s39, s24, 32
	v_mov_b32_e32 v23, 0
	v_cndmask_b32_e32 v11, v11, v9, vcc
	v_cndmask_b32_e32 v10, v10, v8, vcc
	v_cmp_gt_i32_e64 s[16:17], s39, v15
	v_mov_b32_e32 v24, 0
	s_and_saveexec_b64 s[36:37], s[16:17]
	s_cbranch_execz .LBB73_34
; %bb.33:
	global_load_dword v24, v[10:11], off
.LBB73_34:
	s_or_b64 exec, exec, s[36:37]
	s_movk_i32 s16, 0x84
	v_mad_u32_u24 v26, v15, s16, v20
	s_waitcnt vmcnt(0)
	ds_write_b32 v26, v24
	v_add_u32_e32 v24, 8, v15
	v_mul_u32_u24_e32 v1, 0x84, v15
	v_cmp_gt_i32_e64 s[16:17], s39, v24
	s_and_saveexec_b64 s[36:37], s[16:17]
	s_cbranch_execz .LBB73_36
; %bb.35:
	v_lshl_add_u64 v[26:27], v[10:11], 0, s[30:31]
	global_load_dword v23, v[26:27], off
.LBB73_36:
	s_or_b64 exec, exec, s[36:37]
	v_add_u32_e32 v1, v1, v20
	s_waitcnt vmcnt(0)
	ds_write_b32 v1, v23 offset:1056
	v_add_u32_e32 v23, 16, v15
	v_cmp_gt_i32_e64 s[16:17], s39, v23
	v_mov_b32_e32 v23, 0
	v_mov_b32_e32 v24, 0
	s_and_saveexec_b64 s[36:37], s[16:17]
	s_cbranch_execz .LBB73_38
; %bb.37:
	s_lshl_b64 s[16:17], s[20:21], 6
	v_lshl_add_u64 v[26:27], v[10:11], 0, s[16:17]
	global_load_dword v24, v[26:27], off
.LBB73_38:
	s_or_b64 exec, exec, s[36:37]
	s_waitcnt vmcnt(0)
	ds_write_b32 v1, v24 offset:2112
	v_add_u32_e32 v24, 24, v15
	v_cmp_gt_i32_e64 s[16:17], s39, v24
	s_and_saveexec_b64 s[36:37], s[16:17]
	s_cbranch_execz .LBB73_40
; %bb.39:
	v_mov_b32_e32 v23, 0x60
	v_mad_u64_u32 v[26:27], s[16:17], s20, v23, v[10:11]
	s_mul_i32 s16, s21, 0x60
	s_nop 0
	v_add_u32_e32 v27, s16, v27
	global_load_dword v23, v[26:27], off
.LBB73_40:
	s_or_b64 exec, exec, s[36:37]
	s_waitcnt vmcnt(0)
	ds_write_b32 v1, v23 offset:3168
	v_mov_b32_e32 v1, 0
	v_lshl_add_u64 v[10:11], v[10:11], 0, v[0:1]
	s_lshl_b64 s[16:17], s[24:25], 2
	v_mov_b32_e32 v1, s17
	v_subrev_co_u32_e64 v10, s[16:17], s16, v10
	s_nop 1
	v_subb_co_u32_e64 v11, s[16:17], v11, v1, s[16:17]
	s_mov_b64 s[16:17], 0x84
	s_nop 0
	v_lshl_add_u64 v[10:11], v[10:11], 0, s[16:17]
	v_cndmask_b32_e32 v11, v11, v9, vcc
	v_cndmask_b32_e32 v10, v10, v8, vcc
	v_mul_u32_u24_e32 v1, 0x210, v15
	s_branch .LBB73_43
.LBB73_41:
                                        ; implicit-def: $vgpr10_vgpr11
	v_mul_u32_u24_e32 v1, 0x210, v15
	s_cbranch_execz .LBB73_43
; %bb.42:
	v_lshl_add_u64 v[10:11], v[12:13], 0, s[30:31]
	v_lshl_add_u64 v[26:27], v[10:11], 0, s[30:31]
	;; [unrolled: 1-line block ×3, first 2 shown]
	global_load_dword v23, v[12:13], off offset:128
	global_load_dword v24, v[10:11], off offset:128
	;; [unrolled: 1-line block ×4, first 2 shown]
	s_movk_i32 s16, 0x84
	v_mad_u32_u24 v10, v15, s16, v20
	s_waitcnt vmcnt(3)
	ds_write_b32 v10, v23
	s_waitcnt vmcnt(2)
	ds_write_b32 v10, v24 offset:1056
	s_waitcnt vmcnt(1)
	ds_write_b32 v10, v30 offset:2112
	;; [unrolled: 2-line block ×3, first 2 shown]
	v_mov_b64_e32 v[10:11], v[8:9]
.LBB73_43:
	v_mul_u32_u24_e32 v3, 0x84, v3
	v_add_u32_e32 v23, v20, v1
	v_lshl_add_u32 v1, v18, 2, v19
	s_waitcnt lgkmcnt(0)
	s_barrier
	s_and_saveexec_b64 s[16:17], s[6:7]
	s_cbranch_execnz .LBB73_60
; %bb.44:
	s_or_b64 exec, exec, s[16:17]
	v_add_u32_e32 v24, v20, v3
	s_and_saveexec_b64 s[6:7], s[8:9]
	s_cbranch_execnz .LBB73_61
.LBB73_45:
	s_or_b64 exec, exec, s[6:7]
	s_and_saveexec_b64 s[6:7], s[10:11]
	s_cbranch_execnz .LBB73_62
.LBB73_46:
	s_or_b64 exec, exec, s[6:7]
	v_add_u32_e32 v25, 0x11c0, v25
	s_and_saveexec_b64 s[6:7], s[12:13]
	s_cbranch_execz .LBB73_48
.LBB73_47:
	ds_read_b32 v3, v22
	s_waitcnt lgkmcnt(0)
	ds_write_b32 v1, v3 offset:12
.LBB73_48:
	s_or_b64 exec, exec, s[6:7]
	s_waitcnt lgkmcnt(0)
	s_barrier
	ds_read2_b32 v[30:31], v24 offset1:33
	ds_read_b32 v8, v23
	ds_read_b128 v[26:29], v25 offset:128
	ds_read_b32 v13, v22
	v_cmp_eq_u32_e64 s[6:7], 1, v15
	s_waitcnt lgkmcnt(3)
	v_mov_b32_e32 v9, v30
	v_mov_b32_e32 v12, v31
	s_waitcnt lgkmcnt(1)
	v_pk_mul_f32 v[8:9], v[8:9], v[26:27]
	s_waitcnt lgkmcnt(0)
	v_add_f32_e32 v1, 0, v8
	v_add_f32_e32 v1, v1, v9
	v_pk_mul_f32 v[8:9], v[12:13], v[28:29]
	s_barrier
	v_add_f32_e32 v1, v1, v8
	v_add_f32_e32 v1, v1, v9
	ds_write_b32 v21, v1
	s_waitcnt lgkmcnt(0)
	s_barrier
	s_and_saveexec_b64 s[8:9], s[6:7]
	s_cbranch_execz .LBB73_50
; %bb.49:
	ds_read2_b32 v[8:9], v19 offset1:1
	ds_read2_b32 v[12:13], v19 offset0:2 offset1:3
	ds_read2_b32 v[26:27], v19 offset0:4 offset1:5
	ds_read2_b32 v[28:29], v19 offset0:6 offset1:7
	s_waitcnt lgkmcnt(3)
	v_add_f32_e32 v1, v8, v9
	s_waitcnt lgkmcnt(2)
	v_add_f32_e32 v1, v1, v12
	v_add_f32_e32 v1, v1, v13
	s_waitcnt lgkmcnt(1)
	v_add_f32_e32 v1, v1, v26
	;; [unrolled: 3-line block ×3, first 2 shown]
	v_add_f32_e32 v66, v1, v29
.LBB73_50:
	s_or_b64 exec, exec, s[8:9]
	s_movk_i32 s8, 0xff80
	s_mov_b32 s9, -1
	v_lshl_add_u64 v[12:13], v[10:11], 0, s[8:9]
	s_and_b64 vcc, exec, s[22:23]
	s_barrier
	s_cbranch_vccz .LBB73_63
; %bb.51:
	v_sub_co_u32_e32 v26, vcc, v10, v0
	s_ashr_i32 s25, s24, 31
	s_nop 0
	v_subbrev_co_u32_e32 v27, vcc, 0, v11, vcc
	s_movk_i32 s8, 0xff7c
	v_lshl_add_u64 v[26:27], s[24:25], 2, v[26:27]
	s_mov_b32 s9, -1
	v_lshl_add_u64 v[26:27], v[26:27], 0, s[8:9]
	v_cmp_gt_i32_e32 vcc, s24, v2
	s_sub_i32 s12, s24, 32
	v_mov_b32_e32 v8, 0
	v_cndmask_b32_e32 v3, v27, v13, vcc
	v_cndmask_b32_e32 v2, v26, v12, vcc
	v_cmp_gt_i32_e64 s[8:9], s12, v15
	v_mov_b32_e32 v9, 0
	s_and_saveexec_b64 s[10:11], s[8:9]
	s_cbranch_execz .LBB73_53
; %bb.52:
	global_load_dword v9, v[2:3], off
.LBB73_53:
	s_or_b64 exec, exec, s[10:11]
	s_movk_i32 s8, 0x84
	v_mad_u32_u24 v26, v15, s8, v20
	s_waitcnt vmcnt(0)
	ds_write_b32 v26, v9
	v_add_u32_e32 v26, 8, v15
	v_mul_u32_u24_e32 v1, 0x84, v15
	v_cmp_gt_i32_e64 s[8:9], s12, v26
	s_and_saveexec_b64 s[10:11], s[8:9]
	s_cbranch_execz .LBB73_55
; %bb.54:
	v_lshl_add_u64 v[8:9], v[2:3], 0, s[30:31]
	global_load_dword v8, v[8:9], off
.LBB73_55:
	s_or_b64 exec, exec, s[10:11]
	v_add_u32_e32 v1, v1, v20
	v_add_u32_e32 v27, 16, v15
	s_waitcnt vmcnt(0)
	ds_write_b32 v1, v8 offset:1056
	v_cmp_gt_i32_e64 s[8:9], s12, v27
	v_mov_b32_e32 v8, 0
	v_mov_b32_e32 v9, 0
	s_and_saveexec_b64 s[10:11], s[8:9]
	s_cbranch_execz .LBB73_57
; %bb.56:
	s_lshl_b64 s[8:9], s[20:21], 6
	v_lshl_add_u64 v[28:29], v[2:3], 0, s[8:9]
	global_load_dword v9, v[28:29], off
.LBB73_57:
	s_or_b64 exec, exec, s[10:11]
	v_add_u32_e32 v28, 24, v15
	v_cmp_gt_i32_e64 s[8:9], s12, v28
	s_waitcnt vmcnt(0)
	ds_write_b32 v1, v9 offset:2112
	s_and_saveexec_b64 s[10:11], s[8:9]
	s_cbranch_execz .LBB73_59
; %bb.58:
	v_mov_b32_e32 v8, 0x60
	v_mad_u64_u32 v[8:9], s[8:9], s20, v8, v[2:3]
	s_mul_i32 s8, s21, 0x60
	s_nop 0
	v_add_u32_e32 v9, s8, v9
	global_load_dword v8, v[8:9], off
.LBB73_59:
	s_or_b64 exec, exec, s[10:11]
	s_waitcnt vmcnt(0)
	ds_write_b32 v1, v8 offset:3168
	v_mov_b32_e32 v1, 0
	v_lshl_add_u64 v[0:1], v[2:3], 0, v[0:1]
	s_lshl_b64 s[8:9], s[24:25], 2
	v_mov_b32_e32 v2, s9
	v_subrev_co_u32_e64 v0, s[8:9], s8, v0
	s_nop 1
	v_subb_co_u32_e64 v1, s[8:9], v1, v2, s[8:9]
	v_lshl_add_u64 v[0:1], v[0:1], 0, 4
	v_cndmask_b32_e32 v9, v1, v13, vcc
	v_cndmask_b32_e32 v8, v0, v12, vcc
	s_branch .LBB73_65
.LBB73_60:
	ds_read_b32 v8, v23
	s_waitcnt lgkmcnt(0)
	ds_write_b32 v1, v8
	s_or_b64 exec, exec, s[16:17]
	v_add_u32_e32 v24, v20, v3
	s_and_saveexec_b64 s[6:7], s[8:9]
	s_cbranch_execz .LBB73_45
.LBB73_61:
	ds_read_b32 v3, v24
	s_waitcnt lgkmcnt(0)
	ds_write_b32 v1, v3 offset:4
	s_or_b64 exec, exec, s[6:7]
	s_and_saveexec_b64 s[6:7], s[10:11]
	s_cbranch_execz .LBB73_46
.LBB73_62:
	ds_read_b32 v3, v24 offset:132
	s_waitcnt lgkmcnt(0)
	ds_write_b32 v1, v3 offset:8
	s_or_b64 exec, exec, s[6:7]
	v_add_u32_e32 v25, 0x11c0, v25
	s_and_saveexec_b64 s[6:7], s[12:13]
	s_cbranch_execnz .LBB73_47
	s_branch .LBB73_48
.LBB73_63:
                                        ; implicit-def: $vgpr8_vgpr9
                                        ; implicit-def: $vgpr26
                                        ; implicit-def: $vgpr27
                                        ; implicit-def: $vgpr28
	s_cbranch_execz .LBB73_65
; %bb.64:
	v_lshl_add_u64 v[0:1], v[10:11], 0, s[30:31]
	v_lshl_add_u64 v[2:3], v[0:1], 0, s[30:31]
	;; [unrolled: 1-line block ×3, first 2 shown]
	global_load_dword v29, v[10:11], off offset:-128
	global_load_dword v30, v[0:1], off offset:-128
	global_load_dword v31, v[2:3], off offset:-128
	global_load_dword v32, v[8:9], off offset:-128
	s_movk_i32 s8, 0x84
	v_add_u32_e32 v26, 8, v15
	v_add_u32_e32 v27, 16, v15
	;; [unrolled: 1-line block ×3, first 2 shown]
	v_mad_u32_u24 v0, v15, s8, v20
	v_mov_b64_e32 v[8:9], v[12:13]
	s_waitcnt vmcnt(3)
	ds_write_b32 v0, v29
	s_waitcnt vmcnt(2)
	ds_write_b32 v0, v30 offset:1056
	s_waitcnt vmcnt(1)
	ds_write_b32 v0, v31 offset:2112
	s_waitcnt vmcnt(0)
	ds_write_b32 v0, v32 offset:3168
.LBB73_65:
	v_add_u32_e32 v0, v19, v18
	s_waitcnt lgkmcnt(0)
	s_barrier
	ds_read_b32 v10, v0
	ds_read_b32 v30, v18 offset:4544
	v_lshlrev_b32_e32 v0, 2, v26
	v_lshlrev_b32_e32 v2, 2, v27
	v_add_u32_e32 v1, v19, v0
	v_add_u32_e32 v3, v19, v2
	v_lshlrev_b32_e32 v13, 2, v28
	v_add_u32_e32 v15, v19, v13
	ds_read_b32 v11, v1
	ds_read_b32 v26, v3
	;; [unrolled: 1-line block ×3, first 2 shown]
	ds_read_b32 v29, v13 offset:4544
	ds_read_b32 v28, v2 offset:4544
	;; [unrolled: 1-line block ×3, first 2 shown]
	ds_read_b32 v27, v15
	ds_read_b128 v[0:3], v25 offset:128
	ds_read_b32 v13, v22
	s_waitcnt lgkmcnt(3)
	v_pk_mul_f32 v[22:23], v[10:11], v[30:31]
	ds_read2_b32 v[10:11], v24 offset1:33
	v_add_f32_e32 v15, 0, v22
	s_waitcnt lgkmcnt(3)
	v_pk_mul_f32 v[26:27], v[26:27], v[28:29]
	v_add_f32_e32 v15, v15, v23
	v_add_f32_e32 v15, v15, v26
	;; [unrolled: 1-line block ×3, first 2 shown]
	s_waitcnt lgkmcnt(0)
	s_barrier
	ds_write_b32 v21, v15
	s_waitcnt lgkmcnt(0)
	s_barrier
	s_and_saveexec_b64 s[8:9], s[6:7]
	s_cbranch_execz .LBB73_67
; %bb.66:
	ds_read2_b32 v[22:23], v19 offset1:1
	ds_read2_b32 v[24:25], v19 offset0:2 offset1:3
	ds_read2_b32 v[26:27], v19 offset0:4 offset1:5
	;; [unrolled: 1-line block ×3, first 2 shown]
	s_waitcnt lgkmcnt(3)
	v_add_f32_e32 v15, v66, v22
	v_add_f32_e32 v15, v15, v23
	s_waitcnt lgkmcnt(2)
	v_add_f32_e32 v15, v15, v24
	v_add_f32_e32 v15, v15, v25
	;; [unrolled: 3-line block ×4, first 2 shown]
.LBB73_67:
	s_or_b64 exec, exec, s[8:9]
	v_fma_f32 v0, v12, v0, 0
	v_fmac_f32_e32 v0, v10, v1
	v_fmac_f32_e32 v0, v11, v2
	;; [unrolled: 1-line block ×3, first 2 shown]
	s_barrier
	ds_write_b32 v21, v0
	s_waitcnt lgkmcnt(0)
	s_barrier
	s_and_saveexec_b64 s[6:7], s[4:5]
	s_cbranch_execz .LBB73_69
; %bb.68:
	ds_read2_b32 v[0:1], v19 offset1:1
	ds_read2_b32 v[2:3], v19 offset0:2 offset1:3
	ds_read2_b32 v[10:11], v19 offset0:4 offset1:5
	;; [unrolled: 1-line block ×3, first 2 shown]
	s_waitcnt lgkmcnt(3)
	v_add_f32_e32 v0, v66, v0
	v_add_f32_e32 v0, v0, v1
	s_waitcnt lgkmcnt(2)
	v_add_f32_e32 v0, v0, v2
	v_add_f32_e32 v0, v0, v3
	;; [unrolled: 3-line block ×4, first 2 shown]
.LBB73_69:
	s_or_b64 exec, exec, s[6:7]
	s_load_dwordx2 s[0:1], s[0:1], 0x60
	s_mul_hi_u32 s4, s34, s3
	s_mul_i32 s38, s38, s3
	s_add_i32 s4, s4, s38
	s_mul_i32 s3, s34, s3
	s_mul_i32 s4, s4, s33
	s_mul_hi_u32 s5, s3, s33
	s_add_i32 s5, s5, s4
	s_mul_i32 s4, s3, s33
	s_lshl_b64 s[4:5], s[4:5], 2
	s_waitcnt lgkmcnt(0)
	s_add_u32 s3, s0, s4
	s_addc_u32 s4, s1, s5
	s_mul_hi_i32 s1, s34, s2
	s_mul_i32 s0, s34, s2
	s_lshl_b64 s[0:1], s[0:1], 2
	s_add_u32 s6, s3, s0
	s_addc_u32 s7, s4, s1
	s_add_i32 s0, s2, 1
	s_cmp_ge_u32 s0, s33
	v_lshlrev_b32_e32 v18, 2, v64
	s_barrier
	s_cbranch_scc1 .LBB73_126
; %bb.70:
	s_mul_i32 s0, s28, s27
	s_mul_hi_u32 s1, s28, s26
	s_add_i32 s0, s1, s0
	s_mul_i32 s1, s29, s26
	s_add_i32 s1, s0, s1
	s_mul_i32 s0, s28, s26
	s_lshl_b64 s[0:1], s[0:1], 2
	v_mov_b32_e32 v0, s1
	v_subrev_co_u32_e32 v20, vcc, s0, v4
	v_lshrrev_b32_e32 v1, 2, v14
	s_nop 0
	v_subb_co_u32_e32 v21, vcc, v5, v0, vcc
	v_and_b32_e32 v0, 15, v64
	s_movk_i32 s4, 0x10c
	v_and_b32_e32 v1, 0x7ffc, v1
	v_mad_u32_u24 v72, v0, s4, v1
	v_and_b32_e32 v1, 48, v64
	v_lshlrev_b32_e32 v19, 4, v65
	v_lshlrev_b32_e32 v1, 2, v1
	v_mad_u32_u24 v73, v0, s4, v1
	v_or_b32_e32 v1, 60, v18
	v_add_u32_e32 v3, 0x80, v19
	v_mul_u32_u24_e32 v54, 0x10c, v0
	v_mad_u32_u24 v74, v0, s4, v1
	v_mad_u64_u32 v[0:1], s[4:5], s20, v3, 0
	v_mov_b32_e32 v2, v1
	v_lshlrev_b64 v[4:5], 2, v[6:7]
	v_mad_u64_u32 v[2:3], s[4:5], s21, v3, v[2:3]
	v_sub_co_u32_e32 v0, vcc, v0, v4
	v_add_u32_e32 v7, 0x88, v19
	s_nop 0
	v_subb_co_u32_e32 v1, vcc, v2, v5, vcc
	v_mad_u64_u32 v[2:3], s[4:5], s20, v7, 0
	v_mov_b32_e32 v6, v3
	v_mad_u64_u32 v[6:7], s[4:5], s21, v7, v[6:7]
	v_sub_co_u32_e32 v2, vcc, v2, v4
	v_add_u32_e32 v11, 0x8c, v19
	s_nop 0
	v_subb_co_u32_e32 v3, vcc, v6, v5, vcc
	v_mad_u64_u32 v[6:7], s[4:5], s20, v11, 0
	v_mov_b32_e32 v10, v7
	;; [unrolled: 7-line block ×3, first 2 shown]
	v_mad_u64_u32 v[12:13], s[4:5], s21, v13, v[12:13]
	v_sub_co_u32_e32 v10, vcc, v10, v4
	v_add_u32_e32 v15, 0xc0, v19
	s_movk_i32 s0, 0x430
	v_subb_co_u32_e32 v11, vcc, v12, v5, vcc
	v_mad_u64_u32 v[12:13], s[4:5], s20, v15, 0
	v_mad_u32_u24 v71, v65, s0, v18
	v_and_b32_e32 v55, 0x1fff0, v14
	v_cmp_gt_u32_e64 s[0:1], 64, v14
	v_mov_b32_e32 v14, v13
	v_mad_u64_u32 v[14:15], s[4:5], s21, v15, v[14:15]
	v_sub_co_u32_e32 v12, vcc, v12, v4
	v_add_u32_e32 v23, 0xc4, v19
	s_nop 0
	v_subb_co_u32_e32 v13, vcc, v14, v5, vcc
	v_mad_u64_u32 v[14:15], s[4:5], s20, v23, 0
	v_mov_b32_e32 v22, v15
	v_mad_u64_u32 v[22:23], s[4:5], s21, v23, v[22:23]
	v_sub_co_u32_e32 v14, vcc, v14, v4
	v_add_u32_e32 v25, 0xc8, v19
	s_nop 0
	v_subb_co_u32_e32 v15, vcc, v22, v5, vcc
	v_mad_u64_u32 v[22:23], s[4:5], s20, v25, 0
	v_mov_b32_e32 v24, v23
	v_mad_u64_u32 v[24:25], s[4:5], s21, v25, v[24:25]
	v_add_u32_e32 v25, 0xcc, v19
	v_sub_co_u32_e32 v34, vcc, v22, v4
	v_mad_u64_u32 v[22:23], s[4:5], s20, v25, 0
	s_nop 0
	v_subb_co_u32_e32 v35, vcc, v24, v5, vcc
	v_mov_b32_e32 v24, v23
	v_mad_u64_u32 v[24:25], s[4:5], s21, v25, v[24:25]
	v_add_u32_e32 v25, 0x100, v19
	v_sub_co_u32_e32 v36, vcc, v22, v4
	v_mad_u64_u32 v[22:23], s[4:5], s20, v25, 0
	s_nop 0
	v_subb_co_u32_e32 v37, vcc, v24, v5, vcc
	;; [unrolled: 7-line block ×7, first 2 shown]
	v_mov_b32_e32 v24, v23
	v_mad_u64_u32 v[24:25], s[4:5], s21, v25, v[24:25]
	v_add_u32_e32 v25, 0x148, v19
	v_sub_co_u32_e32 v48, vcc, v22, v4
	v_mad_u64_u32 v[22:23], s[4:5], s20, v25, 0
	v_add_u32_e32 v69, 0x10c0, v19
	v_subb_co_u32_e32 v49, vcc, v24, v5, vcc
	v_mov_b32_e32 v24, v23
	v_add_u32_e32 v19, 0x14c, v19
	v_mad_u64_u32 v[24:25], s[4:5], s21, v25, v[24:25]
	v_sub_co_u32_e32 v50, vcc, v22, v4
	v_mad_u64_u32 v[22:23], s[4:5], s20, v19, 0
	s_nop 0
	v_subb_co_u32_e32 v51, vcc, v24, v5, vcc
	v_mov_b32_e32 v24, v23
	v_mad_u64_u32 v[24:25], s[4:5], s21, v19, v[24:25]
	v_sub_co_u32_e32 v4, vcc, v22, v4
	v_lshlrev_b32_e32 v67, 2, v65
	s_nop 0
	v_subb_co_u32_e32 v5, vcc, v24, v5, vcc
	s_add_i32 s3, s33, -2
	v_add_u32_e32 v68, 0x10c0, v18
	v_add_u32_e32 v70, 0x11c0, v18
	v_lshl_add_u64 v[22:23], v[8:9], 0, v[0:1]
	v_lshl_add_u64 v[24:25], v[8:9], 0, v[2:3]
	;; [unrolled: 1-line block ×16, first 2 shown]
	v_add_u32_e32 v75, v54, v55
	s_add_i32 s16, s26, 64
	v_mov_b32_e32 v19, 0
	s_lshl_b64 s[8:9], s[20:21], 8
	v_add_u32_e32 v76, 50, v67
	v_add_u32_e32 v77, 51, v67
	s_cmp_eq_u32 s3, s2
	s_cselect_b32 s17, s35, 0
	s_and_saveexec_b64 s[4:5], s[14:15]
	s_cbranch_execz .LBB73_74
.LBB73_71:
	s_cmp_eq_u32 s17, 0
	s_cselect_b64 s[10:11], -1, 0
	v_cmp_gt_i32_e32 vcc, s17, v64
	s_or_b64 s[12:13], s[10:11], vcc
	v_mov_b32_e32 v0, 0
	s_and_saveexec_b64 s[10:11], s[12:13]
	s_cbranch_execz .LBB73_73
; %bb.72:
	s_ashr_i32 s12, s16, 31
	s_mul_hi_u32 s13, s28, s16
	s_mul_i32 s12, s28, s12
	s_add_i32 s12, s13, s12
	s_mul_i32 s13, s29, s16
	s_add_i32 s13, s12, s13
	s_mul_i32 s12, s28, s16
	v_lshl_add_u64 v[0:1], s[12:13], 2, v[20:21]
	global_load_dword v0, v[0:1], off
.LBB73_73:
	s_or_b64 exec, exec, s[10:11]
	s_waitcnt vmcnt(0)
	ds_write_b32 v68, v0
.LBB73_74:                              ; =>This Inner Loop Header: Depth=1
	s_or_b64 exec, exec, s[4:5]
	s_cmp_eq_u32 s17, 0
	s_cselect_b64 s[10:11], -1, 0
	s_cmp_lg_u32 s17, 0
	s_cselect_b64 s[12:13], -1, 0
	v_lshl_add_u64 v[0:1], v[22:23], 0, v[18:19]
	s_mov_b64 s[4:5], -1
	s_and_b64 vcc, exec, s[12:13]
	s_waitcnt lgkmcnt(0)
	s_barrier
                                        ; implicit-def: $vgpr80
                                        ; implicit-def: $vgpr81
                                        ; implicit-def: $vgpr78
                                        ; implicit-def: $vgpr79
	s_cbranch_vccz .LBB73_84
; %bb.75:                               ;   in Loop: Header=BB73_74 Depth=1
	v_cmp_gt_i32_e32 vcc, s17, v67
	v_mov_b32_e32 v78, 0
	v_mov_b32_e32 v79, 0
	s_and_saveexec_b64 s[4:5], vcc
	s_cbranch_execz .LBB73_77
; %bb.76:                               ;   in Loop: Header=BB73_74 Depth=1
	global_load_dword v79, v[0:1], off
.LBB73_77:                              ;   in Loop: Header=BB73_74 Depth=1
	s_or_b64 exec, exec, s[4:5]
	v_or_b32_e32 v2, 1, v67
	v_cmp_gt_i32_e32 vcc, s17, v2
	s_and_saveexec_b64 s[4:5], vcc
	s_cbranch_execz .LBB73_79
; %bb.78:                               ;   in Loop: Header=BB73_74 Depth=1
	v_lshl_add_u64 v[2:3], v[28:29], 0, v[18:19]
	global_load_dword v78, v[2:3], off
.LBB73_79:                              ;   in Loop: Header=BB73_74 Depth=1
	s_or_b64 exec, exec, s[4:5]
	v_or_b32_e32 v2, 2, v67
	v_cmp_gt_i32_e32 vcc, s17, v2
	v_mov_b32_e32 v80, 0
	v_mov_b32_e32 v81, 0
	s_and_saveexec_b64 s[4:5], vcc
	s_cbranch_execz .LBB73_81
; %bb.80:                               ;   in Loop: Header=BB73_74 Depth=1
	v_lshl_add_u64 v[2:3], v[24:25], 0, v[18:19]
	global_load_dword v81, v[2:3], off
.LBB73_81:                              ;   in Loop: Header=BB73_74 Depth=1
	s_or_b64 exec, exec, s[4:5]
	v_or_b32_e32 v2, 3, v67
	v_cmp_gt_i32_e32 vcc, s17, v2
	s_and_saveexec_b64 s[4:5], vcc
	s_cbranch_execz .LBB73_83
; %bb.82:                               ;   in Loop: Header=BB73_74 Depth=1
	v_lshl_add_u64 v[2:3], v[26:27], 0, v[18:19]
	global_load_dword v80, v[2:3], off
.LBB73_83:                              ;   in Loop: Header=BB73_74 Depth=1
	s_or_b64 exec, exec, s[4:5]
	s_mov_b64 s[4:5], 0
.LBB73_84:                              ;   in Loop: Header=BB73_74 Depth=1
	s_and_b64 vcc, exec, s[4:5]
	s_cbranch_vccz .LBB73_86
; %bb.85:                               ;   in Loop: Header=BB73_74 Depth=1
	global_load_dword v79, v[0:1], off
	v_lshl_add_u64 v[0:1], v[28:29], 0, v[18:19]
	global_load_dword v78, v[0:1], off
	v_lshl_add_u64 v[0:1], v[24:25], 0, v[18:19]
	;; [unrolled: 2-line block ×3, first 2 shown]
	global_load_dword v80, v[0:1], off
.LBB73_86:                              ;   in Loop: Header=BB73_74 Depth=1
	ds_read_b32 v4, v70
	ds_read_b128 v[0:3], v69
	s_andn2_b64 vcc, exec, s[12:13]
                                        ; implicit-def: $vgpr84
                                        ; implicit-def: $vgpr85
                                        ; implicit-def: $vgpr82
                                        ; implicit-def: $vgpr83
	s_waitcnt vmcnt(0) lgkmcnt(1)
	v_mul_f32_e32 v5, v79, v4
	v_mul_f32_e32 v6, v78, v4
	;; [unrolled: 1-line block ×4, first 2 shown]
	ds_write2_b32 v71, v5, v6 offset1:67
	ds_write2_b32 v71, v7, v4 offset0:134 offset1:201
	s_waitcnt lgkmcnt(0)
	s_barrier
	ds_read2_b32 v[56:57], v75 offset1:1
	ds_read2_b32 v[54:55], v75 offset0:2 offset1:3
	v_cndmask_b32_e64 v6, 0, 1, s[12:13]
	v_lshl_add_u64 v[4:5], v[30:31], 0, v[18:19]
	v_cmp_ne_u32_e64 s[4:5], 1, v6
	s_mov_b64 s[12:13], -1
	s_waitcnt lgkmcnt(0)
	s_barrier
	s_cbranch_vccnz .LBB73_96
; %bb.87:                               ;   in Loop: Header=BB73_74 Depth=1
	v_add_u32_e32 v6, 16, v67
	v_cmp_gt_i32_e32 vcc, s17, v6
	v_mov_b32_e32 v82, 0
	v_mov_b32_e32 v83, 0
	s_and_saveexec_b64 s[12:13], vcc
	s_cbranch_execz .LBB73_89
; %bb.88:                               ;   in Loop: Header=BB73_74 Depth=1
	global_load_dword v83, v[4:5], off
.LBB73_89:                              ;   in Loop: Header=BB73_74 Depth=1
	s_or_b64 exec, exec, s[12:13]
	v_add_u32_e32 v6, 17, v67
	v_cmp_gt_i32_e32 vcc, s17, v6
	s_and_saveexec_b64 s[12:13], vcc
	s_cbranch_execz .LBB73_91
; %bb.90:                               ;   in Loop: Header=BB73_74 Depth=1
	v_lshl_add_u64 v[6:7], v[32:33], 0, v[18:19]
	global_load_dword v82, v[6:7], off
.LBB73_91:                              ;   in Loop: Header=BB73_74 Depth=1
	s_or_b64 exec, exec, s[12:13]
	v_add_u32_e32 v6, 18, v67
	v_cmp_gt_i32_e32 vcc, s17, v6
	v_mov_b32_e32 v84, 0
	v_mov_b32_e32 v85, 0
	s_and_saveexec_b64 s[12:13], vcc
	s_cbranch_execz .LBB73_93
; %bb.92:                               ;   in Loop: Header=BB73_74 Depth=1
	v_lshl_add_u64 v[6:7], v[34:35], 0, v[18:19]
	global_load_dword v85, v[6:7], off
.LBB73_93:                              ;   in Loop: Header=BB73_74 Depth=1
	s_or_b64 exec, exec, s[12:13]
	v_add_u32_e32 v6, 19, v67
	v_cmp_gt_i32_e32 vcc, s17, v6
	s_and_saveexec_b64 s[12:13], vcc
	s_cbranch_execz .LBB73_95
; %bb.94:                               ;   in Loop: Header=BB73_74 Depth=1
	v_lshl_add_u64 v[6:7], v[36:37], 0, v[18:19]
	global_load_dword v84, v[6:7], off
.LBB73_95:                              ;   in Loop: Header=BB73_74 Depth=1
	s_or_b64 exec, exec, s[12:13]
	s_mov_b64 s[12:13], 0
.LBB73_96:                              ;   in Loop: Header=BB73_74 Depth=1
	s_and_b64 vcc, exec, s[12:13]
	s_cbranch_vccz .LBB73_98
; %bb.97:                               ;   in Loop: Header=BB73_74 Depth=1
	global_load_dword v83, v[4:5], off
	v_lshl_add_u64 v[4:5], v[32:33], 0, v[18:19]
	global_load_dword v82, v[4:5], off
	v_lshl_add_u64 v[4:5], v[34:35], 0, v[18:19]
	;; [unrolled: 2-line block ×3, first 2 shown]
	global_load_dword v84, v[4:5], off
.LBB73_98:                              ;   in Loop: Header=BB73_74 Depth=1
	ds_read_b32 v8, v70
	ds_read_b128 v[4:7], v69 offset:64
	s_and_b64 vcc, exec, s[4:5]
	s_mov_b64 s[12:13], -1
                                        ; implicit-def: $vgpr88
                                        ; implicit-def: $vgpr89
                                        ; implicit-def: $vgpr86
                                        ; implicit-def: $vgpr87
	s_waitcnt vmcnt(0) lgkmcnt(1)
	v_mul_f32_e32 v9, v83, v8
	v_mul_f32_e32 v10, v82, v8
	;; [unrolled: 1-line block ×4, first 2 shown]
	ds_write2_b32 v71, v9, v10 offset1:67
	ds_write2_b32 v71, v11, v8 offset0:134 offset1:201
	s_waitcnt lgkmcnt(0)
	s_barrier
	ds_read2_b32 v[14:15], v75 offset1:1
	ds_read2_b32 v[12:13], v75 offset0:2 offset1:3
	v_lshl_add_u64 v[8:9], v[38:39], 0, v[18:19]
	s_waitcnt lgkmcnt(0)
	s_barrier
	s_cbranch_vccnz .LBB73_108
; %bb.99:                               ;   in Loop: Header=BB73_74 Depth=1
	v_add_u32_e32 v10, 32, v67
	v_cmp_gt_i32_e32 vcc, s17, v10
	v_mov_b32_e32 v86, 0
	v_mov_b32_e32 v87, 0
	s_and_saveexec_b64 s[12:13], vcc
	s_cbranch_execz .LBB73_101
; %bb.100:                              ;   in Loop: Header=BB73_74 Depth=1
	global_load_dword v87, v[8:9], off
.LBB73_101:                             ;   in Loop: Header=BB73_74 Depth=1
	s_or_b64 exec, exec, s[12:13]
	v_add_u32_e32 v10, 33, v67
	v_cmp_gt_i32_e32 vcc, s17, v10
	s_and_saveexec_b64 s[12:13], vcc
	s_cbranch_execz .LBB73_103
; %bb.102:                              ;   in Loop: Header=BB73_74 Depth=1
	v_lshl_add_u64 v[10:11], v[40:41], 0, v[18:19]
	global_load_dword v86, v[10:11], off
.LBB73_103:                             ;   in Loop: Header=BB73_74 Depth=1
	s_or_b64 exec, exec, s[12:13]
	v_add_u32_e32 v10, 34, v67
	v_cmp_gt_i32_e32 vcc, s17, v10
	v_mov_b32_e32 v88, 0
	v_mov_b32_e32 v89, 0
	s_and_saveexec_b64 s[12:13], vcc
	s_cbranch_execz .LBB73_105
; %bb.104:                              ;   in Loop: Header=BB73_74 Depth=1
	v_lshl_add_u64 v[10:11], v[42:43], 0, v[18:19]
	global_load_dword v89, v[10:11], off
.LBB73_105:                             ;   in Loop: Header=BB73_74 Depth=1
	s_or_b64 exec, exec, s[12:13]
	v_add_u32_e32 v10, 35, v67
	v_cmp_gt_i32_e32 vcc, s17, v10
	s_and_saveexec_b64 s[12:13], vcc
	s_cbranch_execz .LBB73_107
; %bb.106:                              ;   in Loop: Header=BB73_74 Depth=1
	v_lshl_add_u64 v[10:11], v[44:45], 0, v[18:19]
	global_load_dword v88, v[10:11], off
.LBB73_107:                             ;   in Loop: Header=BB73_74 Depth=1
	s_or_b64 exec, exec, s[12:13]
	s_mov_b64 s[12:13], 0
.LBB73_108:                             ;   in Loop: Header=BB73_74 Depth=1
	s_and_b64 vcc, exec, s[12:13]
	s_cbranch_vccz .LBB73_110
; %bb.109:                              ;   in Loop: Header=BB73_74 Depth=1
	global_load_dword v87, v[8:9], off
	v_lshl_add_u64 v[8:9], v[40:41], 0, v[18:19]
	global_load_dword v86, v[8:9], off
	v_lshl_add_u64 v[8:9], v[42:43], 0, v[18:19]
	;; [unrolled: 2-line block ×3, first 2 shown]
	global_load_dword v88, v[8:9], off
.LBB73_110:                             ;   in Loop: Header=BB73_74 Depth=1
	ds_read_b32 v58, v70
	ds_read_b128 v[8:11], v69 offset:128
	v_lshl_add_u64 v[62:63], v[46:47], 0, v[18:19]
	s_and_b64 vcc, exec, s[4:5]
	s_mov_b64 s[4:5], -1
	s_waitcnt vmcnt(0) lgkmcnt(1)
	v_mul_f32_e32 v59, v87, v58
	v_mul_f32_e32 v60, v86, v58
	;; [unrolled: 1-line block ×4, first 2 shown]
	ds_write2_b32 v71, v59, v60 offset1:67
	ds_write2_b32 v71, v61, v58 offset0:134 offset1:201
	s_waitcnt lgkmcnt(0)
	s_barrier
	ds_read2_b32 v[60:61], v75 offset1:1
	ds_read2_b32 v[58:59], v75 offset0:2 offset1:3
	s_waitcnt lgkmcnt(0)
	s_barrier
                                        ; implicit-def: $vgpr92
                                        ; implicit-def: $vgpr93
                                        ; implicit-def: $vgpr90
                                        ; implicit-def: $vgpr91
	s_cbranch_vccnz .LBB73_120
; %bb.111:                              ;   in Loop: Header=BB73_74 Depth=1
	v_add_u32_e32 v90, 48, v67
	v_cmp_gt_i32_e32 vcc, s17, v90
	v_mov_b32_e32 v90, 0
	v_mov_b32_e32 v91, 0
	s_and_saveexec_b64 s[4:5], vcc
	s_cbranch_execz .LBB73_113
; %bb.112:                              ;   in Loop: Header=BB73_74 Depth=1
	global_load_dword v91, v[62:63], off
.LBB73_113:                             ;   in Loop: Header=BB73_74 Depth=1
	s_or_b64 exec, exec, s[4:5]
	v_add_u32_e32 v92, 49, v67
	v_cmp_gt_i32_e32 vcc, s17, v92
	s_and_saveexec_b64 s[4:5], vcc
	s_cbranch_execz .LBB73_115
; %bb.114:                              ;   in Loop: Header=BB73_74 Depth=1
	v_lshl_add_u64 v[92:93], v[48:49], 0, v[18:19]
	global_load_dword v90, v[92:93], off
.LBB73_115:                             ;   in Loop: Header=BB73_74 Depth=1
	s_or_b64 exec, exec, s[4:5]
	v_cmp_gt_i32_e32 vcc, s17, v76
	v_mov_b32_e32 v92, 0
	v_mov_b32_e32 v93, 0
	s_and_saveexec_b64 s[4:5], vcc
	s_cbranch_execz .LBB73_117
; %bb.116:                              ;   in Loop: Header=BB73_74 Depth=1
	v_lshl_add_u64 v[94:95], v[50:51], 0, v[18:19]
	global_load_dword v93, v[94:95], off
.LBB73_117:                             ;   in Loop: Header=BB73_74 Depth=1
	s_or_b64 exec, exec, s[4:5]
	v_cmp_gt_i32_e32 vcc, s17, v77
	s_and_saveexec_b64 s[4:5], vcc
	s_cbranch_execz .LBB73_119
; %bb.118:                              ;   in Loop: Header=BB73_74 Depth=1
	v_lshl_add_u64 v[94:95], v[52:53], 0, v[18:19]
	global_load_dword v92, v[94:95], off
.LBB73_119:                             ;   in Loop: Header=BB73_74 Depth=1
	s_or_b64 exec, exec, s[4:5]
	s_mov_b64 s[4:5], 0
.LBB73_120:                             ;   in Loop: Header=BB73_74 Depth=1
	s_and_b64 vcc, exec, s[4:5]
	s_cbranch_vccz .LBB73_122
; %bb.121:                              ;   in Loop: Header=BB73_74 Depth=1
	global_load_dword v91, v[62:63], off
	v_lshl_add_u64 v[62:63], v[48:49], 0, v[18:19]
	global_load_dword v90, v[62:63], off
	v_lshl_add_u64 v[62:63], v[50:51], 0, v[18:19]
	;; [unrolled: 2-line block ×3, first 2 shown]
	global_load_dword v92, v[62:63], off
.LBB73_122:                             ;   in Loop: Header=BB73_74 Depth=1
	v_add_f32_e32 v60, 0, v60
	v_add_f32_e32 v60, v60, v61
	;; [unrolled: 1-line block ×4, first 2 shown]
	ds_read_b32 v58, v70
	v_add_f32_e32 v14, 0, v14
	v_add_f32_e32 v14, v14, v15
	;; [unrolled: 1-line block ×4, first 2 shown]
	ds_read_b128 v[12:15], v69 offset:192
	s_waitcnt vmcnt(0) lgkmcnt(1)
	v_mul_f32_e32 v59, v91, v58
	v_mul_f32_e32 v62, v90, v58
	ds_write2_b32 v71, v59, v62 offset1:67
	v_mul_f32_e32 v59, v93, v58
	v_mul_f32_e32 v58, v92, v58
	ds_write2_b32 v71, v59, v58 offset0:134 offset1:201
	s_waitcnt lgkmcnt(0)
	s_barrier
	ds_read2_b32 v[58:59], v75 offset1:1
	v_add_f32_e32 v56, 0, v56
	v_add_f32_e32 v62, v56, v57
	ds_read2_b32 v[56:57], v75 offset0:2 offset1:3
	v_add_f32_e32 v54, v62, v54
	v_add_f32_e32 v54, v54, v55
	s_waitcnt lgkmcnt(1)
	v_add_f32_e32 v55, 0, v58
	v_cmp_gt_i32_e32 vcc, s17, v64
	v_add_f32_e32 v55, v55, v59
	s_or_b64 s[4:5], s[10:11], vcc
	s_waitcnt lgkmcnt(0)
	v_add_f32_e32 v55, v55, v56
	s_and_b64 s[10:11], s[0:1], s[4:5]
	v_add_f32_e32 v55, v55, v57
	s_barrier
	ds_write2_b32 v72, v54, v61 offset1:16
	ds_write2_b32 v72, v60, v55 offset0:32 offset1:48
	s_waitcnt lgkmcnt(0)
	s_barrier
	s_and_saveexec_b64 s[4:5], s[10:11]
	s_cbranch_execz .LBB73_124
; %bb.123:                              ;   in Loop: Header=BB73_74 Depth=1
	ds_read2_b32 v[54:55], v73 offset1:1
	ds_read2_b32 v[56:57], v73 offset0:2 offset1:3
	ds_read2_b32 v[58:59], v73 offset0:4 offset1:5
	;; [unrolled: 1-line block ×4, first 2 shown]
	s_waitcnt lgkmcnt(4)
	v_add_f32_e32 v54, v54, v55
	s_waitcnt lgkmcnt(3)
	v_add_f32_e32 v54, v54, v56
	v_add_f32_e32 v54, v54, v57
	s_waitcnt lgkmcnt(2)
	v_add_f32_e32 v54, v54, v58
	;; [unrolled: 3-line block ×3, first 2 shown]
	v_add_f32_e32 v58, v54, v61
	ds_read2_b32 v[54:55], v73 offset0:10 offset1:11
	ds_read2_b32 v[56:57], v73 offset0:12 offset1:13
	ds_read_b32 v59, v73 offset:56
	s_waitcnt lgkmcnt(3)
	v_add_f32_e32 v58, v58, v62
	v_add_f32_e32 v58, v58, v63
	s_waitcnt lgkmcnt(2)
	v_add_f32_e32 v54, v58, v54
	ds_read_b32 v58, v74
	v_add_f32_e32 v54, v54, v55
	s_waitcnt lgkmcnt(2)
	v_add_f32_e32 v54, v54, v56
	v_add_f32_e32 v54, v54, v57
	s_waitcnt lgkmcnt(1)
	v_add_f32_e32 v54, v54, v59
	s_waitcnt lgkmcnt(0)
	v_add_f32_e32 v56, v54, v58
	v_add_u32_e32 v54, s16, v64
	v_ashrrev_i32_e32 v55, 31, v54
	v_lshl_add_u64 v[54:55], v[54:55], 2, s[6:7]
	global_store_dword v[54:55], v56, off
.LBB73_124:                             ;   in Loop: Header=BB73_74 Depth=1
	s_or_b64 exec, exec, s[4:5]
	v_fmac_f32_e32 v66, v79, v0
	v_fmac_f32_e32 v66, v78, v1
	;; [unrolled: 1-line block ×15, first 2 shown]
	s_add_i32 s4, s2, 1
	s_add_i32 s16, s16, 64
	;; [unrolled: 1-line block ×3, first 2 shown]
	v_fmac_f32_e32 v66, v92, v15
	v_lshl_add_u64 v[22:23], v[22:23], 0, s[8:9]
	v_lshl_add_u64 v[24:25], v[24:25], 0, s[8:9]
	;; [unrolled: 1-line block ×15, first 2 shown]
	s_cmp_ge_u32 s2, s33
	v_lshl_add_u64 v[52:53], v[52:53], 0, s[8:9]
	s_barrier
	s_cbranch_scc1 .LBB73_126
; %bb.125:                              ;   in Loop: Header=BB73_74 Depth=1
	s_mov_b32 s2, s4
	s_cmp_eq_u32 s3, s2
	s_cselect_b32 s17, s35, 0
	s_and_saveexec_b64 s[4:5], s[14:15]
	s_cbranch_execnz .LBB73_71
	s_branch .LBB73_74
.LBB73_126:
	s_movk_i32 s0, 0x10c
	v_cmp_gt_i32_e32 vcc, s24, v64
	v_mad_u32_u24 v0, v65, s0, v18
	s_or_b64 s[0:1], s[18:19], vcc
	s_and_b64 s[0:1], s[14:15], s[0:1]
	ds_write_b32 v0, v66
	s_waitcnt lgkmcnt(0)
	s_barrier
	s_and_saveexec_b64 s[2:3], s[0:1]
	s_cbranch_execz .LBB73_128
; %bb.127:
	ds_read2_b32 v[0:1], v18 offset1:67
	ds_read2_b32 v[2:3], v18 offset0:134 offset1:201
	s_waitcnt lgkmcnt(1)
	v_add_f32_e32 v0, v0, v1
	s_waitcnt lgkmcnt(0)
	v_add_f32_e32 v0, v0, v2
	v_add_f32_e32 v2, v0, v3
	v_lshl_add_u64 v[0:1], v[16:17], 2, s[6:7]
	global_store_dword v[0:1], v2, off
.LBB73_128:
	s_endpgm
	.section	.rodata,"a",@progbits
	.p2align	6, 0x0
	.amdhsa_kernel _ZL26rocblas_hemvn_kernel_upperILb0ELi64ELi4ELi33ELi32ELi16ElfPKfPfEviT6_lT7_lT5_lS4_lS5_lS3_lT8_i
		.amdhsa_group_segment_fixed_size 4800
		.amdhsa_private_segment_fixed_size 0
		.amdhsa_kernarg_size 368
		.amdhsa_user_sgpr_count 2
		.amdhsa_user_sgpr_dispatch_ptr 0
		.amdhsa_user_sgpr_queue_ptr 0
		.amdhsa_user_sgpr_kernarg_segment_ptr 1
		.amdhsa_user_sgpr_dispatch_id 0
		.amdhsa_user_sgpr_kernarg_preload_length 0
		.amdhsa_user_sgpr_kernarg_preload_offset 0
		.amdhsa_user_sgpr_private_segment_size 0
		.amdhsa_uses_dynamic_stack 0
		.amdhsa_enable_private_segment 0
		.amdhsa_system_sgpr_workgroup_id_x 1
		.amdhsa_system_sgpr_workgroup_id_y 0
		.amdhsa_system_sgpr_workgroup_id_z 1
		.amdhsa_system_sgpr_workgroup_info 0
		.amdhsa_system_vgpr_workitem_id 1
		.amdhsa_next_free_vgpr 96
		.amdhsa_next_free_sgpr 40
		.amdhsa_accum_offset 96
		.amdhsa_reserve_vcc 1
		.amdhsa_float_round_mode_32 0
		.amdhsa_float_round_mode_16_64 0
		.amdhsa_float_denorm_mode_32 3
		.amdhsa_float_denorm_mode_16_64 3
		.amdhsa_dx10_clamp 1
		.amdhsa_ieee_mode 1
		.amdhsa_fp16_overflow 0
		.amdhsa_tg_split 0
		.amdhsa_exception_fp_ieee_invalid_op 0
		.amdhsa_exception_fp_denorm_src 0
		.amdhsa_exception_fp_ieee_div_zero 0
		.amdhsa_exception_fp_ieee_overflow 0
		.amdhsa_exception_fp_ieee_underflow 0
		.amdhsa_exception_fp_ieee_inexact 0
		.amdhsa_exception_int_div_zero 0
	.end_amdhsa_kernel
	.section	.text._ZL26rocblas_hemvn_kernel_upperILb0ELi64ELi4ELi33ELi32ELi16ElfPKfPfEviT6_lT7_lT5_lS4_lS5_lS3_lT8_i,"axG",@progbits,_ZL26rocblas_hemvn_kernel_upperILb0ELi64ELi4ELi33ELi32ELi16ElfPKfPfEviT6_lT7_lT5_lS4_lS5_lS3_lT8_i,comdat
.Lfunc_end73:
	.size	_ZL26rocblas_hemvn_kernel_upperILb0ELi64ELi4ELi33ELi32ELi16ElfPKfPfEviT6_lT7_lT5_lS4_lS5_lS3_lT8_i, .Lfunc_end73-_ZL26rocblas_hemvn_kernel_upperILb0ELi64ELi4ELi33ELi32ELi16ElfPKfPfEviT6_lT7_lT5_lS4_lS5_lS3_lT8_i
                                        ; -- End function
	.set _ZL26rocblas_hemvn_kernel_upperILb0ELi64ELi4ELi33ELi32ELi16ElfPKfPfEviT6_lT7_lT5_lS4_lS5_lS3_lT8_i.num_vgpr, 96
	.set _ZL26rocblas_hemvn_kernel_upperILb0ELi64ELi4ELi33ELi32ELi16ElfPKfPfEviT6_lT7_lT5_lS4_lS5_lS3_lT8_i.num_agpr, 0
	.set _ZL26rocblas_hemvn_kernel_upperILb0ELi64ELi4ELi33ELi32ELi16ElfPKfPfEviT6_lT7_lT5_lS4_lS5_lS3_lT8_i.numbered_sgpr, 40
	.set _ZL26rocblas_hemvn_kernel_upperILb0ELi64ELi4ELi33ELi32ELi16ElfPKfPfEviT6_lT7_lT5_lS4_lS5_lS3_lT8_i.num_named_barrier, 0
	.set _ZL26rocblas_hemvn_kernel_upperILb0ELi64ELi4ELi33ELi32ELi16ElfPKfPfEviT6_lT7_lT5_lS4_lS5_lS3_lT8_i.private_seg_size, 0
	.set _ZL26rocblas_hemvn_kernel_upperILb0ELi64ELi4ELi33ELi32ELi16ElfPKfPfEviT6_lT7_lT5_lS4_lS5_lS3_lT8_i.uses_vcc, 1
	.set _ZL26rocblas_hemvn_kernel_upperILb0ELi64ELi4ELi33ELi32ELi16ElfPKfPfEviT6_lT7_lT5_lS4_lS5_lS3_lT8_i.uses_flat_scratch, 0
	.set _ZL26rocblas_hemvn_kernel_upperILb0ELi64ELi4ELi33ELi32ELi16ElfPKfPfEviT6_lT7_lT5_lS4_lS5_lS3_lT8_i.has_dyn_sized_stack, 0
	.set _ZL26rocblas_hemvn_kernel_upperILb0ELi64ELi4ELi33ELi32ELi16ElfPKfPfEviT6_lT7_lT5_lS4_lS5_lS3_lT8_i.has_recursion, 0
	.set _ZL26rocblas_hemvn_kernel_upperILb0ELi64ELi4ELi33ELi32ELi16ElfPKfPfEviT6_lT7_lT5_lS4_lS5_lS3_lT8_i.has_indirect_call, 0
	.section	.AMDGPU.csdata,"",@progbits
; Kernel info:
; codeLenInByte = 6664
; TotalNumSgprs: 46
; NumVgprs: 96
; NumAgprs: 0
; TotalNumVgprs: 96
; ScratchSize: 0
; MemoryBound: 0
; FloatMode: 240
; IeeeMode: 1
; LDSByteSize: 4800 bytes/workgroup (compile time only)
; SGPRBlocks: 5
; VGPRBlocks: 11
; NumSGPRsForWavesPerEU: 46
; NumVGPRsForWavesPerEU: 96
; AccumOffset: 96
; Occupancy: 5
; WaveLimiterHint : 1
; COMPUTE_PGM_RSRC2:SCRATCH_EN: 0
; COMPUTE_PGM_RSRC2:USER_SGPR: 2
; COMPUTE_PGM_RSRC2:TRAP_HANDLER: 0
; COMPUTE_PGM_RSRC2:TGID_X_EN: 1
; COMPUTE_PGM_RSRC2:TGID_Y_EN: 0
; COMPUTE_PGM_RSRC2:TGID_Z_EN: 1
; COMPUTE_PGM_RSRC2:TIDIG_COMP_CNT: 1
; COMPUTE_PGM_RSRC3_GFX90A:ACCUM_OFFSET: 23
; COMPUTE_PGM_RSRC3_GFX90A:TG_SPLIT: 0
	.section	.text._ZL36rocblas_hemvn_kernel_upper_block_sumILi64ElfPffEviT1_lS1_lT2_lT0_lPT3_i,"axG",@progbits,_ZL36rocblas_hemvn_kernel_upper_block_sumILi64ElfPffEviT1_lS1_lT2_lT0_lPT3_i,comdat
	.globl	_ZL36rocblas_hemvn_kernel_upper_block_sumILi64ElfPffEviT1_lS1_lT2_lT0_lPT3_i ; -- Begin function _ZL36rocblas_hemvn_kernel_upper_block_sumILi64ElfPffEviT1_lS1_lT2_lT0_lPT3_i
	.p2align	8
	.type	_ZL36rocblas_hemvn_kernel_upper_block_sumILi64ElfPffEviT1_lS1_lT2_lT0_lPT3_i,@function
_ZL36rocblas_hemvn_kernel_upper_block_sumILi64ElfPffEviT1_lS1_lT2_lT0_lPT3_i: ; @_ZL36rocblas_hemvn_kernel_upper_block_sumILi64ElfPffEviT1_lS1_lT2_lT0_lPT3_i
; %bb.0:
	s_load_dwordx2 s[14:15], s[0:1], 0x0
	s_load_dword s13, s[0:1], 0x10
	s_waitcnt lgkmcnt(0)
	v_cmp_eq_f32_e64 s[4:5], s15, 0
	v_cmp_eq_f32_e64 s[6:7], s13, 1.0
	s_and_b64 s[4:5], s[4:5], s[6:7]
	s_and_b64 vcc, exec, s[4:5]
	s_cbranch_vccnz .LBB74_19
; %bb.1:
	s_load_dwordx8 s[4:11], s[0:1], 0x28
	s_load_dwordx2 s[16:17], s[0:1], 0x20
	v_lshl_or_b32 v0, s2, 6, v0
	s_waitcnt lgkmcnt(0)
	s_mul_i32 s9, s9, s3
	s_mul_hi_u32 s12, s8, s3
	s_mul_i32 s8, s8, s3
	s_add_i32 s9, s12, s9
	s_lshl_b64 s[8:9], s[8:9], 2
	s_add_u32 s8, s16, s8
	s_addc_u32 s9, s17, s9
	s_lshl_b64 s[4:5], s[4:5], 2
	s_add_u32 s8, s8, s4
	s_addc_u32 s9, s9, s5
	v_cmp_neq_f32_e64 s[4:5], s15, 0
	s_and_b64 vcc, exec, s[4:5]
	v_cmp_gt_i32_e64 s[4:5], s14, v0
	s_cbranch_vccnz .LBB74_6
; %bb.2:
	s_mov_b64 s[18:19], 0
	s_mov_b64 s[16:17], 0
                                        ; implicit-def: $vgpr1
                                        ; implicit-def: $vgpr2_vgpr3
	s_and_saveexec_b64 s[20:21], s[4:5]
	s_cbranch_execz .LBB74_7
; %bb.3:
	v_ashrrev_i32_e32 v2, 31, v0
	v_cmp_eq_f32_e64 s[4:5], s13, 0
	v_mul_lo_u32 v4, s7, v0
	v_mul_lo_u32 v5, s6, v2
	v_mad_u64_u32 v[2:3], s[16:17], s6, v0, 0
	v_mov_b32_e32 v1, 0
	v_add3_u32 v3, v3, v5, v4
	s_and_b64 vcc, exec, s[4:5]
	s_cbranch_vccnz .LBB74_5
; %bb.4:
	v_lshl_add_u64 v[4:5], v[2:3], 2, s[8:9]
	global_load_dword v1, v[4:5], off
	s_waitcnt vmcnt(0)
	v_mul_f32_e32 v1, s13, v1
.LBB74_5:
	s_mov_b64 s[16:17], exec
	s_or_b64 exec, exec, s[20:21]
	s_and_b64 vcc, exec, s[18:19]
	s_cbranch_vccnz .LBB74_8
	s_branch .LBB74_17
.LBB74_6:
	s_mov_b64 s[16:17], 0
                                        ; implicit-def: $vgpr1
                                        ; implicit-def: $vgpr2_vgpr3
	s_cbranch_execnz .LBB74_8
	s_branch .LBB74_17
.LBB74_7:
	s_or_b64 exec, exec, s[20:21]
	s_and_b64 vcc, exec, s[18:19]
	s_cbranch_vccz .LBB74_17
.LBB74_8:
	v_cmp_gt_i32_e32 vcc, s14, v0
                                        ; implicit-def: $vgpr1
                                        ; implicit-def: $vgpr2_vgpr3
	s_and_saveexec_b64 s[4:5], vcc
	s_cbranch_execz .LBB74_16
; %bb.9:
	v_ashrrev_i32_e32 v1, 31, v0
	s_cmp_lt_i32 s2, 0
	v_mov_b32_e32 v4, 0
	s_cbranch_scc1 .LBB74_12
; %bb.10:
	s_load_dword s0, s[0:1], 0x50
	s_ashr_i32 s19, s14, 31
	s_mul_hi_u32 s1, s14, s3
	s_mul_i32 s12, s19, s3
	s_add_i32 s1, s1, s12
	s_mul_i32 s3, s14, s3
	s_waitcnt lgkmcnt(0)
	s_mul_i32 s1, s1, s0
	s_mul_hi_u32 s12, s3, s0
	s_add_i32 s1, s12, s1
	s_mul_i32 s0, s3, s0
	s_lshl_b64 s[0:1], s[0:1], 2
	s_add_u32 s0, s10, s0
	s_mov_b32 s18, s14
	s_addc_u32 s1, s11, s1
	v_lshl_add_u64 v[2:3], v[0:1], 2, s[0:1]
	s_add_i32 s2, s2, 1
	s_lshl_b64 s[0:1], s[18:19], 2
	v_mov_b32_e32 v4, 0
.LBB74_11:                              ; =>This Inner Loop Header: Depth=1
	global_load_dword v5, v[2:3], off
	s_add_i32 s2, s2, -1
	v_lshl_add_u64 v[2:3], v[2:3], 0, s[0:1]
	s_cmp_eq_u32 s2, 0
	s_waitcnt vmcnt(0)
	v_add_f32_e32 v4, v4, v5
	s_cbranch_scc0 .LBB74_11
.LBB74_12:
	v_cmp_eq_f32_e64 s[0:1], s13, 0
	s_and_b64 vcc, exec, s[0:1]
	v_mul_lo_u32 v5, s7, v0
	v_mul_lo_u32 v6, s6, v1
	s_cbranch_vccz .LBB74_20
; %bb.13:
	v_mad_u64_u32 v[2:3], s[0:1], s6, v0, 0
	v_mul_f32_e32 v1, s15, v4
	v_add3_u32 v3, v3, v6, v5
	s_cbranch_execnz .LBB74_15
.LBB74_14:
	v_mad_u64_u32 v[2:3], s[0:1], s6, v0, 0
	v_add3_u32 v3, v3, v6, v5
	v_lshl_add_u64 v[0:1], v[2:3], 2, s[8:9]
	global_load_dword v5, v[0:1], off
	s_mov_b32 s12, s15
	s_waitcnt vmcnt(0)
	v_pk_mul_f32 v[0:1], s[12:13], v[4:5]
	s_nop 0
	v_add_f32_e32 v1, v0, v1
.LBB74_15:
	s_or_b64 s[16:17], s[16:17], exec
.LBB74_16:
	s_or_b64 exec, exec, s[4:5]
.LBB74_17:
	s_and_saveexec_b64 s[0:1], s[16:17]
	s_cbranch_execz .LBB74_19
; %bb.18:
	v_lshl_add_u64 v[2:3], v[2:3], 2, s[8:9]
	global_store_dword v[2:3], v1, off
.LBB74_19:
	s_endpgm
.LBB74_20:
                                        ; implicit-def: $vgpr1
                                        ; implicit-def: $vgpr2_vgpr3
	s_branch .LBB74_14
	.section	.rodata,"a",@progbits
	.p2align	6, 0x0
	.amdhsa_kernel _ZL36rocblas_hemvn_kernel_upper_block_sumILi64ElfPffEviT1_lS1_lT2_lT0_lPT3_i
		.amdhsa_group_segment_fixed_size 0
		.amdhsa_private_segment_fixed_size 0
		.amdhsa_kernarg_size 336
		.amdhsa_user_sgpr_count 2
		.amdhsa_user_sgpr_dispatch_ptr 0
		.amdhsa_user_sgpr_queue_ptr 0
		.amdhsa_user_sgpr_kernarg_segment_ptr 1
		.amdhsa_user_sgpr_dispatch_id 0
		.amdhsa_user_sgpr_kernarg_preload_length 0
		.amdhsa_user_sgpr_kernarg_preload_offset 0
		.amdhsa_user_sgpr_private_segment_size 0
		.amdhsa_uses_dynamic_stack 0
		.amdhsa_enable_private_segment 0
		.amdhsa_system_sgpr_workgroup_id_x 1
		.amdhsa_system_sgpr_workgroup_id_y 0
		.amdhsa_system_sgpr_workgroup_id_z 1
		.amdhsa_system_sgpr_workgroup_info 0
		.amdhsa_system_vgpr_workitem_id 0
		.amdhsa_next_free_vgpr 7
		.amdhsa_next_free_sgpr 22
		.amdhsa_accum_offset 8
		.amdhsa_reserve_vcc 1
		.amdhsa_float_round_mode_32 0
		.amdhsa_float_round_mode_16_64 0
		.amdhsa_float_denorm_mode_32 3
		.amdhsa_float_denorm_mode_16_64 3
		.amdhsa_dx10_clamp 1
		.amdhsa_ieee_mode 1
		.amdhsa_fp16_overflow 0
		.amdhsa_tg_split 0
		.amdhsa_exception_fp_ieee_invalid_op 0
		.amdhsa_exception_fp_denorm_src 0
		.amdhsa_exception_fp_ieee_div_zero 0
		.amdhsa_exception_fp_ieee_overflow 0
		.amdhsa_exception_fp_ieee_underflow 0
		.amdhsa_exception_fp_ieee_inexact 0
		.amdhsa_exception_int_div_zero 0
	.end_amdhsa_kernel
	.section	.text._ZL36rocblas_hemvn_kernel_upper_block_sumILi64ElfPffEviT1_lS1_lT2_lT0_lPT3_i,"axG",@progbits,_ZL36rocblas_hemvn_kernel_upper_block_sumILi64ElfPffEviT1_lS1_lT2_lT0_lPT3_i,comdat
.Lfunc_end74:
	.size	_ZL36rocblas_hemvn_kernel_upper_block_sumILi64ElfPffEviT1_lS1_lT2_lT0_lPT3_i, .Lfunc_end74-_ZL36rocblas_hemvn_kernel_upper_block_sumILi64ElfPffEviT1_lS1_lT2_lT0_lPT3_i
                                        ; -- End function
	.set _ZL36rocblas_hemvn_kernel_upper_block_sumILi64ElfPffEviT1_lS1_lT2_lT0_lPT3_i.num_vgpr, 7
	.set _ZL36rocblas_hemvn_kernel_upper_block_sumILi64ElfPffEviT1_lS1_lT2_lT0_lPT3_i.num_agpr, 0
	.set _ZL36rocblas_hemvn_kernel_upper_block_sumILi64ElfPffEviT1_lS1_lT2_lT0_lPT3_i.numbered_sgpr, 22
	.set _ZL36rocblas_hemvn_kernel_upper_block_sumILi64ElfPffEviT1_lS1_lT2_lT0_lPT3_i.num_named_barrier, 0
	.set _ZL36rocblas_hemvn_kernel_upper_block_sumILi64ElfPffEviT1_lS1_lT2_lT0_lPT3_i.private_seg_size, 0
	.set _ZL36rocblas_hemvn_kernel_upper_block_sumILi64ElfPffEviT1_lS1_lT2_lT0_lPT3_i.uses_vcc, 1
	.set _ZL36rocblas_hemvn_kernel_upper_block_sumILi64ElfPffEviT1_lS1_lT2_lT0_lPT3_i.uses_flat_scratch, 0
	.set _ZL36rocblas_hemvn_kernel_upper_block_sumILi64ElfPffEviT1_lS1_lT2_lT0_lPT3_i.has_dyn_sized_stack, 0
	.set _ZL36rocblas_hemvn_kernel_upper_block_sumILi64ElfPffEviT1_lS1_lT2_lT0_lPT3_i.has_recursion, 0
	.set _ZL36rocblas_hemvn_kernel_upper_block_sumILi64ElfPffEviT1_lS1_lT2_lT0_lPT3_i.has_indirect_call, 0
	.section	.AMDGPU.csdata,"",@progbits
; Kernel info:
; codeLenInByte = 580
; TotalNumSgprs: 28
; NumVgprs: 7
; NumAgprs: 0
; TotalNumVgprs: 7
; ScratchSize: 0
; MemoryBound: 0
; FloatMode: 240
; IeeeMode: 1
; LDSByteSize: 0 bytes/workgroup (compile time only)
; SGPRBlocks: 3
; VGPRBlocks: 0
; NumSGPRsForWavesPerEU: 28
; NumVGPRsForWavesPerEU: 7
; AccumOffset: 8
; Occupancy: 8
; WaveLimiterHint : 0
; COMPUTE_PGM_RSRC2:SCRATCH_EN: 0
; COMPUTE_PGM_RSRC2:USER_SGPR: 2
; COMPUTE_PGM_RSRC2:TRAP_HANDLER: 0
; COMPUTE_PGM_RSRC2:TGID_X_EN: 1
; COMPUTE_PGM_RSRC2:TGID_Y_EN: 0
; COMPUTE_PGM_RSRC2:TGID_Z_EN: 1
; COMPUTE_PGM_RSRC2:TIDIG_COMP_CNT: 0
; COMPUTE_PGM_RSRC3_GFX90A:ACCUM_OFFSET: 1
; COMPUTE_PGM_RSRC3_GFX90A:TG_SPLIT: 0
	.section	.text._ZL26rocblas_hemvn_kernel_upperILb0ELi64ELi4ELi33ELi32ELi16EifPKfPfEviT6_lT7_lT5_lS4_lS5_lS3_lT8_i,"axG",@progbits,_ZL26rocblas_hemvn_kernel_upperILb0ELi64ELi4ELi33ELi32ELi16EifPKfPfEviT6_lT7_lT5_lS4_lS5_lS3_lT8_i,comdat
	.globl	_ZL26rocblas_hemvn_kernel_upperILb0ELi64ELi4ELi33ELi32ELi16EifPKfPfEviT6_lT7_lT5_lS4_lS5_lS3_lT8_i ; -- Begin function _ZL26rocblas_hemvn_kernel_upperILb0ELi64ELi4ELi33ELi32ELi16EifPKfPfEviT6_lT7_lT5_lS4_lS5_lS3_lT8_i
	.p2align	8
	.type	_ZL26rocblas_hemvn_kernel_upperILb0ELi64ELi4ELi33ELi32ELi16EifPKfPfEviT6_lT7_lT5_lS4_lS5_lS3_lT8_i,@function
_ZL26rocblas_hemvn_kernel_upperILb0ELi64ELi4ELi33ELi32ELi16EifPKfPfEviT6_lT7_lT5_lS4_lS5_lS3_lT8_i: ; @_ZL26rocblas_hemvn_kernel_upperILb0ELi64ELi4ELi33ELi32ELi16EifPKfPfEviT6_lT7_lT5_lS4_lS5_lS3_lT8_i
; %bb.0:
	s_load_dwordx2 s[4:5], s[0:1], 0x7c
	s_add_u32 s8, s0, 0x70
	s_addc_u32 s9, s1, 0
	s_waitcnt lgkmcnt(0)
	s_lshr_b32 s6, s4, 16
	s_and_b32 s4, s4, 0xffff
	s_and_b32 s5, s5, 0xffff
	s_mul_i32 s4, s6, s4
	s_mul_i32 s4, s4, s5
	s_cmpk_lg_i32 s4, 0x100
	s_cbranch_scc1 .LBB75_128
; %bb.1:
	s_load_dwordx2 s[24:25], s[0:1], 0x0
	s_load_dword s6, s[0:1], 0x50
	s_waitcnt lgkmcnt(0)
	v_cmp_eq_f32_e64 s[4:5], s25, 0
	v_cmp_eq_f32_e64 s[6:7], s6, 1.0
	s_and_b64 s[6:7], s[4:5], s[6:7]
	s_and_b64 vcc, exec, s[6:7]
	s_cbranch_vccnz .LBB75_128
; %bb.2:
	s_and_b64 vcc, exec, s[4:5]
	s_cbranch_vccnz .LBB75_128
; %bb.3:
	s_load_dwordx2 s[10:11], s[0:1], 0x48
	s_load_dword s25, s[0:1], 0x40
	s_load_dword s33, s[8:9], 0x0
	s_load_dwordx4 s[4:7], s[0:1], 0x28
	s_load_dwordx2 s[12:13], s[0:1], 0x38
	s_waitcnt lgkmcnt(0)
	s_mul_i32 s8, s11, s3
	s_mul_hi_u32 s9, s10, s3
	s_add_i32 s9, s9, s8
	s_mul_i32 s8, s10, s3
	s_lshl_b64 s[8:9], s[8:9], 2
	s_add_u32 s8, s6, s8
	s_addc_u32 s9, s7, s9
	s_lshl_b64 s[6:7], s[12:13], 2
	s_add_u32 s6, s8, s6
	s_addc_u32 s7, s9, s7
	s_ashr_i32 s37, s24, 31
	s_lshr_b32 s9, s37, 26
	v_and_b32_e32 v18, 0x3ff, v0
	s_lshl_b32 s26, s2, 6
	s_add_i32 s9, s24, s9
	s_andn2_b32 s9, s9, 63
	v_add_u32_e32 v16, s26, v18
	v_bfe_u32 v17, v0, 10, 10
	s_add_i32 s8, s33, -1
	s_sub_i32 s36, s24, s9
	v_mul_lo_u32 v0, s25, v16
	s_cmp_eq_u32 s2, s8
	v_ashrrev_i32_e32 v1, 31, v0
	s_cselect_b32 s18, s36, 0
	v_lshl_add_u64 v[6:7], v[0:1], 2, s[6:7]
	v_cmp_eq_u32_e64 s[14:15], 0, v17
	s_and_saveexec_b64 s[6:7], s[14:15]
	s_cbranch_execz .LBB75_7
; %bb.4:
	s_cmp_eq_u32 s18, 0
	s_cselect_b64 s[8:9], -1, 0
	v_cmp_gt_i32_e32 vcc, s18, v18
	s_or_b64 s[10:11], s[8:9], vcc
	v_mov_b32_e32 v0, 0
	s_and_saveexec_b64 s[8:9], s[10:11]
	s_cbranch_execz .LBB75_6
; %bb.5:
	global_load_dword v0, v[6:7], off
.LBB75_6:
	s_or_b64 exec, exec, s[8:9]
	v_lshlrev_b32_e32 v1, 2, v18
	s_waitcnt vmcnt(0)
	ds_write_b32 v1, v0 offset:4544
.LBB75_7:
	s_or_b64 exec, exec, s[6:7]
	s_load_dwordx4 s[8:11], s[0:1], 0x10
	s_load_dword s22, s[0:1], 0x20
	s_mul_i32 s5, s5, s3
	s_mul_hi_u32 s6, s4, s3
	s_add_i32 s5, s6, s5
	s_mul_i32 s4, s4, s3
	s_lshl_b64 s[4:5], s[4:5], 2
	s_waitcnt lgkmcnt(0)
	s_add_u32 s6, s8, s4
	s_addc_u32 s7, s9, s5
	s_lshl_b64 s[4:5], s[10:11], 2
	s_add_u32 s6, s6, s4
	s_addc_u32 s7, s7, s5
	s_ashr_i32 s27, s26, 31
	v_lshl_add_u32 v14, v17, 6, v18
	s_lshl_b64 s[4:5], s[26:27], 2
	v_and_b32_e32 v2, 31, v18
	v_lshrrev_b32_e32 v15, 5, v14
	s_add_u32 s4, s6, s4
	s_addc_u32 s5, s7, s5
	v_mad_u64_u32 v[4:5], s[6:7], s22, v15, v[2:3]
	v_ashrrev_i32_e32 v5, 31, v4
	v_lshl_add_u64 v[0:1], v[4:5], 2, s[4:5]
	s_mul_i32 s4, s22, s26
	s_ashr_i32 s5, s4, 31
	s_cmp_eq_u32 s18, 0
	s_cselect_b64 s[20:21], -1, 0
	s_cmp_lg_u32 s18, 0
	s_cselect_b64 s[30:31], -1, 0
	v_lshl_add_u64 v[10:11], s[4:5], 2, v[0:1]
	s_and_b64 vcc, exec, s[30:31]
	v_cmp_gt_i32_e64 s[4:5], s18, v2
	v_lshlrev_b32_e32 v0, 2, v2
	s_cbranch_vccz .LBB75_17
; %bb.8:
	v_sub_co_u32_e32 v8, vcc, v10, v0
	s_ashr_i32 s19, s18, 31
	s_nop 0
	v_subbrev_co_u32_e32 v9, vcc, 0, v11, vcc
	v_lshl_add_u64 v[8:9], s[18:19], 2, v[8:9]
	v_lshl_add_u64 v[8:9], v[8:9], 0, -4
	v_mov_b32_e32 v3, 0
	v_cndmask_b32_e64 v9, v9, v11, s[4:5]
	v_cndmask_b32_e64 v8, v8, v10, s[4:5]
	v_cmp_gt_i32_e32 vcc, s18, v15
	v_mov_b32_e32 v12, 0
	s_and_saveexec_b64 s[6:7], vcc
	s_cbranch_execz .LBB75_10
; %bb.9:
	global_load_dword v12, v[8:9], off
.LBB75_10:
	s_or_b64 exec, exec, s[6:7]
	s_movk_i32 s6, 0x84
	v_mad_u32_u24 v13, v15, s6, v0
	s_waitcnt vmcnt(0)
	ds_write_b32 v13, v12
	v_add_u32_e32 v12, 8, v15
	v_mul_u32_u24_e32 v1, 0x84, v15
	v_cmp_gt_i32_e32 vcc, s18, v12
	s_and_saveexec_b64 s[6:7], vcc
	s_cbranch_execz .LBB75_12
; %bb.11:
	s_lshl_b32 s8, s22, 3
	s_ashr_i32 s9, s8, 31
	v_lshl_add_u64 v[12:13], s[8:9], 2, v[8:9]
	global_load_dword v3, v[12:13], off
.LBB75_12:
	s_or_b64 exec, exec, s[6:7]
	v_add_u32_e32 v1, v1, v0
	s_waitcnt vmcnt(0)
	ds_write_b32 v1, v3 offset:1056
	v_add_u32_e32 v3, 16, v15
	v_cmp_gt_i32_e32 vcc, s18, v3
	v_mov_b32_e32 v3, 0
	v_mov_b32_e32 v12, 0
	s_and_saveexec_b64 s[6:7], vcc
	s_cbranch_execz .LBB75_14
; %bb.13:
	s_lshl_b32 s8, s22, 4
	s_ashr_i32 s9, s8, 31
	v_lshl_add_u64 v[12:13], s[8:9], 2, v[8:9]
	global_load_dword v12, v[12:13], off
.LBB75_14:
	s_or_b64 exec, exec, s[6:7]
	s_waitcnt vmcnt(0)
	ds_write_b32 v1, v12 offset:2112
	v_add_u32_e32 v12, 24, v15
	v_cmp_gt_i32_e32 vcc, s18, v12
	s_and_saveexec_b64 s[6:7], vcc
	s_cbranch_execz .LBB75_16
; %bb.15:
	s_mul_i32 s8, s22, 24
	s_ashr_i32 s9, s8, 31
	v_lshl_add_u64 v[12:13], s[8:9], 2, v[8:9]
	global_load_dword v3, v[12:13], off
.LBB75_16:
	s_or_b64 exec, exec, s[6:7]
	s_waitcnt vmcnt(0)
	ds_write_b32 v1, v3 offset:3168
	v_mov_b32_e32 v1, 0
	v_lshl_add_u64 v[8:9], v[8:9], 0, v[0:1]
	s_lshl_b64 s[6:7], s[18:19], 2
	v_mov_b32_e32 v1, s7
	v_subrev_co_u32_e32 v8, vcc, s6, v8
	s_nop 1
	v_subb_co_u32_e32 v9, vcc, v9, v1, vcc
	v_lshl_add_u64 v[8:9], v[8:9], 0, 4
	v_cndmask_b32_e64 v9, v9, v11, s[4:5]
	v_cndmask_b32_e64 v8, v8, v10, s[4:5]
	s_branch .LBB75_19
.LBB75_17:
                                        ; implicit-def: $vgpr8_vgpr9
	s_cbranch_execz .LBB75_19
; %bb.18:
	s_lshl_b32 s4, s22, 3
	s_ashr_i32 s5, s4, 31
	s_ashr_i32 s23, s22, 31
	v_lshl_add_u64 v[8:9], s[4:5], 2, v[10:11]
	s_lshl_b64 s[4:5], s[22:23], 5
	v_lshl_add_u64 v[12:13], v[8:9], 0, s[4:5]
	v_lshl_add_u64 v[20:21], v[12:13], 0, s[4:5]
	global_load_dword v1, v[10:11], off
	global_load_dword v3, v[8:9], off
	;; [unrolled: 1-line block ×4, first 2 shown]
	v_mul_u32_u24_e32 v8, 0x84, v15
	v_lshl_add_u32 v8, v2, 2, v8
	s_waitcnt vmcnt(3)
	ds_write_b32 v8, v1
	s_waitcnt vmcnt(2)
	ds_write_b32 v8, v3 offset:1056
	s_waitcnt vmcnt(1)
	ds_write_b32 v8, v19 offset:2112
	;; [unrolled: 2-line block ×3, first 2 shown]
	v_mov_b64_e32 v[8:9], v[10:11]
.LBB75_19:
	v_lshlrev_b32_e32 v20, 2, v15
	v_lshl_or_b32 v1, v2, 7, v0
	v_cmp_gt_u32_e64 s[6:7], v20, v2
	v_lshl_add_u32 v10, v20, 2, v1
	s_waitcnt lgkmcnt(0)
	s_barrier
	s_and_saveexec_b64 s[4:5], s[6:7]
	s_cbranch_execz .LBB75_21
; %bb.20:
	s_movk_i32 s8, 0x210
	v_mad_u32_u24 v3, v15, s8, v0
	ds_read_b32 v3, v3
	s_waitcnt lgkmcnt(0)
	ds_write_b32 v10, v3
.LBB75_21:
	s_or_b64 exec, exec, s[4:5]
	v_or_b32_e32 v3, 1, v20
	v_cmp_ge_u32_e64 s[8:9], v20, v2
	s_and_saveexec_b64 s[4:5], s[8:9]
	s_cbranch_execz .LBB75_23
; %bb.22:
	s_movk_i32 s10, 0x84
	v_mad_u32_u24 v11, v3, s10, v0
	ds_read_b32 v11, v11
	s_waitcnt lgkmcnt(0)
	ds_write_b32 v10, v11 offset:4
.LBB75_23:
	s_or_b64 exec, exec, s[4:5]
	v_or_b32_e32 v11, 2, v20
	v_cmp_gt_u32_e64 s[10:11], v11, v2
	s_and_saveexec_b64 s[4:5], s[10:11]
	s_cbranch_execz .LBB75_25
; %bb.24:
	s_movk_i32 s12, 0x84
	v_mad_u32_u24 v11, v11, s12, v0
	ds_read_b32 v11, v11
	s_waitcnt lgkmcnt(0)
	ds_write_b32 v10, v11 offset:8
.LBB75_25:
	s_or_b64 exec, exec, s[4:5]
	v_or_b32_e32 v12, 3, v20
	v_cmp_gt_u32_e64 s[12:13], v12, v2
	v_cmp_le_u32_e32 vcc, v12, v2
                                        ; implicit-def: $vgpr11
	s_and_saveexec_b64 s[4:5], vcc
	s_xor_b64 s[4:5], exec, s[4:5]
; %bb.26:
	v_mul_u32_u24_e32 v11, 0x84, v12
                                        ; implicit-def: $vgpr12
                                        ; implicit-def: $vgpr10
; %bb.27:
	s_andn2_saveexec_b64 s[4:5], s[4:5]
	s_cbranch_execz .LBB75_29
; %bb.28:
	s_movk_i32 s16, 0x84
	v_mad_u32_u24 v11, v12, s16, v0
	ds_read_b32 v13, v11
	v_mul_u32_u24_e32 v11, 0x84, v12
	s_waitcnt lgkmcnt(0)
	ds_write_b32 v10, v13 offset:12
.LBB75_29:
	s_or_b64 exec, exec, s[4:5]
	s_movk_i32 s4, 0x210
	v_mad_u32_u24 v10, v15, s4, v0
	s_movk_i32 s4, 0x84
	v_mad_u32_u24 v12, v3, s4, v0
	s_waitcnt lgkmcnt(0)
	s_barrier
	ds_read2_b32 v[24:25], v12 offset1:33
	v_lshlrev_b32_e32 v26, 2, v20
	ds_read_b32 v12, v10
	ds_read_b128 v[28:31], v26 offset:4544
	v_add_u32_e32 v23, v0, v11
	ds_read_b32 v11, v23
	s_waitcnt lgkmcnt(3)
	v_mov_b32_e32 v13, v24
	v_mov_b32_e32 v19, 0
	s_waitcnt lgkmcnt(1)
	v_pk_mul_f32 v[12:13], v[12:13], v[28:29]
	v_cmp_gt_u32_e64 s[4:5], 32, v14
	v_add_f32_e32 v10, 0, v12
	v_add_f32_e32 v12, v10, v13
	v_mov_b32_e32 v10, v25
	s_waitcnt lgkmcnt(0)
	v_pk_mul_f32 v[10:11], v[10:11], v[30:31]
	s_nop 0
	v_add_f32_e32 v10, v12, v10
	v_add_f32_e32 v10, v10, v11
	v_mul_u32_u24_e32 v11, 33, v2
	v_lshlrev_b32_e32 v21, 2, v11
	v_lshl_add_u32 v22, v15, 2, v21
	s_barrier
	ds_write_b32 v22, v10
	s_waitcnt lgkmcnt(0)
	s_barrier
	s_and_saveexec_b64 s[16:17], s[4:5]
	s_cbranch_execz .LBB75_31
; %bb.30:
	ds_read2_b32 v[10:11], v1 offset1:1
	ds_read2_b32 v[12:13], v1 offset0:2 offset1:3
	ds_read2_b32 v[24:25], v1 offset0:4 offset1:5
	;; [unrolled: 1-line block ×3, first 2 shown]
	s_waitcnt lgkmcnt(3)
	v_add_f32_e32 v1, v10, v11
	s_waitcnt lgkmcnt(2)
	v_add_f32_e32 v1, v1, v12
	v_add_f32_e32 v1, v1, v13
	s_waitcnt lgkmcnt(1)
	v_add_f32_e32 v1, v1, v24
	;; [unrolled: 3-line block ×3, first 2 shown]
	v_add_f32_e32 v19, v1, v29
.LBB75_31:
	s_or_b64 exec, exec, s[16:17]
	s_lshl_b32 s28, s22, 5
	s_ashr_i32 s29, s28, 31
	v_lshl_add_u64 v[12:13], s[28:29], 2, v[8:9]
	s_mov_b64 s[16:17], 0x80
	v_lshl_add_u64 v[8:9], v[12:13], 0, s[16:17]
	s_and_b64 vcc, exec, s[30:31]
	s_barrier
	s_cbranch_vccz .LBB75_41
; %bb.32:
	v_sub_co_u32_e32 v10, vcc, v12, v0
	s_ashr_i32 s19, s18, 31
	s_nop 0
	v_subbrev_co_u32_e32 v11, vcc, 0, v13, vcc
	v_or_b32_e32 v1, 32, v2
	v_lshl_add_u64 v[10:11], s[18:19], 2, v[10:11]
	v_lshl_add_u64 v[10:11], v[10:11], 0, -4
	v_cmp_gt_i32_e32 vcc, s18, v1
	s_sub_i32 s23, s18, 32
	v_mov_b32_e32 v24, 0
	v_cndmask_b32_e32 v11, v11, v9, vcc
	v_cndmask_b32_e32 v10, v10, v8, vcc
	v_cmp_gt_i32_e64 s[16:17], s23, v15
	v_mov_b32_e32 v25, 0
	s_and_saveexec_b64 s[34:35], s[16:17]
	s_cbranch_execz .LBB75_34
; %bb.33:
	global_load_dword v25, v[10:11], off
.LBB75_34:
	s_or_b64 exec, exec, s[34:35]
	s_movk_i32 s16, 0x84
	v_mad_u32_u24 v27, v15, s16, v0
	s_waitcnt vmcnt(0)
	ds_write_b32 v27, v25
	v_add_u32_e32 v25, 8, v15
	v_mul_u32_u24_e32 v1, 0x84, v15
	v_cmp_gt_i32_e64 s[16:17], s23, v25
	s_and_saveexec_b64 s[34:35], s[16:17]
	s_cbranch_execz .LBB75_36
; %bb.35:
	s_lshl_b32 s16, s22, 3
	s_ashr_i32 s17, s16, 31
	v_lshl_add_u64 v[24:25], s[16:17], 2, v[10:11]
	global_load_dword v24, v[24:25], off
.LBB75_36:
	s_or_b64 exec, exec, s[34:35]
	v_add_u32_e32 v1, v1, v0
	s_waitcnt vmcnt(0)
	ds_write_b32 v1, v24 offset:1056
	v_add_u32_e32 v24, 16, v15
	v_cmp_gt_i32_e64 s[16:17], s23, v24
	v_mov_b32_e32 v24, 0
	v_mov_b32_e32 v25, 0
	s_and_saveexec_b64 s[34:35], s[16:17]
	s_cbranch_execz .LBB75_38
; %bb.37:
	s_lshl_b32 s16, s22, 4
	s_ashr_i32 s17, s16, 31
	v_lshl_add_u64 v[28:29], s[16:17], 2, v[10:11]
	global_load_dword v25, v[28:29], off
.LBB75_38:
	s_or_b64 exec, exec, s[34:35]
	s_waitcnt vmcnt(0)
	ds_write_b32 v1, v25 offset:2112
	v_add_u32_e32 v25, 24, v15
	v_cmp_gt_i32_e64 s[16:17], s23, v25
	s_and_saveexec_b64 s[34:35], s[16:17]
	s_cbranch_execz .LBB75_40
; %bb.39:
	s_mul_i32 s16, s22, 24
	s_ashr_i32 s17, s16, 31
	v_lshl_add_u64 v[24:25], s[16:17], 2, v[10:11]
	global_load_dword v24, v[24:25], off
.LBB75_40:
	s_or_b64 exec, exec, s[34:35]
	s_waitcnt vmcnt(0)
	ds_write_b32 v1, v24 offset:3168
	v_mov_b32_e32 v1, 0
	v_lshl_add_u64 v[10:11], v[10:11], 0, v[0:1]
	s_lshl_b64 s[16:17], s[18:19], 2
	v_mov_b32_e32 v1, s17
	v_subrev_co_u32_e64 v10, s[16:17], s16, v10
	s_nop 1
	v_subb_co_u32_e64 v11, s[16:17], v11, v1, s[16:17]
	s_mov_b64 s[16:17], 0x84
	s_nop 0
	v_lshl_add_u64 v[10:11], v[10:11], 0, s[16:17]
	v_cndmask_b32_e32 v11, v11, v9, vcc
	v_cndmask_b32_e32 v10, v10, v8, vcc
	v_mul_u32_u24_e32 v1, 0x210, v15
	s_branch .LBB75_43
.LBB75_41:
                                        ; implicit-def: $vgpr10_vgpr11
	v_mul_u32_u24_e32 v1, 0x210, v15
	s_cbranch_execz .LBB75_43
; %bb.42:
	s_lshl_b32 s16, s22, 3
	s_ashr_i32 s17, s16, 31
	s_ashr_i32 s23, s22, 31
	v_lshl_add_u64 v[10:11], s[16:17], 2, v[12:13]
	s_lshl_b64 s[16:17], s[22:23], 5
	v_lshl_add_u64 v[24:25], v[10:11], 0, s[16:17]
	v_lshl_add_u64 v[28:29], v[24:25], 0, s[16:17]
	global_load_dword v27, v[12:13], off offset:128
	global_load_dword v30, v[10:11], off offset:128
	;; [unrolled: 1-line block ×4, first 2 shown]
	s_movk_i32 s16, 0x84
	v_mad_u32_u24 v10, v15, s16, v0
	s_waitcnt vmcnt(3)
	ds_write_b32 v10, v27
	s_waitcnt vmcnt(2)
	ds_write_b32 v10, v30 offset:1056
	s_waitcnt vmcnt(1)
	ds_write_b32 v10, v31 offset:2112
	;; [unrolled: 2-line block ×3, first 2 shown]
	v_mov_b64_e32 v[10:11], v[8:9]
.LBB75_43:
	v_mul_u32_u24_e32 v3, 0x84, v3
	v_add_u32_e32 v24, v0, v1
	v_lshl_add_u32 v1, v20, 2, v21
	s_waitcnt lgkmcnt(0)
	s_barrier
	s_and_saveexec_b64 s[16:17], s[6:7]
	s_cbranch_execnz .LBB75_60
; %bb.44:
	s_or_b64 exec, exec, s[16:17]
	v_add_u32_e32 v25, v0, v3
	s_and_saveexec_b64 s[6:7], s[8:9]
	s_cbranch_execnz .LBB75_61
.LBB75_45:
	s_or_b64 exec, exec, s[6:7]
	s_and_saveexec_b64 s[6:7], s[10:11]
	s_cbranch_execnz .LBB75_62
.LBB75_46:
	s_or_b64 exec, exec, s[6:7]
	v_add_u32_e32 v26, 0x11c0, v26
	s_and_saveexec_b64 s[6:7], s[12:13]
	s_cbranch_execz .LBB75_48
.LBB75_47:
	ds_read_b32 v3, v23
	s_waitcnt lgkmcnt(0)
	ds_write_b32 v1, v3 offset:12
.LBB75_48:
	s_or_b64 exec, exec, s[6:7]
	s_waitcnt lgkmcnt(0)
	s_barrier
	ds_read2_b32 v[32:33], v25 offset1:33
	ds_read_b32 v8, v24
	ds_read_b128 v[28:31], v26 offset:128
	ds_read_b32 v13, v23
	v_cmp_eq_u32_e64 s[6:7], 1, v15
	s_waitcnt lgkmcnt(3)
	v_mov_b32_e32 v9, v32
	v_mov_b32_e32 v12, v33
	s_waitcnt lgkmcnt(1)
	v_pk_mul_f32 v[8:9], v[8:9], v[28:29]
	s_waitcnt lgkmcnt(0)
	v_add_f32_e32 v1, 0, v8
	v_add_f32_e32 v1, v1, v9
	v_pk_mul_f32 v[8:9], v[12:13], v[30:31]
	s_barrier
	v_add_f32_e32 v1, v1, v8
	v_add_f32_e32 v1, v1, v9
	ds_write_b32 v22, v1
	s_waitcnt lgkmcnt(0)
	s_barrier
	s_and_saveexec_b64 s[8:9], s[6:7]
	s_cbranch_execz .LBB75_50
; %bb.49:
	ds_read2_b32 v[8:9], v21 offset1:1
	ds_read2_b32 v[12:13], v21 offset0:2 offset1:3
	ds_read2_b32 v[28:29], v21 offset0:4 offset1:5
	;; [unrolled: 1-line block ×3, first 2 shown]
	s_waitcnt lgkmcnt(3)
	v_add_f32_e32 v1, v8, v9
	s_waitcnt lgkmcnt(2)
	v_add_f32_e32 v1, v1, v12
	v_add_f32_e32 v1, v1, v13
	s_waitcnt lgkmcnt(1)
	v_add_f32_e32 v1, v1, v28
	;; [unrolled: 3-line block ×3, first 2 shown]
	v_add_f32_e32 v19, v1, v31
.LBB75_50:
	s_or_b64 exec, exec, s[8:9]
	s_movk_i32 s8, 0xff80
	s_mov_b32 s9, -1
	v_lshl_add_u64 v[12:13], v[10:11], 0, s[8:9]
	s_and_b64 vcc, exec, s[30:31]
	s_barrier
	s_cbranch_vccz .LBB75_63
; %bb.51:
	v_sub_co_u32_e32 v28, vcc, v10, v0
	s_ashr_i32 s19, s18, 31
	s_nop 0
	v_subbrev_co_u32_e32 v29, vcc, 0, v11, vcc
	s_movk_i32 s8, 0xff7c
	v_lshl_add_u64 v[28:29], s[18:19], 2, v[28:29]
	s_mov_b32 s9, -1
	v_lshl_add_u64 v[28:29], v[28:29], 0, s[8:9]
	v_cmp_gt_i32_e32 vcc, s18, v2
	s_sub_i32 s12, s18, 32
	v_mov_b32_e32 v8, 0
	v_cndmask_b32_e32 v3, v29, v13, vcc
	v_cndmask_b32_e32 v2, v28, v12, vcc
	v_cmp_gt_i32_e64 s[8:9], s12, v15
	v_mov_b32_e32 v9, 0
	s_and_saveexec_b64 s[10:11], s[8:9]
	s_cbranch_execz .LBB75_53
; %bb.52:
	global_load_dword v9, v[2:3], off
.LBB75_53:
	s_or_b64 exec, exec, s[10:11]
	s_movk_i32 s8, 0x84
	v_mad_u32_u24 v27, v15, s8, v0
	s_waitcnt vmcnt(0)
	ds_write_b32 v27, v9
	v_add_u32_e32 v27, 8, v15
	v_mul_u32_u24_e32 v1, 0x84, v15
	v_cmp_gt_i32_e64 s[8:9], s12, v27
	s_and_saveexec_b64 s[10:11], s[8:9]
	s_cbranch_execz .LBB75_55
; %bb.54:
	s_lshl_b32 s8, s22, 3
	s_ashr_i32 s9, s8, 31
	v_lshl_add_u64 v[8:9], s[8:9], 2, v[2:3]
	global_load_dword v8, v[8:9], off
.LBB75_55:
	s_or_b64 exec, exec, s[10:11]
	v_add_u32_e32 v1, v1, v0
	v_add_u32_e32 v28, 16, v15
	s_waitcnt vmcnt(0)
	ds_write_b32 v1, v8 offset:1056
	v_cmp_gt_i32_e64 s[8:9], s12, v28
	v_mov_b32_e32 v8, 0
	v_mov_b32_e32 v9, 0
	s_and_saveexec_b64 s[10:11], s[8:9]
	s_cbranch_execz .LBB75_57
; %bb.56:
	s_lshl_b32 s8, s22, 4
	s_ashr_i32 s9, s8, 31
	v_lshl_add_u64 v[30:31], s[8:9], 2, v[2:3]
	global_load_dword v9, v[30:31], off
.LBB75_57:
	s_or_b64 exec, exec, s[10:11]
	v_add_u32_e32 v29, 24, v15
	v_cmp_gt_i32_e64 s[8:9], s12, v29
	s_waitcnt vmcnt(0)
	ds_write_b32 v1, v9 offset:2112
	s_and_saveexec_b64 s[10:11], s[8:9]
	s_cbranch_execz .LBB75_59
; %bb.58:
	s_mul_i32 s8, s22, 24
	s_ashr_i32 s9, s8, 31
	v_lshl_add_u64 v[8:9], s[8:9], 2, v[2:3]
	global_load_dword v8, v[8:9], off
.LBB75_59:
	s_or_b64 exec, exec, s[10:11]
	s_waitcnt vmcnt(0)
	ds_write_b32 v1, v8 offset:3168
	v_mov_b32_e32 v1, 0
	v_lshl_add_u64 v[2:3], v[2:3], 0, v[0:1]
	s_lshl_b64 s[8:9], s[18:19], 2
	v_mov_b32_e32 v1, s9
	v_subrev_co_u32_e64 v2, s[8:9], s8, v2
	s_nop 1
	v_subb_co_u32_e64 v3, s[8:9], v3, v1, s[8:9]
	v_lshl_add_u64 v[2:3], v[2:3], 0, 4
	v_cndmask_b32_e32 v9, v3, v13, vcc
	v_cndmask_b32_e32 v8, v2, v12, vcc
	s_branch .LBB75_65
.LBB75_60:
	ds_read_b32 v8, v24
	s_waitcnt lgkmcnt(0)
	ds_write_b32 v1, v8
	s_or_b64 exec, exec, s[16:17]
	v_add_u32_e32 v25, v0, v3
	s_and_saveexec_b64 s[6:7], s[8:9]
	s_cbranch_execz .LBB75_45
.LBB75_61:
	ds_read_b32 v3, v25
	s_waitcnt lgkmcnt(0)
	ds_write_b32 v1, v3 offset:4
	s_or_b64 exec, exec, s[6:7]
	s_and_saveexec_b64 s[6:7], s[10:11]
	s_cbranch_execz .LBB75_46
.LBB75_62:
	ds_read_b32 v3, v25 offset:132
	s_waitcnt lgkmcnt(0)
	ds_write_b32 v1, v3 offset:8
	s_or_b64 exec, exec, s[6:7]
	v_add_u32_e32 v26, 0x11c0, v26
	s_and_saveexec_b64 s[6:7], s[12:13]
	s_cbranch_execnz .LBB75_47
	s_branch .LBB75_48
.LBB75_63:
                                        ; implicit-def: $vgpr8_vgpr9
                                        ; implicit-def: $vgpr27
                                        ; implicit-def: $vgpr28
                                        ; implicit-def: $vgpr29
	s_cbranch_execz .LBB75_65
; %bb.64:
	s_lshl_b32 s8, s22, 3
	s_ashr_i32 s9, s8, 31
	s_ashr_i32 s23, s22, 31
	v_lshl_add_u64 v[2:3], s[8:9], 2, v[10:11]
	s_lshl_b64 s[8:9], s[22:23], 5
	v_lshl_add_u64 v[8:9], v[2:3], 0, s[8:9]
	v_lshl_add_u64 v[28:29], v[8:9], 0, s[8:9]
	global_load_dword v1, v[10:11], off offset:-128
	global_load_dword v30, v[2:3], off offset:-128
	;; [unrolled: 1-line block ×4, first 2 shown]
	s_movk_i32 s8, 0x84
	v_add_u32_e32 v27, 8, v15
	v_add_u32_e32 v28, 16, v15
	;; [unrolled: 1-line block ×3, first 2 shown]
	v_mad_u32_u24 v0, v15, s8, v0
	v_mov_b64_e32 v[8:9], v[12:13]
	s_waitcnt vmcnt(3)
	ds_write_b32 v0, v1
	s_waitcnt vmcnt(2)
	ds_write_b32 v0, v30 offset:1056
	s_waitcnt vmcnt(1)
	ds_write_b32 v0, v31 offset:2112
	;; [unrolled: 2-line block ×3, first 2 shown]
.LBB75_65:
	v_add_u32_e32 v0, v21, v20
	s_waitcnt lgkmcnt(0)
	s_barrier
	ds_read_b32 v10, v0
	ds_read_b32 v30, v20 offset:4544
	v_lshlrev_b32_e32 v0, 2, v27
	v_lshlrev_b32_e32 v2, 2, v28
	v_add_u32_e32 v1, v21, v0
	v_add_u32_e32 v3, v21, v2
	v_lshlrev_b32_e32 v13, 2, v29
	v_add_u32_e32 v15, v21, v13
	ds_read_b32 v11, v1
	ds_read_b32 v28, v3
	;; [unrolled: 1-line block ×3, first 2 shown]
	ds_read_b32 v33, v13 offset:4544
	ds_read_b32 v32, v2 offset:4544
	;; [unrolled: 1-line block ×3, first 2 shown]
	ds_read_b32 v29, v15
	ds_read_b128 v[0:3], v26 offset:128
	ds_read_b32 v13, v23
	s_waitcnt lgkmcnt(3)
	v_pk_mul_f32 v[26:27], v[10:11], v[30:31]
	ds_read2_b32 v[10:11], v25 offset1:33
	v_add_f32_e32 v15, 0, v26
	s_waitcnt lgkmcnt(3)
	v_pk_mul_f32 v[28:29], v[28:29], v[32:33]
	v_add_f32_e32 v15, v15, v27
	v_add_f32_e32 v15, v15, v28
	;; [unrolled: 1-line block ×3, first 2 shown]
	s_waitcnt lgkmcnt(0)
	s_barrier
	ds_write_b32 v22, v15
	s_waitcnt lgkmcnt(0)
	s_barrier
	s_and_saveexec_b64 s[8:9], s[6:7]
	s_cbranch_execz .LBB75_67
; %bb.66:
	ds_read2_b32 v[24:25], v21 offset1:1
	ds_read2_b32 v[26:27], v21 offset0:2 offset1:3
	ds_read2_b32 v[28:29], v21 offset0:4 offset1:5
	ds_read2_b32 v[30:31], v21 offset0:6 offset1:7
	s_waitcnt lgkmcnt(3)
	v_add_f32_e32 v15, v19, v24
	v_add_f32_e32 v15, v15, v25
	s_waitcnt lgkmcnt(2)
	v_add_f32_e32 v15, v15, v26
	v_add_f32_e32 v15, v15, v27
	s_waitcnt lgkmcnt(1)
	v_add_f32_e32 v15, v15, v28
	v_add_f32_e32 v15, v15, v29
	s_waitcnt lgkmcnt(0)
	v_add_f32_e32 v15, v15, v30
	v_add_f32_e32 v19, v15, v31
.LBB75_67:
	s_or_b64 exec, exec, s[8:9]
	v_fma_f32 v0, v12, v0, 0
	v_fmac_f32_e32 v0, v10, v1
	v_fmac_f32_e32 v0, v11, v2
	;; [unrolled: 1-line block ×3, first 2 shown]
	s_barrier
	ds_write_b32 v22, v0
	s_waitcnt lgkmcnt(0)
	s_barrier
	s_and_saveexec_b64 s[6:7], s[4:5]
	s_cbranch_execz .LBB75_69
; %bb.68:
	ds_read2_b32 v[0:1], v21 offset1:1
	ds_read2_b32 v[2:3], v21 offset0:2 offset1:3
	ds_read2_b32 v[10:11], v21 offset0:4 offset1:5
	;; [unrolled: 1-line block ×3, first 2 shown]
	s_waitcnt lgkmcnt(3)
	v_add_f32_e32 v0, v19, v0
	v_add_f32_e32 v0, v0, v1
	s_waitcnt lgkmcnt(2)
	v_add_f32_e32 v0, v0, v2
	v_add_f32_e32 v0, v0, v3
	;; [unrolled: 3-line block ×4, first 2 shown]
.LBB75_69:
	s_or_b64 exec, exec, s[6:7]
	s_load_dwordx2 s[0:1], s[0:1], 0x60
	s_mul_hi_u32 s4, s24, s3
	s_mul_i32 s37, s37, s3
	s_add_i32 s4, s4, s37
	s_mul_i32 s3, s24, s3
	s_mul_i32 s4, s4, s33
	s_mul_hi_u32 s5, s3, s33
	s_add_i32 s5, s5, s4
	s_mul_i32 s4, s3, s33
	s_lshl_b64 s[4:5], s[4:5], 2
	s_waitcnt lgkmcnt(0)
	s_add_u32 s3, s0, s4
	s_addc_u32 s4, s1, s5
	s_mul_hi_i32 s1, s24, s2
	s_mul_i32 s0, s24, s2
	s_lshl_b64 s[0:1], s[0:1], 2
	s_add_u32 s6, s3, s0
	s_addc_u32 s7, s4, s1
	s_add_i32 s8, s2, 1
	s_cmp_ge_u32 s8, s33
	v_lshlrev_b32_e32 v86, 2, v18
	s_barrier
	s_cbranch_scc1 .LBB75_126
; %bb.70:
	s_mul_i32 s0, s25, s26
	v_mov_b32_e32 v3, 0x10c0
	s_ashr_i32 s1, s0, 31
	v_lshl_add_u32 v88, v17, 4, v3
	v_lshrrev_b32_e32 v3, 2, v14
	s_lshl_b64 s[0:1], s[0:1], 2
	v_and_b32_e32 v2, 15, v18
	s_movk_i32 s10, 0x10c
	v_and_b32_e32 v3, 0x7ffc, v3
	v_lshlrev_b32_e32 v87, 2, v17
	v_mov_b32_e32 v0, s1
	v_subrev_co_u32_e32 v20, vcc, s0, v6
	v_mad_u32_u24 v89, v2, s10, v3
	v_and_b32_e32 v3, 48, v18
	v_subb_co_u32_e32 v21, vcc, v7, v0, vcc
	v_mad_u64_u32 v[0:1], s[0:1], s22, v87, v[18:19]
	s_lshl_b32 s4, s22, 4
	v_lshlrev_b32_e32 v3, 2, v3
	v_ashrrev_i32_e32 v1, 31, v0
	s_lshl_b32 s19, s25, 6
	s_ashr_i32 s5, s4, 31
	v_mad_u32_u24 v90, v2, s10, v3
	v_or_b32_e32 v3, 60, v86
	s_ashr_i32 s23, s22, 31
	s_lshl_b32 s30, s22, 1
	s_mul_i32 s34, s22, 3
	s_mul_i32 s25, s25, s8
	s_lshl_b64 s[12:13], s[28:29], 2
	s_add_i32 s3, s33, -2
	v_mul_u32_u24_e32 v10, 0x10c, v2
	v_mad_u32_u24 v91, v2, s10, v3
	s_ashr_i32 s31, s30, 31
	s_ashr_i32 s35, s34, 31
	s_lshl_b64 s[16:17], s[22:23], 2
	s_lshl_b32 s8, s25, 6
	v_lshlrev_b64 v[2:3], 2, v[0:1]
	s_lshl_b64 s[10:11], s[4:5], 4
	s_lshl_b64 s[26:27], s[22:23], 3
	v_mad_i64_i32 v[26:27], s[24:25], v4, -4, v[2:3]
	s_add_u32 s38, s26, s12
	v_lshl_add_u64 v[2:3], s[28:29], 0, v[0:1]
	s_addc_u32 s39, s27, s13
	v_lshlrev_b64 v[2:3], 2, v[2:3]
	v_lshlrev_b64 v[6:7], 2, v[4:5]
	v_mad_i64_i32 v[4:5], s[24:25], s22, 12, v[2:3]
	s_add_u32 s40, s16, s12
	s_addc_u32 s41, s17, s13
	s_lshl_b64 s[24:25], s[30:31], 2
	s_add_u32 s30, s12, s24
	s_addc_u32 s31, s13, s25
	v_lshl_add_u64 v[34:35], v[8:9], 0, s[30:31]
	s_lshl_b64 s[30:31], s[34:35], 2
	s_add_u32 s34, s12, s30
	s_addc_u32 s35, s13, s31
	v_lshl_add_u64 v[36:37], v[8:9], 0, s[34:35]
	;; [unrolled: 4-line block ×3, first 2 shown]
	s_add_u32 s40, s40, s34
	s_addc_u32 s41, s41, s35
	v_lshl_add_u64 v[40:41], v[8:9], 0, s[40:41]
	s_add_u32 s40, s42, s24
	s_addc_u32 s41, s43, s25
	v_lshl_add_u64 v[42:43], v[8:9], 0, s[40:41]
	s_add_u32 s40, s42, s30
	s_addc_u32 s41, s43, s31
	s_add_u32 s34, s38, s34
	s_addc_u32 s35, s39, s35
	;; [unrolled: 2-line block ×3, first 2 shown]
	v_lshl_add_u64 v[0:1], s[28:29], 0, v[0:1]
	v_lshlrev_b64 v[0:1], 2, v[0:1]
	v_mad_i64_i32 v[0:1], s[28:29], s22, 12, v[0:1]
	s_lshl_b64 s[28:29], s[4:5], 3
	v_lshl_add_u64 v[22:23], v[8:9], 0, s[12:13]
	s_add_u32 s12, s28, s12
	s_addc_u32 s13, s29, s13
	v_lshl_add_u64 v[46:47], v[8:9], 0, s[34:35]
	s_add_u32 s34, s12, s16
	s_addc_u32 s35, s13, s17
	;; [unrolled: 3-line block ×4, first 2 shown]
	v_lshl_add_u64 v[28:29], v[8:9], 0, s[38:39]
	s_add_u32 s38, s38, s28
	s_mul_i32 s44, s22, 12
	s_addc_u32 s39, s39, s29
	s_mul_hi_i32 s37, s22, 12
	s_add_u32 s28, s44, s28
	s_addc_u32 s29, s37, s29
	s_mul_i32 s37, s22, 0xc0
	v_lshl_add_u64 v[38:39], v[8:9], 0, s[42:43]
	s_mul_hi_i32 s42, s4, 12
	s_add_u32 s26, s37, s26
	v_lshl_add_u64 v[48:49], v[8:9], 0, v[0:1]
	v_lshl_add_u64 v[0:1], s[28:29], 0, v[2:3]
	s_addc_u32 s27, s42, s27
	v_lshl_add_u64 v[52:53], v[8:9], 0, v[0:1]
	v_mad_i64_i32 v[0:1], s[28:29], s4, 12, v[2:3]
	s_add_u32 s4, s22, s4
	v_lshl_add_u64 v[30:31], v[8:9], 0, v[4:5]
	s_addc_u32 s22, s23, s5
	v_mad_u64_u32 v[4:5], s[4:5], s4, 12, v[2:3]
	v_sub_co_u32_e32 v24, vcc, 0, v6
	v_mov_b32_e32 v6, v5
	s_nop 0
	v_subb_co_u32_e32 v25, vcc, 0, v7, vcc
	v_mad_u64_u32 v[6:7], s[4:5], s22, 12, v[6:7]
	v_mov_b32_e32 v5, v6
	v_lshl_add_u64 v[6:7], v[0:1], 0, s[16:17]
	v_lshl_add_u64 v[54:55], v[8:9], 0, v[0:1]
	;; [unrolled: 1-line block ×5, first 2 shown]
	s_movk_i32 s9, 0x430
	v_and_b32_e32 v11, 0x1fff0, v14
	v_lshl_add_u64 v[60:61], v[8:9], 0, v[0:1]
	v_lshl_add_u64 v[0:1], s[26:27], 0, v[2:3]
	v_cmp_gt_u32_e64 s[0:1], 64, v14
	v_add_u32_e32 v92, v10, v11
	v_lshl_add_u64 v[58:59], v[8:9], 0, v[6:7]
	v_lshl_add_u64 v[62:63], v[8:9], 0, v[0:1]
	;; [unrolled: 1-line block ×7, first 2 shown]
	v_add_u32_e32 v93, 0x10c0, v86
	v_add_u32_e32 v94, 0x11c0, v86
	v_mad_u32_u24 v95, v17, s9, v86
	v_or_b32_e32 v96, 1, v87
	v_or_b32_e32 v97, 2, v87
	;; [unrolled: 1-line block ×3, first 2 shown]
	v_add_u32_e32 v99, 16, v87
	v_add_u32_e32 v100, 17, v87
	;; [unrolled: 1-line block ×13, first 2 shown]
	s_cmp_eq_u32 s3, s2
	s_cselect_b32 s22, s36, 0
	s_and_saveexec_b64 s[4:5], s[14:15]
	s_cbranch_execz .LBB75_74
.LBB75_71:
	s_cmp_eq_u32 s22, 0
	s_cselect_b64 s[12:13], -1, 0
	v_cmp_gt_i32_e32 vcc, s22, v18
	s_or_b64 s[16:17], s[12:13], vcc
	v_mov_b32_e32 v0, 0
	s_and_saveexec_b64 s[12:13], s[16:17]
	s_cbranch_execz .LBB75_73
; %bb.72:
	s_ashr_i32 s9, s8, 31
	v_lshl_add_u64 v[0:1], s[8:9], 2, v[20:21]
	global_load_dword v0, v[0:1], off
.LBB75_73:
	s_or_b64 exec, exec, s[12:13]
	s_waitcnt vmcnt(0)
	ds_write_b32 v93, v0
.LBB75_74:                              ; =>This Inner Loop Header: Depth=1
	s_or_b64 exec, exec, s[4:5]
	s_cmp_eq_u32 s22, 0
	s_cselect_b64 s[12:13], -1, 0
	s_cmp_lg_u32 s22, 0
	s_cselect_b64 s[16:17], -1, 0
	v_lshl_add_u64 v[0:1], v[22:23], 0, v[26:27]
	s_mov_b64 s[4:5], -1
	s_and_b64 vcc, exec, s[16:17]
	s_waitcnt lgkmcnt(0)
	s_barrier
                                        ; implicit-def: $vgpr113
                                        ; implicit-def: $vgpr114
                                        ; implicit-def: $vgpr111
                                        ; implicit-def: $vgpr112
	s_cbranch_vccz .LBB75_84
; %bb.75:                               ;   in Loop: Header=BB75_74 Depth=1
	v_cmp_gt_i32_e32 vcc, s22, v87
	v_mov_b32_e32 v111, 0
	v_mov_b32_e32 v112, 0
	s_and_saveexec_b64 s[4:5], vcc
	s_cbranch_execz .LBB75_77
; %bb.76:                               ;   in Loop: Header=BB75_74 Depth=1
	global_load_dword v112, v[0:1], off
.LBB75_77:                              ;   in Loop: Header=BB75_74 Depth=1
	s_or_b64 exec, exec, s[4:5]
	v_cmp_gt_i32_e32 vcc, s22, v96
	s_and_saveexec_b64 s[4:5], vcc
	s_cbranch_execz .LBB75_79
; %bb.78:                               ;   in Loop: Header=BB75_74 Depth=1
	v_lshl_add_u64 v[2:3], v[32:33], 0, v[26:27]
	global_load_dword v111, v[2:3], off
.LBB75_79:                              ;   in Loop: Header=BB75_74 Depth=1
	s_or_b64 exec, exec, s[4:5]
	v_cmp_gt_i32_e32 vcc, s22, v97
	v_mov_b32_e32 v113, 0
	v_mov_b32_e32 v114, 0
	s_and_saveexec_b64 s[4:5], vcc
	s_cbranch_execz .LBB75_81
; %bb.80:                               ;   in Loop: Header=BB75_74 Depth=1
	v_lshl_add_u64 v[2:3], v[34:35], 0, v[26:27]
	global_load_dword v114, v[2:3], off
.LBB75_81:                              ;   in Loop: Header=BB75_74 Depth=1
	s_or_b64 exec, exec, s[4:5]
	v_cmp_gt_i32_e32 vcc, s22, v98
	s_and_saveexec_b64 s[4:5], vcc
	s_cbranch_execz .LBB75_83
; %bb.82:                               ;   in Loop: Header=BB75_74 Depth=1
	v_lshl_add_u64 v[2:3], v[36:37], 0, v[26:27]
	global_load_dword v113, v[2:3], off
.LBB75_83:                              ;   in Loop: Header=BB75_74 Depth=1
	s_or_b64 exec, exec, s[4:5]
	s_mov_b64 s[4:5], 0
.LBB75_84:                              ;   in Loop: Header=BB75_74 Depth=1
	s_and_b64 vcc, exec, s[4:5]
	s_cbranch_vccz .LBB75_86
; %bb.85:                               ;   in Loop: Header=BB75_74 Depth=1
	global_load_dword v112, v[0:1], off
	v_lshl_add_u64 v[0:1], v[32:33], 0, v[26:27]
	global_load_dword v111, v[0:1], off
	v_lshl_add_u64 v[0:1], v[28:29], 0, v[26:27]
	global_load_dword v114, v[0:1], off
	v_lshl_add_u64 v[0:1], v[30:31], 0, v[24:25]
	global_load_dword v113, v[0:1], off
.LBB75_86:                              ;   in Loop: Header=BB75_74 Depth=1
	ds_read_b32 v4, v94
	ds_read_b128 v[0:3], v88
	s_andn2_b64 vcc, exec, s[16:17]
                                        ; implicit-def: $vgpr117
                                        ; implicit-def: $vgpr118
                                        ; implicit-def: $vgpr115
                                        ; implicit-def: $vgpr116
	s_waitcnt vmcnt(0) lgkmcnt(1)
	v_mul_f32_e32 v5, v112, v4
	v_mul_f32_e32 v6, v111, v4
	;; [unrolled: 1-line block ×4, first 2 shown]
	ds_write2_b32 v95, v5, v6 offset1:67
	ds_write2_b32 v95, v7, v4 offset0:134 offset1:201
	s_waitcnt lgkmcnt(0)
	s_barrier
	ds_read2_b32 v[78:79], v92 offset1:1
	ds_read2_b32 v[76:77], v92 offset0:2 offset1:3
	v_cndmask_b32_e64 v6, 0, 1, s[16:17]
	v_lshl_add_u64 v[4:5], v[38:39], 0, v[26:27]
	v_cmp_ne_u32_e64 s[4:5], 1, v6
	s_mov_b64 s[16:17], -1
	s_waitcnt lgkmcnt(0)
	s_barrier
	s_cbranch_vccnz .LBB75_96
; %bb.87:                               ;   in Loop: Header=BB75_74 Depth=1
	v_cmp_gt_i32_e32 vcc, s22, v99
	v_mov_b32_e32 v115, 0
	v_mov_b32_e32 v116, 0
	s_and_saveexec_b64 s[16:17], vcc
	s_cbranch_execz .LBB75_89
; %bb.88:                               ;   in Loop: Header=BB75_74 Depth=1
	global_load_dword v116, v[4:5], off
.LBB75_89:                              ;   in Loop: Header=BB75_74 Depth=1
	s_or_b64 exec, exec, s[16:17]
	v_cmp_gt_i32_e32 vcc, s22, v100
	s_and_saveexec_b64 s[16:17], vcc
	s_cbranch_execz .LBB75_91
; %bb.90:                               ;   in Loop: Header=BB75_74 Depth=1
	v_lshl_add_u64 v[6:7], v[40:41], 0, v[26:27]
	global_load_dword v115, v[6:7], off
.LBB75_91:                              ;   in Loop: Header=BB75_74 Depth=1
	s_or_b64 exec, exec, s[16:17]
	v_cmp_gt_i32_e32 vcc, s22, v101
	v_mov_b32_e32 v117, 0
	v_mov_b32_e32 v118, 0
	s_and_saveexec_b64 s[16:17], vcc
	s_cbranch_execz .LBB75_93
; %bb.92:                               ;   in Loop: Header=BB75_74 Depth=1
	v_lshl_add_u64 v[6:7], v[42:43], 0, v[26:27]
	global_load_dword v118, v[6:7], off
.LBB75_93:                              ;   in Loop: Header=BB75_74 Depth=1
	s_or_b64 exec, exec, s[16:17]
	v_cmp_gt_i32_e32 vcc, s22, v102
	s_and_saveexec_b64 s[16:17], vcc
	s_cbranch_execz .LBB75_95
; %bb.94:                               ;   in Loop: Header=BB75_74 Depth=1
	v_lshl_add_u64 v[6:7], v[44:45], 0, v[26:27]
	global_load_dword v117, v[6:7], off
.LBB75_95:                              ;   in Loop: Header=BB75_74 Depth=1
	s_or_b64 exec, exec, s[16:17]
	s_mov_b64 s[16:17], 0
.LBB75_96:                              ;   in Loop: Header=BB75_74 Depth=1
	s_and_b64 vcc, exec, s[16:17]
	s_cbranch_vccz .LBB75_98
; %bb.97:                               ;   in Loop: Header=BB75_74 Depth=1
	global_load_dword v116, v[4:5], off
	v_lshl_add_u64 v[4:5], v[40:41], 0, v[26:27]
	global_load_dword v115, v[4:5], off
	v_lshl_add_u64 v[4:5], v[46:47], 0, v[26:27]
	;; [unrolled: 2-line block ×3, first 2 shown]
	global_load_dword v117, v[4:5], off
.LBB75_98:                              ;   in Loop: Header=BB75_74 Depth=1
	ds_read_b32 v8, v94
	ds_read_b128 v[4:7], v88 offset:64
	s_and_b64 vcc, exec, s[4:5]
	s_mov_b64 s[16:17], -1
                                        ; implicit-def: $vgpr121
                                        ; implicit-def: $vgpr122
                                        ; implicit-def: $vgpr119
                                        ; implicit-def: $vgpr120
	s_waitcnt vmcnt(0) lgkmcnt(1)
	v_mul_f32_e32 v9, v116, v8
	v_mul_f32_e32 v10, v115, v8
	;; [unrolled: 1-line block ×4, first 2 shown]
	ds_write2_b32 v95, v9, v10 offset1:67
	ds_write2_b32 v95, v11, v8 offset0:134 offset1:201
	s_waitcnt lgkmcnt(0)
	s_barrier
	ds_read2_b32 v[14:15], v92 offset1:1
	ds_read2_b32 v[12:13], v92 offset0:2 offset1:3
	v_lshl_add_u64 v[8:9], v[50:51], 0, v[26:27]
	s_waitcnt lgkmcnt(0)
	s_barrier
	s_cbranch_vccnz .LBB75_108
; %bb.99:                               ;   in Loop: Header=BB75_74 Depth=1
	v_cmp_gt_i32_e32 vcc, s22, v103
	v_mov_b32_e32 v119, 0
	v_mov_b32_e32 v120, 0
	s_and_saveexec_b64 s[16:17], vcc
	s_cbranch_execz .LBB75_101
; %bb.100:                              ;   in Loop: Header=BB75_74 Depth=1
	global_load_dword v120, v[8:9], off
.LBB75_101:                             ;   in Loop: Header=BB75_74 Depth=1
	s_or_b64 exec, exec, s[16:17]
	v_cmp_gt_i32_e32 vcc, s22, v104
	s_and_saveexec_b64 s[16:17], vcc
	s_cbranch_execz .LBB75_103
; %bb.102:                              ;   in Loop: Header=BB75_74 Depth=1
	v_lshl_add_u64 v[10:11], v[66:67], 0, v[26:27]
	global_load_dword v119, v[10:11], off
.LBB75_103:                             ;   in Loop: Header=BB75_74 Depth=1
	s_or_b64 exec, exec, s[16:17]
	v_cmp_gt_i32_e32 vcc, s22, v105
	v_mov_b32_e32 v121, 0
	v_mov_b32_e32 v122, 0
	s_and_saveexec_b64 s[16:17], vcc
	s_cbranch_execz .LBB75_105
; %bb.104:                              ;   in Loop: Header=BB75_74 Depth=1
	v_lshl_add_u64 v[10:11], v[68:69], 0, v[26:27]
	global_load_dword v122, v[10:11], off
.LBB75_105:                             ;   in Loop: Header=BB75_74 Depth=1
	s_or_b64 exec, exec, s[16:17]
	v_cmp_gt_i32_e32 vcc, s22, v106
	s_and_saveexec_b64 s[16:17], vcc
	s_cbranch_execz .LBB75_107
; %bb.106:                              ;   in Loop: Header=BB75_74 Depth=1
	v_lshl_add_u64 v[10:11], v[70:71], 0, v[26:27]
	global_load_dword v121, v[10:11], off
.LBB75_107:                             ;   in Loop: Header=BB75_74 Depth=1
	s_or_b64 exec, exec, s[16:17]
	s_mov_b64 s[16:17], 0
.LBB75_108:                             ;   in Loop: Header=BB75_74 Depth=1
	s_and_b64 vcc, exec, s[16:17]
	s_cbranch_vccz .LBB75_110
; %bb.109:                              ;   in Loop: Header=BB75_74 Depth=1
	global_load_dword v120, v[8:9], off
	v_lshl_add_u64 v[8:9], v[66:67], 0, v[26:27]
	global_load_dword v119, v[8:9], off
	v_lshl_add_u64 v[8:9], v[72:73], 0, v[26:27]
	;; [unrolled: 2-line block ×3, first 2 shown]
	global_load_dword v121, v[8:9], off
.LBB75_110:                             ;   in Loop: Header=BB75_74 Depth=1
	ds_read_b32 v75, v94
	ds_read_b128 v[8:11], v88 offset:128
	v_lshl_add_u64 v[84:85], v[54:55], 0, v[24:25]
	s_and_b64 vcc, exec, s[4:5]
	s_mov_b64 s[4:5], -1
	s_waitcnt vmcnt(0) lgkmcnt(1)
	v_mul_f32_e32 v80, v120, v75
	v_mul_f32_e32 v81, v119, v75
	;; [unrolled: 1-line block ×4, first 2 shown]
	ds_write2_b32 v95, v80, v81 offset1:67
	ds_write2_b32 v95, v82, v75 offset0:134 offset1:201
	s_waitcnt lgkmcnt(0)
	s_barrier
	ds_read2_b32 v[82:83], v92 offset1:1
	ds_read2_b32 v[80:81], v92 offset0:2 offset1:3
	s_waitcnt lgkmcnt(0)
	s_barrier
                                        ; implicit-def: $vgpr125
                                        ; implicit-def: $vgpr126
                                        ; implicit-def: $vgpr123
                                        ; implicit-def: $vgpr124
	s_cbranch_vccnz .LBB75_120
; %bb.111:                              ;   in Loop: Header=BB75_74 Depth=1
	v_cmp_gt_i32_e32 vcc, s22, v107
	v_mov_b32_e32 v123, 0
	v_mov_b32_e32 v124, 0
	s_and_saveexec_b64 s[4:5], vcc
	s_cbranch_execz .LBB75_113
; %bb.112:                              ;   in Loop: Header=BB75_74 Depth=1
	global_load_dword v124, v[84:85], off
.LBB75_113:                             ;   in Loop: Header=BB75_74 Depth=1
	s_or_b64 exec, exec, s[4:5]
	v_cmp_gt_i32_e32 vcc, s22, v108
	s_and_saveexec_b64 s[4:5], vcc
	s_cbranch_execz .LBB75_115
; %bb.114:                              ;   in Loop: Header=BB75_74 Depth=1
	v_lshl_add_u64 v[126:127], v[56:57], 0, v[24:25]
	global_load_dword v123, v[126:127], off
.LBB75_115:                             ;   in Loop: Header=BB75_74 Depth=1
	s_or_b64 exec, exec, s[4:5]
	v_cmp_gt_i32_e32 vcc, s22, v109
	v_mov_b32_e32 v125, 0
	v_mov_b32_e32 v126, 0
	s_and_saveexec_b64 s[4:5], vcc
	s_cbranch_execz .LBB75_117
; %bb.116:                              ;   in Loop: Header=BB75_74 Depth=1
	v_lshl_add_u64 v[126:127], v[58:59], 0, v[24:25]
	global_load_dword v126, v[126:127], off
.LBB75_117:                             ;   in Loop: Header=BB75_74 Depth=1
	s_or_b64 exec, exec, s[4:5]
	v_cmp_gt_i32_e32 vcc, s22, v110
	s_and_saveexec_b64 s[4:5], vcc
	s_cbranch_execz .LBB75_119
; %bb.118:                              ;   in Loop: Header=BB75_74 Depth=1
	v_lshl_add_u64 v[128:129], v[60:61], 0, v[24:25]
	global_load_dword v125, v[128:129], off
.LBB75_119:                             ;   in Loop: Header=BB75_74 Depth=1
	s_or_b64 exec, exec, s[4:5]
	s_mov_b64 s[4:5], 0
.LBB75_120:                             ;   in Loop: Header=BB75_74 Depth=1
	s_and_b64 vcc, exec, s[4:5]
	s_cbranch_vccz .LBB75_122
; %bb.121:                              ;   in Loop: Header=BB75_74 Depth=1
	global_load_dword v124, v[84:85], off
	v_lshl_add_u64 v[84:85], v[56:57], 0, v[24:25]
	global_load_dword v123, v[84:85], off
	v_lshl_add_u64 v[84:85], v[62:63], 0, v[24:25]
	;; [unrolled: 2-line block ×3, first 2 shown]
	global_load_dword v125, v[84:85], off
.LBB75_122:                             ;   in Loop: Header=BB75_74 Depth=1
	v_add_f32_e32 v75, 0, v82
	v_add_f32_e32 v75, v75, v83
	;; [unrolled: 1-line block ×3, first 2 shown]
	ds_read_b32 v80, v94
	v_add_f32_e32 v14, 0, v14
	v_add_f32_e32 v14, v14, v15
	;; [unrolled: 1-line block ×5, first 2 shown]
	ds_read_b128 v[12:15], v88 offset:192
	s_waitcnt vmcnt(0) lgkmcnt(1)
	v_mul_f32_e32 v81, v124, v80
	v_mul_f32_e32 v83, v123, v80
	ds_write2_b32 v95, v81, v83 offset1:67
	v_mul_f32_e32 v81, v126, v80
	v_mul_f32_e32 v80, v125, v80
	ds_write2_b32 v95, v81, v80 offset0:134 offset1:201
	s_waitcnt lgkmcnt(0)
	s_barrier
	ds_read2_b32 v[80:81], v92 offset1:1
	v_add_f32_e32 v78, 0, v78
	v_add_f32_e32 v83, v78, v79
	ds_read2_b32 v[78:79], v92 offset0:2 offset1:3
	v_add_f32_e32 v76, v83, v76
	v_add_f32_e32 v76, v76, v77
	s_waitcnt lgkmcnt(1)
	v_add_f32_e32 v77, 0, v80
	v_cmp_gt_i32_e32 vcc, s22, v18
	v_add_f32_e32 v77, v77, v81
	s_or_b64 s[4:5], s[12:13], vcc
	s_waitcnt lgkmcnt(0)
	v_add_f32_e32 v77, v77, v78
	s_and_b64 s[12:13], s[0:1], s[4:5]
	v_add_f32_e32 v77, v77, v79
	s_barrier
	ds_write2_b32 v89, v76, v82 offset1:16
	ds_write2_b32 v89, v75, v77 offset0:32 offset1:48
	s_waitcnt lgkmcnt(0)
	s_barrier
	s_and_saveexec_b64 s[4:5], s[12:13]
	s_cbranch_execz .LBB75_124
; %bb.123:                              ;   in Loop: Header=BB75_74 Depth=1
	ds_read2_b32 v[76:77], v90 offset1:1
	ds_read2_b32 v[78:79], v90 offset0:2 offset1:3
	ds_read2_b32 v[80:81], v90 offset0:4 offset1:5
	;; [unrolled: 1-line block ×4, first 2 shown]
	s_waitcnt lgkmcnt(4)
	v_add_f32_e32 v75, v76, v77
	s_waitcnt lgkmcnt(3)
	v_add_f32_e32 v75, v75, v78
	v_add_f32_e32 v75, v75, v79
	s_waitcnt lgkmcnt(2)
	v_add_f32_e32 v75, v75, v80
	;; [unrolled: 3-line block ×3, first 2 shown]
	v_add_f32_e32 v75, v75, v83
	ds_read2_b32 v[76:77], v90 offset0:10 offset1:11
	ds_read2_b32 v[78:79], v90 offset0:12 offset1:13
	ds_read_b32 v80, v90 offset:56
	s_waitcnt lgkmcnt(3)
	v_add_f32_e32 v75, v75, v84
	v_add_f32_e32 v75, v75, v85
	s_waitcnt lgkmcnt(2)
	v_add_f32_e32 v75, v75, v76
	ds_read_b32 v76, v91
	v_add_f32_e32 v75, v75, v77
	s_waitcnt lgkmcnt(2)
	v_add_f32_e32 v75, v75, v78
	v_add_f32_e32 v75, v75, v79
	s_waitcnt lgkmcnt(1)
	v_add_f32_e32 v75, v75, v80
	s_waitcnt lgkmcnt(0)
	v_add_f32_e32 v78, v75, v76
	v_ashrrev_i32_e32 v75, 31, v74
	v_lshl_add_u64 v[76:77], v[74:75], 2, s[6:7]
	global_store_dword v[76:77], v78, off
.LBB75_124:                             ;   in Loop: Header=BB75_74 Depth=1
	s_or_b64 exec, exec, s[4:5]
	v_fmac_f32_e32 v19, v112, v0
	v_fmac_f32_e32 v19, v111, v1
	;; [unrolled: 1-line block ×15, first 2 shown]
	s_add_i32 s4, s2, 1
	s_add_i32 s8, s8, s19
	;; [unrolled: 1-line block ×3, first 2 shown]
	v_fmac_f32_e32 v19, v125, v15
	v_add_u32_e32 v74, 64, v74
	v_lshl_add_u64 v[22:23], v[22:23], 0, s[10:11]
	v_lshl_add_u64 v[28:29], v[28:29], 0, s[10:11]
	;; [unrolled: 1-line block ×23, first 2 shown]
	s_cmp_ge_u32 s2, s33
	v_lshl_add_u64 v[64:65], v[64:65], 0, s[10:11]
	s_barrier
	s_cbranch_scc1 .LBB75_126
; %bb.125:                              ;   in Loop: Header=BB75_74 Depth=1
	s_mov_b32 s2, s4
	s_cmp_eq_u32 s3, s2
	s_cselect_b32 s22, s36, 0
	s_and_saveexec_b64 s[4:5], s[14:15]
	s_cbranch_execnz .LBB75_71
	s_branch .LBB75_74
.LBB75_126:
	s_movk_i32 s0, 0x10c
	v_cmp_gt_i32_e32 vcc, s18, v18
	v_mad_u32_u24 v0, v17, s0, v86
	s_or_b64 s[0:1], s[20:21], vcc
	s_and_b64 s[0:1], s[14:15], s[0:1]
	ds_write_b32 v0, v19
	s_waitcnt lgkmcnt(0)
	s_barrier
	s_and_saveexec_b64 s[2:3], s[0:1]
	s_cbranch_execz .LBB75_128
; %bb.127:
	ds_read2_b32 v[0:1], v86 offset1:67
	ds_read2_b32 v[2:3], v86 offset0:134 offset1:201
	v_ashrrev_i32_e32 v17, 31, v16
	s_waitcnt lgkmcnt(1)
	v_add_f32_e32 v0, v0, v1
	s_waitcnt lgkmcnt(0)
	v_add_f32_e32 v0, v0, v2
	v_add_f32_e32 v2, v0, v3
	v_lshl_add_u64 v[0:1], v[16:17], 2, s[6:7]
	global_store_dword v[0:1], v2, off
.LBB75_128:
	s_endpgm
	.section	.rodata,"a",@progbits
	.p2align	6, 0x0
	.amdhsa_kernel _ZL26rocblas_hemvn_kernel_upperILb0ELi64ELi4ELi33ELi32ELi16EifPKfPfEviT6_lT7_lT5_lS4_lS5_lS3_lT8_i
		.amdhsa_group_segment_fixed_size 4800
		.amdhsa_private_segment_fixed_size 0
		.amdhsa_kernarg_size 368
		.amdhsa_user_sgpr_count 2
		.amdhsa_user_sgpr_dispatch_ptr 0
		.amdhsa_user_sgpr_queue_ptr 0
		.amdhsa_user_sgpr_kernarg_segment_ptr 1
		.amdhsa_user_sgpr_dispatch_id 0
		.amdhsa_user_sgpr_kernarg_preload_length 0
		.amdhsa_user_sgpr_kernarg_preload_offset 0
		.amdhsa_user_sgpr_private_segment_size 0
		.amdhsa_uses_dynamic_stack 0
		.amdhsa_enable_private_segment 0
		.amdhsa_system_sgpr_workgroup_id_x 1
		.amdhsa_system_sgpr_workgroup_id_y 0
		.amdhsa_system_sgpr_workgroup_id_z 1
		.amdhsa_system_sgpr_workgroup_info 0
		.amdhsa_system_vgpr_workitem_id 1
		.amdhsa_next_free_vgpr 130
		.amdhsa_next_free_sgpr 45
		.amdhsa_accum_offset 132
		.amdhsa_reserve_vcc 1
		.amdhsa_float_round_mode_32 0
		.amdhsa_float_round_mode_16_64 0
		.amdhsa_float_denorm_mode_32 3
		.amdhsa_float_denorm_mode_16_64 3
		.amdhsa_dx10_clamp 1
		.amdhsa_ieee_mode 1
		.amdhsa_fp16_overflow 0
		.amdhsa_tg_split 0
		.amdhsa_exception_fp_ieee_invalid_op 0
		.amdhsa_exception_fp_denorm_src 0
		.amdhsa_exception_fp_ieee_div_zero 0
		.amdhsa_exception_fp_ieee_overflow 0
		.amdhsa_exception_fp_ieee_underflow 0
		.amdhsa_exception_fp_ieee_inexact 0
		.amdhsa_exception_int_div_zero 0
	.end_amdhsa_kernel
	.section	.text._ZL26rocblas_hemvn_kernel_upperILb0ELi64ELi4ELi33ELi32ELi16EifPKfPfEviT6_lT7_lT5_lS4_lS5_lS3_lT8_i,"axG",@progbits,_ZL26rocblas_hemvn_kernel_upperILb0ELi64ELi4ELi33ELi32ELi16EifPKfPfEviT6_lT7_lT5_lS4_lS5_lS3_lT8_i,comdat
.Lfunc_end75:
	.size	_ZL26rocblas_hemvn_kernel_upperILb0ELi64ELi4ELi33ELi32ELi16EifPKfPfEviT6_lT7_lT5_lS4_lS5_lS3_lT8_i, .Lfunc_end75-_ZL26rocblas_hemvn_kernel_upperILb0ELi64ELi4ELi33ELi32ELi16EifPKfPfEviT6_lT7_lT5_lS4_lS5_lS3_lT8_i
                                        ; -- End function
	.set _ZL26rocblas_hemvn_kernel_upperILb0ELi64ELi4ELi33ELi32ELi16EifPKfPfEviT6_lT7_lT5_lS4_lS5_lS3_lT8_i.num_vgpr, 130
	.set _ZL26rocblas_hemvn_kernel_upperILb0ELi64ELi4ELi33ELi32ELi16EifPKfPfEviT6_lT7_lT5_lS4_lS5_lS3_lT8_i.num_agpr, 0
	.set _ZL26rocblas_hemvn_kernel_upperILb0ELi64ELi4ELi33ELi32ELi16EifPKfPfEviT6_lT7_lT5_lS4_lS5_lS3_lT8_i.numbered_sgpr, 45
	.set _ZL26rocblas_hemvn_kernel_upperILb0ELi64ELi4ELi33ELi32ELi16EifPKfPfEviT6_lT7_lT5_lS4_lS5_lS3_lT8_i.num_named_barrier, 0
	.set _ZL26rocblas_hemvn_kernel_upperILb0ELi64ELi4ELi33ELi32ELi16EifPKfPfEviT6_lT7_lT5_lS4_lS5_lS3_lT8_i.private_seg_size, 0
	.set _ZL26rocblas_hemvn_kernel_upperILb0ELi64ELi4ELi33ELi32ELi16EifPKfPfEviT6_lT7_lT5_lS4_lS5_lS3_lT8_i.uses_vcc, 1
	.set _ZL26rocblas_hemvn_kernel_upperILb0ELi64ELi4ELi33ELi32ELi16EifPKfPfEviT6_lT7_lT5_lS4_lS5_lS3_lT8_i.uses_flat_scratch, 0
	.set _ZL26rocblas_hemvn_kernel_upperILb0ELi64ELi4ELi33ELi32ELi16EifPKfPfEviT6_lT7_lT5_lS4_lS5_lS3_lT8_i.has_dyn_sized_stack, 0
	.set _ZL26rocblas_hemvn_kernel_upperILb0ELi64ELi4ELi33ELi32ELi16EifPKfPfEviT6_lT7_lT5_lS4_lS5_lS3_lT8_i.has_recursion, 0
	.set _ZL26rocblas_hemvn_kernel_upperILb0ELi64ELi4ELi33ELi32ELi16EifPKfPfEviT6_lT7_lT5_lS4_lS5_lS3_lT8_i.has_indirect_call, 0
	.section	.AMDGPU.csdata,"",@progbits
; Kernel info:
; codeLenInByte = 6532
; TotalNumSgprs: 51
; NumVgprs: 130
; NumAgprs: 0
; TotalNumVgprs: 130
; ScratchSize: 0
; MemoryBound: 0
; FloatMode: 240
; IeeeMode: 1
; LDSByteSize: 4800 bytes/workgroup (compile time only)
; SGPRBlocks: 6
; VGPRBlocks: 16
; NumSGPRsForWavesPerEU: 51
; NumVGPRsForWavesPerEU: 130
; AccumOffset: 132
; Occupancy: 3
; WaveLimiterHint : 1
; COMPUTE_PGM_RSRC2:SCRATCH_EN: 0
; COMPUTE_PGM_RSRC2:USER_SGPR: 2
; COMPUTE_PGM_RSRC2:TRAP_HANDLER: 0
; COMPUTE_PGM_RSRC2:TGID_X_EN: 1
; COMPUTE_PGM_RSRC2:TGID_Y_EN: 0
; COMPUTE_PGM_RSRC2:TGID_Z_EN: 1
; COMPUTE_PGM_RSRC2:TIDIG_COMP_CNT: 1
; COMPUTE_PGM_RSRC3_GFX90A:ACCUM_OFFSET: 32
; COMPUTE_PGM_RSRC3_GFX90A:TG_SPLIT: 0
	.section	.text._ZL36rocblas_hemvn_kernel_upper_block_sumILi64EifPffEviT1_lS1_lT2_lT0_lPT3_i,"axG",@progbits,_ZL36rocblas_hemvn_kernel_upper_block_sumILi64EifPffEviT1_lS1_lT2_lT0_lPT3_i,comdat
	.globl	_ZL36rocblas_hemvn_kernel_upper_block_sumILi64EifPffEviT1_lS1_lT2_lT0_lPT3_i ; -- Begin function _ZL36rocblas_hemvn_kernel_upper_block_sumILi64EifPffEviT1_lS1_lT2_lT0_lPT3_i
	.p2align	8
	.type	_ZL36rocblas_hemvn_kernel_upper_block_sumILi64EifPffEviT1_lS1_lT2_lT0_lPT3_i,@function
_ZL36rocblas_hemvn_kernel_upper_block_sumILi64EifPffEviT1_lS1_lT2_lT0_lPT3_i: ; @_ZL36rocblas_hemvn_kernel_upper_block_sumILi64EifPffEviT1_lS1_lT2_lT0_lPT3_i
; %bb.0:
	s_load_dwordx2 s[12:13], s[0:1], 0x0
	s_load_dword s11, s[0:1], 0x10
	s_waitcnt lgkmcnt(0)
	v_cmp_eq_f32_e64 s[4:5], s13, 0
	v_cmp_eq_f32_e64 s[6:7], s11, 1.0
	s_and_b64 s[4:5], s[4:5], s[6:7]
	s_and_b64 vcc, exec, s[4:5]
	s_cbranch_vccnz .LBB76_19
; %bb.1:
	s_load_dwordx4 s[4:7], s[0:1], 0x38
	s_load_dwordx4 s[16:19], s[0:1], 0x20
	s_load_dword s10, s[0:1], 0x30
	v_lshl_or_b32 v0, s2, 6, v0
	s_waitcnt lgkmcnt(0)
	s_mul_i32 s5, s5, s3
	s_mul_hi_u32 s8, s4, s3
	s_mul_i32 s4, s4, s3
	s_add_i32 s5, s8, s5
	s_lshl_b64 s[4:5], s[4:5], 2
	s_add_u32 s8, s16, s4
	s_addc_u32 s9, s17, s5
	s_lshl_b64 s[4:5], s[18:19], 2
	s_add_u32 s8, s8, s4
	s_addc_u32 s9, s9, s5
	v_cmp_neq_f32_e64 s[4:5], s13, 0
	s_and_b64 vcc, exec, s[4:5]
	v_cmp_gt_i32_e64 s[4:5], s12, v0
	s_cbranch_vccnz .LBB76_6
; %bb.2:
	s_mov_b64 s[16:17], 0
	s_mov_b64 s[14:15], 0
                                        ; implicit-def: $vgpr4
                                        ; implicit-def: $vgpr2_vgpr3
	s_and_saveexec_b64 s[18:19], s[4:5]
	s_cbranch_execz .LBB76_7
; %bb.3:
	v_cmp_eq_f32_e64 s[4:5], s11, 0
	v_mul_lo_u32 v2, s10, v0
	v_mov_b32_e32 v4, 0
	v_ashrrev_i32_e32 v3, 31, v2
	s_and_b64 vcc, exec, s[4:5]
	s_cbranch_vccnz .LBB76_5
; %bb.4:
	v_lshl_add_u64 v[4:5], v[2:3], 2, s[8:9]
	global_load_dword v1, v[4:5], off
	s_waitcnt vmcnt(0)
	v_mul_f32_e32 v4, s11, v1
.LBB76_5:
	s_mov_b64 s[14:15], exec
	s_or_b64 exec, exec, s[18:19]
	s_and_b64 vcc, exec, s[16:17]
	s_cbranch_vccnz .LBB76_8
	s_branch .LBB76_17
.LBB76_6:
	s_mov_b64 s[14:15], 0
                                        ; implicit-def: $vgpr4
                                        ; implicit-def: $vgpr2_vgpr3
	s_cbranch_execnz .LBB76_8
	s_branch .LBB76_17
.LBB76_7:
	s_or_b64 exec, exec, s[18:19]
	s_and_b64 vcc, exec, s[16:17]
	s_cbranch_vccz .LBB76_17
.LBB76_8:
	v_cmp_gt_i32_e32 vcc, s12, v0
                                        ; implicit-def: $vgpr4
                                        ; implicit-def: $vgpr2_vgpr3
	s_and_saveexec_b64 s[4:5], vcc
	s_cbranch_execz .LBB76_16
; %bb.9:
	s_cmp_lt_i32 s2, 0
	v_mov_b32_e32 v1, 0
	s_cbranch_scc1 .LBB76_12
; %bb.10:
	s_load_dword s0, s[0:1], 0x50
	s_ashr_i32 s17, s12, 31
	s_mul_hi_u32 s1, s12, s3
	s_mul_i32 s18, s17, s3
	s_add_i32 s1, s1, s18
	s_mul_i32 s3, s12, s3
	s_mov_b32 s16, s12
	s_waitcnt lgkmcnt(0)
	s_mul_i32 s1, s1, s0
	s_mul_hi_u32 s12, s3, s0
	s_add_i32 s1, s12, s1
	s_mul_i32 s0, s3, s0
	s_lshl_b64 s[0:1], s[0:1], 2
	s_add_u32 s0, s6, s0
	s_addc_u32 s1, s7, s1
	v_mov_b32_e32 v1, 0
	v_lshl_add_u64 v[2:3], v[0:1], 2, s[0:1]
	s_add_i32 s2, s2, 1
	s_lshl_b64 s[0:1], s[16:17], 2
.LBB76_11:                              ; =>This Inner Loop Header: Depth=1
	global_load_dword v4, v[2:3], off
	s_add_i32 s2, s2, -1
	v_lshl_add_u64 v[2:3], v[2:3], 0, s[0:1]
	s_cmp_eq_u32 s2, 0
	s_waitcnt vmcnt(0)
	v_add_f32_e32 v1, v1, v4
	s_cbranch_scc0 .LBB76_11
.LBB76_12:
	v_cmp_eq_f32_e64 s[0:1], s11, 0
	v_mul_lo_u32 v2, s10, v0
	s_and_b64 vcc, exec, s[0:1]
	v_ashrrev_i32_e32 v3, 31, v2
	s_cbranch_vccz .LBB76_20
; %bb.13:
	v_mul_f32_e32 v4, s13, v1
	s_cbranch_execnz .LBB76_15
.LBB76_14:
	v_lshl_add_u64 v[4:5], v[2:3], 2, s[8:9]
	global_load_dword v5, v[4:5], off
	s_mov_b32 s10, s13
	v_mov_b32_e32 v4, v1
	s_waitcnt vmcnt(0)
	v_pk_mul_f32 v[0:1], s[10:11], v[4:5]
	s_nop 0
	v_add_f32_e32 v4, v0, v1
.LBB76_15:
	s_or_b64 s[14:15], s[14:15], exec
.LBB76_16:
	s_or_b64 exec, exec, s[4:5]
.LBB76_17:
	s_and_saveexec_b64 s[0:1], s[14:15]
	s_cbranch_execz .LBB76_19
; %bb.18:
	v_lshl_add_u64 v[0:1], v[2:3], 2, s[8:9]
	global_store_dword v[0:1], v4, off
.LBB76_19:
	s_endpgm
.LBB76_20:
                                        ; implicit-def: $vgpr4
	s_branch .LBB76_14
	.section	.rodata,"a",@progbits
	.p2align	6, 0x0
	.amdhsa_kernel _ZL36rocblas_hemvn_kernel_upper_block_sumILi64EifPffEviT1_lS1_lT2_lT0_lPT3_i
		.amdhsa_group_segment_fixed_size 0
		.amdhsa_private_segment_fixed_size 0
		.amdhsa_kernarg_size 336
		.amdhsa_user_sgpr_count 2
		.amdhsa_user_sgpr_dispatch_ptr 0
		.amdhsa_user_sgpr_queue_ptr 0
		.amdhsa_user_sgpr_kernarg_segment_ptr 1
		.amdhsa_user_sgpr_dispatch_id 0
		.amdhsa_user_sgpr_kernarg_preload_length 0
		.amdhsa_user_sgpr_kernarg_preload_offset 0
		.amdhsa_user_sgpr_private_segment_size 0
		.amdhsa_uses_dynamic_stack 0
		.amdhsa_enable_private_segment 0
		.amdhsa_system_sgpr_workgroup_id_x 1
		.amdhsa_system_sgpr_workgroup_id_y 0
		.amdhsa_system_sgpr_workgroup_id_z 1
		.amdhsa_system_sgpr_workgroup_info 0
		.amdhsa_system_vgpr_workitem_id 0
		.amdhsa_next_free_vgpr 6
		.amdhsa_next_free_sgpr 20
		.amdhsa_accum_offset 8
		.amdhsa_reserve_vcc 1
		.amdhsa_float_round_mode_32 0
		.amdhsa_float_round_mode_16_64 0
		.amdhsa_float_denorm_mode_32 3
		.amdhsa_float_denorm_mode_16_64 3
		.amdhsa_dx10_clamp 1
		.amdhsa_ieee_mode 1
		.amdhsa_fp16_overflow 0
		.amdhsa_tg_split 0
		.amdhsa_exception_fp_ieee_invalid_op 0
		.amdhsa_exception_fp_denorm_src 0
		.amdhsa_exception_fp_ieee_div_zero 0
		.amdhsa_exception_fp_ieee_overflow 0
		.amdhsa_exception_fp_ieee_underflow 0
		.amdhsa_exception_fp_ieee_inexact 0
		.amdhsa_exception_int_div_zero 0
	.end_amdhsa_kernel
	.section	.text._ZL36rocblas_hemvn_kernel_upper_block_sumILi64EifPffEviT1_lS1_lT2_lT0_lPT3_i,"axG",@progbits,_ZL36rocblas_hemvn_kernel_upper_block_sumILi64EifPffEviT1_lS1_lT2_lT0_lPT3_i,comdat
.Lfunc_end76:
	.size	_ZL36rocblas_hemvn_kernel_upper_block_sumILi64EifPffEviT1_lS1_lT2_lT0_lPT3_i, .Lfunc_end76-_ZL36rocblas_hemvn_kernel_upper_block_sumILi64EifPffEviT1_lS1_lT2_lT0_lPT3_i
                                        ; -- End function
	.set _ZL36rocblas_hemvn_kernel_upper_block_sumILi64EifPffEviT1_lS1_lT2_lT0_lPT3_i.num_vgpr, 6
	.set _ZL36rocblas_hemvn_kernel_upper_block_sumILi64EifPffEviT1_lS1_lT2_lT0_lPT3_i.num_agpr, 0
	.set _ZL36rocblas_hemvn_kernel_upper_block_sumILi64EifPffEviT1_lS1_lT2_lT0_lPT3_i.numbered_sgpr, 20
	.set _ZL36rocblas_hemvn_kernel_upper_block_sumILi64EifPffEviT1_lS1_lT2_lT0_lPT3_i.num_named_barrier, 0
	.set _ZL36rocblas_hemvn_kernel_upper_block_sumILi64EifPffEviT1_lS1_lT2_lT0_lPT3_i.private_seg_size, 0
	.set _ZL36rocblas_hemvn_kernel_upper_block_sumILi64EifPffEviT1_lS1_lT2_lT0_lPT3_i.uses_vcc, 1
	.set _ZL36rocblas_hemvn_kernel_upper_block_sumILi64EifPffEviT1_lS1_lT2_lT0_lPT3_i.uses_flat_scratch, 0
	.set _ZL36rocblas_hemvn_kernel_upper_block_sumILi64EifPffEviT1_lS1_lT2_lT0_lPT3_i.has_dyn_sized_stack, 0
	.set _ZL36rocblas_hemvn_kernel_upper_block_sumILi64EifPffEviT1_lS1_lT2_lT0_lPT3_i.has_recursion, 0
	.set _ZL36rocblas_hemvn_kernel_upper_block_sumILi64EifPffEviT1_lS1_lT2_lT0_lPT3_i.has_indirect_call, 0
	.section	.AMDGPU.csdata,"",@progbits
; Kernel info:
; codeLenInByte = 528
; TotalNumSgprs: 26
; NumVgprs: 6
; NumAgprs: 0
; TotalNumVgprs: 6
; ScratchSize: 0
; MemoryBound: 0
; FloatMode: 240
; IeeeMode: 1
; LDSByteSize: 0 bytes/workgroup (compile time only)
; SGPRBlocks: 3
; VGPRBlocks: 0
; NumSGPRsForWavesPerEU: 26
; NumVGPRsForWavesPerEU: 6
; AccumOffset: 8
; Occupancy: 8
; WaveLimiterHint : 0
; COMPUTE_PGM_RSRC2:SCRATCH_EN: 0
; COMPUTE_PGM_RSRC2:USER_SGPR: 2
; COMPUTE_PGM_RSRC2:TRAP_HANDLER: 0
; COMPUTE_PGM_RSRC2:TGID_X_EN: 1
; COMPUTE_PGM_RSRC2:TGID_Y_EN: 0
; COMPUTE_PGM_RSRC2:TGID_Z_EN: 1
; COMPUTE_PGM_RSRC2:TIDIG_COMP_CNT: 0
; COMPUTE_PGM_RSRC3_GFX90A:ACCUM_OFFSET: 1
; COMPUTE_PGM_RSRC3_GFX90A:TG_SPLIT: 0
	.section	.text._ZL50rocblas_symv_kernel_lower_double_buffered_diagonalILi32ELi4E24rocblas_internal_val_ptrIfEPKfPfEvbiT1_lT2_lllS6_lllS5_lT3_llli,"axG",@progbits,_ZL50rocblas_symv_kernel_lower_double_buffered_diagonalILi32ELi4E24rocblas_internal_val_ptrIfEPKfPfEvbiT1_lT2_lllS6_lllS5_lT3_llli,comdat
	.globl	_ZL50rocblas_symv_kernel_lower_double_buffered_diagonalILi32ELi4E24rocblas_internal_val_ptrIfEPKfPfEvbiT1_lT2_lllS6_lllS5_lT3_llli ; -- Begin function _ZL50rocblas_symv_kernel_lower_double_buffered_diagonalILi32ELi4E24rocblas_internal_val_ptrIfEPKfPfEvbiT1_lT2_lllS6_lllS5_lT3_llli
	.p2align	8
	.type	_ZL50rocblas_symv_kernel_lower_double_buffered_diagonalILi32ELi4E24rocblas_internal_val_ptrIfEPKfPfEvbiT1_lT2_lllS6_lllS5_lT3_llli,@function
_ZL50rocblas_symv_kernel_lower_double_buffered_diagonalILi32ELi4E24rocblas_internal_val_ptrIfEPKfPfEvbiT1_lT2_lllS6_lllS5_lT3_llli: ; @_ZL50rocblas_symv_kernel_lower_double_buffered_diagonalILi32ELi4E24rocblas_internal_val_ptrIfEPKfPfEvbiT1_lT2_lllS6_lllS5_lT3_llli
; %bb.0:
	s_load_dword s20, s[0:1], 0x0
	s_load_dwordx16 s[4:19], s[0:1], 0x8
	s_mov_b64 s[30:31], -1
                                        ; implicit-def: $sgpr33
	s_waitcnt lgkmcnt(0)
	s_bitcmp1_b32 s20, 0
	s_cselect_b64 s[20:21], -1, 0
	s_xor_b64 s[28:29], s[20:21], -1
	s_and_b64 vcc, exec, s[28:29]
	s_cbranch_vccnz .LBB77_10
; %bb.1:
	s_load_dwordx8 s[20:27], s[0:1], 0x48
	s_andn2_b64 vcc, exec, s[30:31]
	s_cbranch_vccz .LBB77_11
.LBB77_2:
	s_andn2_b64 vcc, exec, s[28:29]
	s_cbranch_vccnz .LBB77_4
.LBB77_3:
	s_waitcnt lgkmcnt(0)
	s_mul_i32 s4, s27, s3
	s_mul_hi_u32 s5, s26, s3
	s_add_i32 s5, s5, s4
	s_mul_i32 s4, s26, s3
	s_lshl_b64 s[4:5], s[4:5], 2
	s_add_u32 s4, s24, s4
	s_addc_u32 s5, s25, s5
	s_load_dword s24, s[4:5], 0x0
.LBB77_4:
	s_waitcnt lgkmcnt(0)
	v_cmp_eq_f32_e64 s[4:5], s33, 0
	v_cmp_eq_f32_e64 s[6:7], s24, 1.0
	s_and_b64 s[4:5], s[4:5], s[6:7]
	s_and_b64 vcc, exec, s[4:5]
	s_cbranch_vccnz .LBB77_9
; %bb.5:
	s_load_dwordx2 s[26:27], s[0:1], 0x80
	s_load_dwordx2 s[28:29], s[0:1], 0x68
	s_load_dwordx4 s[4:7], s[0:1], 0x70
	v_bfe_u32 v5, v0, 10, 10
	v_and_b32_e32 v4, 0x3ff, v0
	s_waitcnt lgkmcnt(0)
	s_mul_i32 s1, s27, s3
	s_mul_hi_u32 s25, s26, s3
	s_mul_i32 s0, s26, s3
	s_add_i32 s1, s25, s1
	s_lshl_b64 s[0:1], s[0:1], 2
	s_add_u32 s25, s28, s0
	s_addc_u32 s26, s29, s1
	s_lshl_b64 s[0:1], s[4:5], 2
	s_add_u32 s4, s25, s0
	s_addc_u32 s5, s26, s1
	s_lshl_b32 s2, s2, 5
	s_ashr_i32 s25, s2, 31
	s_mul_i32 s0, s6, s25
	s_mul_hi_u32 s1, s6, s2
	s_add_i32 s0, s1, s0
	s_mul_i32 s1, s7, s2
	s_add_i32 s1, s0, s1
	s_mul_i32 s0, s6, s2
	s_lshl_b64 s[0:1], s[0:1], 2
	s_add_u32 s4, s4, s0
	s_addc_u32 s5, s5, s1
	v_cmp_neq_f32_e64 s[0:1], s33, 0
	s_and_b64 vcc, exec, s[0:1]
	v_cmp_eq_u32_e64 s[0:1], 0, v5
	s_cbranch_vccnz .LBB77_12
; %bb.6:
	s_and_saveexec_b64 s[26:27], s[0:1]
	s_cbranch_execz .LBB77_8
; %bb.7:
	v_mad_u64_u32 v[0:1], s[0:1], s6, v4, 0
	v_mov_b32_e32 v2, v1
	v_mad_u64_u32 v[2:3], s[0:1], s7, v4, v[2:3]
	v_mov_b32_e32 v1, v2
	v_lshl_add_u64 v[0:1], v[0:1], 2, s[4:5]
	global_load_dword v2, v[0:1], off
	s_waitcnt vmcnt(0)
	v_mul_f32_e32 v2, s24, v2
	global_store_dword v[0:1], v2, off
.LBB77_8:
	s_or_b64 exec, exec, s[26:27]
	s_cbranch_execz .LBB77_13
.LBB77_9:
	s_endpgm
.LBB77_10:
	s_mul_i32 s7, s7, s3
	s_mul_hi_u32 s20, s6, s3
	s_add_i32 s7, s20, s7
	s_mul_i32 s6, s6, s3
	s_lshl_b64 s[6:7], s[6:7], 2
	s_add_u32 s6, s4, s6
	s_addc_u32 s7, s5, s7
	s_load_dword s33, s[6:7], 0x0
	s_load_dwordx8 s[20:27], s[0:1], 0x48
	s_cbranch_execnz .LBB77_2
.LBB77_11:
	s_waitcnt lgkmcnt(0)
	s_mov_b32 s33, s4
	s_andn2_b64 vcc, exec, s[28:29]
	s_cbranch_vccz .LBB77_3
	s_branch .LBB77_4
.LBB77_12:
.LBB77_13:
	v_mov_b32_e32 v6, 0
	v_cmp_eq_u32_e64 s[0:1], 0, v5
	s_and_saveexec_b64 s[26:27], s[0:1]
	s_cbranch_execz .LBB77_17
; %bb.14:
	v_cmp_eq_f32_e64 s[28:29], s24, 0
	v_mov_b32_e32 v6, 0
	s_and_b64 vcc, exec, s[28:29]
	s_cbranch_vccnz .LBB77_16
; %bb.15:
	v_mad_u64_u32 v[0:1], s[28:29], s6, v4, 0
	v_mov_b32_e32 v2, v1
	v_mad_u64_u32 v[2:3], s[28:29], s7, v4, v[2:3]
	v_mov_b32_e32 v1, v2
	v_lshl_add_u64 v[0:1], v[0:1], 2, s[4:5]
	global_load_dword v0, v[0:1], off
	s_waitcnt vmcnt(0)
	v_mul_f32_e32 v6, s24, v0
.LBB77_16:
	s_mul_i32 s23, s23, s3
	s_mul_hi_u32 s28, s22, s3
	s_add_i32 s23, s28, s23
	s_mul_i32 s22, s22, s3
	s_lshl_b64 s[22:23], s[22:23], 2
	s_add_u32 s22, s16, s22
	s_addc_u32 s23, s17, s23
	s_lshl_b64 s[16:17], s[18:19], 2
	s_add_u32 s18, s22, s16
	s_addc_u32 s19, s23, s17
	s_mul_i32 s16, s20, s25
	s_mul_hi_u32 s17, s20, s2
	s_add_i32 s16, s17, s16
	s_mul_i32 s17, s21, s2
	s_add_i32 s17, s16, s17
	s_mul_i32 s16, s20, s2
	s_lshl_b64 s[16:17], s[16:17], 2
	s_add_u32 s16, s18, s16
	s_addc_u32 s17, s19, s17
	v_mad_u64_u32 v[0:1], s[18:19], s20, v4, 0
	v_mov_b32_e32 v2, v1
	v_mad_u64_u32 v[2:3], s[18:19], s21, v4, v[2:3]
	v_mov_b32_e32 v1, v2
	v_lshl_add_u64 v[0:1], v[0:1], 2, s[16:17]
	global_load_dword v0, v[0:1], off
	v_lshlrev_b32_e32 v1, 2, v4
	s_waitcnt vmcnt(0)
	ds_write_b32 v1, v0 offset:5120
.LBB77_17:
	s_or_b64 exec, exec, s[26:27]
	s_mul_i32 s15, s15, s3
	s_mul_hi_u32 s16, s14, s3
	s_add_i32 s15, s16, s15
	s_mul_i32 s14, s14, s3
	s_lshl_b64 s[14:15], s[14:15], 2
	s_add_u32 s3, s8, s14
	s_addc_u32 s14, s9, s15
	s_lshl_b64 s[8:9], s[10:11], 2
	s_add_u32 s8, s3, s8
	s_addc_u32 s9, s14, s9
	s_add_u32 s10, s12, 1
	s_addc_u32 s3, s13, 0
	s_mul_i32 s11, s10, s25
	s_mul_hi_u32 s14, s10, s2
	s_add_i32 s11, s14, s11
	s_mul_i32 s3, s3, s2
	s_add_i32 s3, s11, s3
	s_mul_i32 s2, s10, s2
	s_lshl_b64 s[2:3], s[2:3], 2
	s_add_u32 s2, s8, s2
	s_addc_u32 s3, s9, s3
	v_mad_u64_u32 v[0:1], s[8:9], s12, v5, 0
	v_mov_b32_e32 v2, v1
	v_mad_u64_u32 v[2:3], s[8:9], s13, v5, v[2:3]
	v_mov_b32_e32 v1, v2
	v_lshl_add_u64 v[2:3], v[0:1], 2, s[2:3]
	v_lshlrev_b32_e32 v0, 2, v4
	v_mov_b32_e32 v1, 0
	v_lshl_add_u64 v[8:9], v[2:3], 0, v[0:1]
	s_lshl_b64 s[2:3], s[12:13], 4
	v_lshl_add_u64 v[10:11], v[8:9], 0, s[2:3]
	v_lshl_add_u64 v[12:13], v[10:11], 0, s[2:3]
	;; [unrolled: 1-line block ×3, first 2 shown]
	global_load_dword v14, v[8:9], off
	global_load_dword v15, v[10:11], off
	;; [unrolled: 1-line block ×4, first 2 shown]
	v_lshlrev_b32_e32 v7, 7, v5
	v_add_u32_e32 v8, 0x200, v7
	v_add_u32_e32 v9, 0x400, v7
	;; [unrolled: 1-line block ×7, first 2 shown]
	v_cmp_lt_u32_e32 vcc, 15, v4
	s_waitcnt vmcnt(3)
	ds_write_b32 v1, v14
	s_waitcnt vmcnt(2)
	ds_write_b32 v7, v15
	;; [unrolled: 2-line block ×4, first 2 shown]
	s_and_saveexec_b64 s[8:9], vcc
	s_cbranch_execz .LBB77_19
; %bb.18:
	s_lshl_b64 s[10:11], s[12:13], 2
	v_lshl_add_u64 v[2:3], v[2:3], 0, s[2:3]
	v_lshl_add_u64 v[10:11], s[10:11], 2, v[2:3]
	global_load_dword v12, v[2:3], off
	global_load_dword v13, v[10:11], off
	v_lshl_add_u64 v[2:3], v[10:11], 0, s[2:3]
	global_load_dword v10, v[2:3], off
	v_lshl_add_u64 v[2:3], v[2:3], 0, s[2:3]
	global_load_dword v2, v[2:3], off
	s_waitcnt vmcnt(2)
	ds_write2st64_b32 v1, v12, v13 offset0:8 offset1:10
	s_waitcnt vmcnt(0)
	ds_write2st64_b32 v1, v10, v2 offset0:12 offset1:14
.LBB77_19:
	s_or_b64 exec, exec, s[8:9]
	v_cmp_ge_u32_e32 vcc, v4, v5
	v_lshlrev_b32_e32 v10, 7, v4
	s_waitcnt lgkmcnt(0)
	s_barrier
	s_and_saveexec_b64 s[2:3], vcc
	s_xor_b64 s[2:3], exec, s[2:3]
; %bb.20:
	v_lshlrev_b32_e32 v10, 7, v4
; %bb.21:
	s_or_saveexec_b64 s[2:3], s[2:3]
	v_lshlrev_b32_e32 v2, 5, v5
	v_lshlrev_b32_e32 v3, 2, v5
	s_xor_b64 exec, exec, s[2:3]
	s_cbranch_execz .LBB77_23
; %bb.22:
	v_mul_u32_u24_e32 v11, 0x7c, v4
	v_add3_u32 v11, v0, v11, v3
	ds_read_b32 v11, v11
	v_lshl_add_u32 v12, v2, 2, v0
	s_waitcnt lgkmcnt(0)
	ds_write_b32 v12, v11
.LBB77_23:
	s_or_b64 exec, exec, s[2:3]
	v_sub_u32_e32 v11, v4, v5
	v_sub_u32_e32 v12, 0, v11
	v_max_i32_e32 v11, v11, v12
	v_cmp_gt_u32_e32 vcc, 4, v11
	v_lshl_add_u32 v10, v5, 2, v10
	s_and_saveexec_b64 s[2:3], vcc
	s_cbranch_execnz .LBB77_36
; %bb.24:
	s_or_b64 exec, exec, s[2:3]
	v_cmp_gt_u32_e32 vcc, 8, v11
	s_and_saveexec_b64 s[2:3], vcc
	s_cbranch_execnz .LBB77_37
.LBB77_25:
	s_or_b64 exec, exec, s[2:3]
	v_cmp_gt_u32_e32 vcc, 12, v11
	s_and_saveexec_b64 s[2:3], vcc
	s_cbranch_execnz .LBB77_38
.LBB77_26:
	s_or_b64 exec, exec, s[2:3]
	v_cmp_gt_u32_e32 vcc, 16, v11
	s_and_saveexec_b64 s[2:3], vcc
	s_cbranch_execnz .LBB77_39
.LBB77_27:
	s_or_b64 exec, exec, s[2:3]
	v_cmp_gt_u32_e32 vcc, 20, v11
	s_and_saveexec_b64 s[2:3], vcc
	s_cbranch_execnz .LBB77_40
.LBB77_28:
	s_or_b64 exec, exec, s[2:3]
	v_cmp_gt_u32_e32 vcc, 24, v11
	s_and_saveexec_b64 s[2:3], vcc
	s_cbranch_execz .LBB77_30
.LBB77_29:
	ds_read_b32 v12, v10 offset:96
	s_waitcnt lgkmcnt(0)
	ds_write_b32 v1, v12 offset:3072
.LBB77_30:
	s_or_b64 exec, exec, s[2:3]
	v_cmp_lt_u32_e32 vcc, 27, v11
	v_add_u32_e32 v11, 28, v5
                                        ; implicit-def: $vgpr12
	s_and_saveexec_b64 s[2:3], vcc
	s_xor_b64 s[2:3], exec, s[2:3]
; %bb.31:
	v_add_u32_e32 v11, 28, v5
	v_lshlrev_b32_e32 v12, 7, v11
                                        ; implicit-def: $vgpr10
; %bb.32:
	s_andn2_saveexec_b64 s[2:3], s[2:3]
	s_cbranch_execz .LBB77_34
; %bb.33:
	ds_read_b32 v10, v10 offset:112
	v_lshlrev_b32_e32 v12, 7, v11
	v_add_u32_e32 v13, v0, v12
	s_waitcnt lgkmcnt(0)
	ds_write_b32 v13, v10
.LBB77_34:
	s_or_b64 exec, exec, s[2:3]
	v_add_u32_e32 v20, 0x1400, v3
	s_waitcnt lgkmcnt(0)
	s_barrier
	ds_read2_b32 v[14:15], v20 offset1:4
	ds_read2_b32 v[16:17], v20 offset0:8 offset1:12
	v_add_u32_e32 v13, v0, v12
	v_lshlrev_b32_e32 v19, 2, v11
	v_lshl_add_u32 v5, v5, 7, v0
	ds_read_b32 v10, v1
	ds_read_b32 v11, v7
	;; [unrolled: 1-line block ×4, first 2 shown]
	ds_read_b32 v12, v5 offset:3072
	ds_read_b32 v18, v3 offset:5216
	ds_read_b32 v13, v13
	ds_read_b32 v19, v19 offset:5120
	s_waitcnt lgkmcnt(6)
	v_pk_mul_f32 v[10:11], v[10:11], v[14:15]
	ds_read2st64_b32 v[14:15], v5 offset0:8 offset1:10
	ds_read2_b32 v[20:21], v20 offset0:16 offset1:20
	v_add_f32_e32 v1, 0, v10
	v_add_f32_e32 v1, v1, v11
	s_waitcnt lgkmcnt(6)
	v_pk_mul_f32 v[8:9], v[8:9], v[16:17]
	v_add_lshl_u32 v2, v2, v4, 2
	v_add_f32_e32 v1, v1, v8
	v_add_f32_e32 v1, v1, v9
	s_waitcnt lgkmcnt(0)
	v_pk_mul_f32 v[8:9], v[14:15], v[20:21]
	s_nop 0
	v_add_f32_e32 v1, v1, v8
	v_add_f32_e32 v1, v1, v9
	v_pk_mul_f32 v[8:9], v[12:13], v[18:19]
	s_nop 0
	v_add_f32_e32 v1, v1, v8
	v_add_f32_e32 v1, v1, v9
	ds_write_b32 v2, v1 offset:4096
	s_waitcnt lgkmcnt(0)
	s_barrier
	s_and_saveexec_b64 s[2:3], s[0:1]
	s_cbranch_execz .LBB77_9
; %bb.35:
	v_add_u32_e32 v2, 0x1000, v0
	ds_read2_b32 v[0:1], v2 offset1:32
	ds_read2_b32 v[2:3], v2 offset0:64 offset1:96
	v_cmp_neq_f32_e64 vcc, s24, 0
	s_waitcnt lgkmcnt(1)
	v_add_f32_e32 v0, 0, v0
	v_add_f32_e32 v0, v0, v1
	s_waitcnt lgkmcnt(0)
	v_add_f32_e32 v0, v0, v2
	v_add_f32_e32 v0, v0, v3
	v_mul_f32_e32 v1, s33, v0
	v_fmac_f32_e32 v6, s33, v0
	v_cndmask_b32_e32 v5, v1, v6, vcc
	v_mad_u64_u32 v[0:1], s[0:1], s6, v4, 0
	v_mov_b32_e32 v2, v1
	v_mad_u64_u32 v[2:3], s[0:1], s7, v4, v[2:3]
	v_mov_b32_e32 v1, v2
	v_lshl_add_u64 v[0:1], v[0:1], 2, s[4:5]
	global_store_dword v[0:1], v5, off
	s_endpgm
.LBB77_36:
	ds_read_b32 v12, v10 offset:16
	s_waitcnt lgkmcnt(0)
	ds_write_b32 v7, v12
	s_or_b64 exec, exec, s[2:3]
	v_cmp_gt_u32_e32 vcc, 8, v11
	s_and_saveexec_b64 s[2:3], vcc
	s_cbranch_execz .LBB77_25
.LBB77_37:
	ds_read_b32 v12, v10 offset:32
	s_waitcnt lgkmcnt(0)
	ds_write_b32 v8, v12
	s_or_b64 exec, exec, s[2:3]
	v_cmp_gt_u32_e32 vcc, 12, v11
	s_and_saveexec_b64 s[2:3], vcc
	s_cbranch_execz .LBB77_26
.LBB77_38:
	ds_read_b32 v12, v10 offset:48
	s_waitcnt lgkmcnt(0)
	ds_write_b32 v9, v12
	s_or_b64 exec, exec, s[2:3]
	v_cmp_gt_u32_e32 vcc, 16, v11
	s_and_saveexec_b64 s[2:3], vcc
	s_cbranch_execz .LBB77_27
.LBB77_39:
	ds_read_b32 v12, v10 offset:64
	s_waitcnt lgkmcnt(0)
	ds_write_b32 v1, v12 offset:2048
	s_or_b64 exec, exec, s[2:3]
	v_cmp_gt_u32_e32 vcc, 20, v11
	s_and_saveexec_b64 s[2:3], vcc
	s_cbranch_execz .LBB77_28
.LBB77_40:
	ds_read_b32 v12, v10 offset:80
	s_waitcnt lgkmcnt(0)
	ds_write_b32 v1, v12 offset:2560
	s_or_b64 exec, exec, s[2:3]
	v_cmp_gt_u32_e32 vcc, 24, v11
	s_and_saveexec_b64 s[2:3], vcc
	s_cbranch_execnz .LBB77_29
	s_branch .LBB77_30
	.section	.rodata,"a",@progbits
	.p2align	6, 0x0
	.amdhsa_kernel _ZL50rocblas_symv_kernel_lower_double_buffered_diagonalILi32ELi4E24rocblas_internal_val_ptrIfEPKfPfEvbiT1_lT2_lllS6_lllS5_lT3_llli
		.amdhsa_group_segment_fixed_size 5248
		.amdhsa_private_segment_fixed_size 0
		.amdhsa_kernarg_size 140
		.amdhsa_user_sgpr_count 2
		.amdhsa_user_sgpr_dispatch_ptr 0
		.amdhsa_user_sgpr_queue_ptr 0
		.amdhsa_user_sgpr_kernarg_segment_ptr 1
		.amdhsa_user_sgpr_dispatch_id 0
		.amdhsa_user_sgpr_kernarg_preload_length 0
		.amdhsa_user_sgpr_kernarg_preload_offset 0
		.amdhsa_user_sgpr_private_segment_size 0
		.amdhsa_uses_dynamic_stack 0
		.amdhsa_enable_private_segment 0
		.amdhsa_system_sgpr_workgroup_id_x 1
		.amdhsa_system_sgpr_workgroup_id_y 0
		.amdhsa_system_sgpr_workgroup_id_z 1
		.amdhsa_system_sgpr_workgroup_info 0
		.amdhsa_system_vgpr_workitem_id 1
		.amdhsa_next_free_vgpr 22
		.amdhsa_next_free_sgpr 34
		.amdhsa_accum_offset 24
		.amdhsa_reserve_vcc 1
		.amdhsa_float_round_mode_32 0
		.amdhsa_float_round_mode_16_64 0
		.amdhsa_float_denorm_mode_32 3
		.amdhsa_float_denorm_mode_16_64 3
		.amdhsa_dx10_clamp 1
		.amdhsa_ieee_mode 1
		.amdhsa_fp16_overflow 0
		.amdhsa_tg_split 0
		.amdhsa_exception_fp_ieee_invalid_op 0
		.amdhsa_exception_fp_denorm_src 0
		.amdhsa_exception_fp_ieee_div_zero 0
		.amdhsa_exception_fp_ieee_overflow 0
		.amdhsa_exception_fp_ieee_underflow 0
		.amdhsa_exception_fp_ieee_inexact 0
		.amdhsa_exception_int_div_zero 0
	.end_amdhsa_kernel
	.section	.text._ZL50rocblas_symv_kernel_lower_double_buffered_diagonalILi32ELi4E24rocblas_internal_val_ptrIfEPKfPfEvbiT1_lT2_lllS6_lllS5_lT3_llli,"axG",@progbits,_ZL50rocblas_symv_kernel_lower_double_buffered_diagonalILi32ELi4E24rocblas_internal_val_ptrIfEPKfPfEvbiT1_lT2_lllS6_lllS5_lT3_llli,comdat
.Lfunc_end77:
	.size	_ZL50rocblas_symv_kernel_lower_double_buffered_diagonalILi32ELi4E24rocblas_internal_val_ptrIfEPKfPfEvbiT1_lT2_lllS6_lllS5_lT3_llli, .Lfunc_end77-_ZL50rocblas_symv_kernel_lower_double_buffered_diagonalILi32ELi4E24rocblas_internal_val_ptrIfEPKfPfEvbiT1_lT2_lllS6_lllS5_lT3_llli
                                        ; -- End function
	.set _ZL50rocblas_symv_kernel_lower_double_buffered_diagonalILi32ELi4E24rocblas_internal_val_ptrIfEPKfPfEvbiT1_lT2_lllS6_lllS5_lT3_llli.num_vgpr, 22
	.set _ZL50rocblas_symv_kernel_lower_double_buffered_diagonalILi32ELi4E24rocblas_internal_val_ptrIfEPKfPfEvbiT1_lT2_lllS6_lllS5_lT3_llli.num_agpr, 0
	.set _ZL50rocblas_symv_kernel_lower_double_buffered_diagonalILi32ELi4E24rocblas_internal_val_ptrIfEPKfPfEvbiT1_lT2_lllS6_lllS5_lT3_llli.numbered_sgpr, 34
	.set _ZL50rocblas_symv_kernel_lower_double_buffered_diagonalILi32ELi4E24rocblas_internal_val_ptrIfEPKfPfEvbiT1_lT2_lllS6_lllS5_lT3_llli.num_named_barrier, 0
	.set _ZL50rocblas_symv_kernel_lower_double_buffered_diagonalILi32ELi4E24rocblas_internal_val_ptrIfEPKfPfEvbiT1_lT2_lllS6_lllS5_lT3_llli.private_seg_size, 0
	.set _ZL50rocblas_symv_kernel_lower_double_buffered_diagonalILi32ELi4E24rocblas_internal_val_ptrIfEPKfPfEvbiT1_lT2_lllS6_lllS5_lT3_llli.uses_vcc, 1
	.set _ZL50rocblas_symv_kernel_lower_double_buffered_diagonalILi32ELi4E24rocblas_internal_val_ptrIfEPKfPfEvbiT1_lT2_lllS6_lllS5_lT3_llli.uses_flat_scratch, 0
	.set _ZL50rocblas_symv_kernel_lower_double_buffered_diagonalILi32ELi4E24rocblas_internal_val_ptrIfEPKfPfEvbiT1_lT2_lllS6_lllS5_lT3_llli.has_dyn_sized_stack, 0
	.set _ZL50rocblas_symv_kernel_lower_double_buffered_diagonalILi32ELi4E24rocblas_internal_val_ptrIfEPKfPfEvbiT1_lT2_lllS6_lllS5_lT3_llli.has_recursion, 0
	.set _ZL50rocblas_symv_kernel_lower_double_buffered_diagonalILi32ELi4E24rocblas_internal_val_ptrIfEPKfPfEvbiT1_lT2_lllS6_lllS5_lT3_llli.has_indirect_call, 0
	.section	.AMDGPU.csdata,"",@progbits
; Kernel info:
; codeLenInByte = 1888
; TotalNumSgprs: 40
; NumVgprs: 22
; NumAgprs: 0
; TotalNumVgprs: 22
; ScratchSize: 0
; MemoryBound: 0
; FloatMode: 240
; IeeeMode: 1
; LDSByteSize: 5248 bytes/workgroup (compile time only)
; SGPRBlocks: 4
; VGPRBlocks: 2
; NumSGPRsForWavesPerEU: 40
; NumVGPRsForWavesPerEU: 22
; AccumOffset: 24
; Occupancy: 8
; WaveLimiterHint : 0
; COMPUTE_PGM_RSRC2:SCRATCH_EN: 0
; COMPUTE_PGM_RSRC2:USER_SGPR: 2
; COMPUTE_PGM_RSRC2:TRAP_HANDLER: 0
; COMPUTE_PGM_RSRC2:TGID_X_EN: 1
; COMPUTE_PGM_RSRC2:TGID_Y_EN: 0
; COMPUTE_PGM_RSRC2:TGID_Z_EN: 1
; COMPUTE_PGM_RSRC2:TIDIG_COMP_CNT: 1
; COMPUTE_PGM_RSRC3_GFX90A:ACCUM_OFFSET: 5
; COMPUTE_PGM_RSRC3_GFX90A:TG_SPLIT: 0
	.section	.text._ZL54rocblas_symv_kernel_lower_double_buffered_non_diagonalILi32ELi4ELi4E24rocblas_internal_val_ptrIfEPKfPfEvbiT2_lT3_lllS6_lllT4_llli,"axG",@progbits,_ZL54rocblas_symv_kernel_lower_double_buffered_non_diagonalILi32ELi4ELi4E24rocblas_internal_val_ptrIfEPKfPfEvbiT2_lT3_lllS6_lllT4_llli,comdat
	.globl	_ZL54rocblas_symv_kernel_lower_double_buffered_non_diagonalILi32ELi4ELi4E24rocblas_internal_val_ptrIfEPKfPfEvbiT2_lT3_lllS6_lllT4_llli ; -- Begin function _ZL54rocblas_symv_kernel_lower_double_buffered_non_diagonalILi32ELi4ELi4E24rocblas_internal_val_ptrIfEPKfPfEvbiT2_lT3_lllS6_lllT4_llli
	.p2align	8
	.type	_ZL54rocblas_symv_kernel_lower_double_buffered_non_diagonalILi32ELi4ELi4E24rocblas_internal_val_ptrIfEPKfPfEvbiT2_lT3_lllS6_lllT4_llli,@function
_ZL54rocblas_symv_kernel_lower_double_buffered_non_diagonalILi32ELi4ELi4E24rocblas_internal_val_ptrIfEPKfPfEvbiT2_lT3_lllS6_lllT4_llli: ; @_ZL54rocblas_symv_kernel_lower_double_buffered_non_diagonalILi32ELi4ELi4E24rocblas_internal_val_ptrIfEPKfPfEvbiT2_lT3_lllS6_lllT4_llli
; %bb.0:
	s_load_dword s5, s[0:1], 0x0
	s_load_dwordx16 s[8:23], s[0:1], 0x8
	s_waitcnt lgkmcnt(0)
	s_bitcmp0_b32 s5, 0
	s_cbranch_scc0 .LBB78_2
; %bb.1:
	s_mul_i32 s5, s11, s4
	s_mul_hi_u32 s6, s10, s4
	s_add_i32 s7, s6, s5
	s_mul_i32 s6, s10, s4
	s_lshl_b64 s[6:7], s[6:7], 2
	s_add_u32 s6, s8, s6
	s_addc_u32 s7, s9, s7
	s_load_dword s33, s[6:7], 0x0
	s_cbranch_execz .LBB78_3
	s_branch .LBB78_4
.LBB78_2:
                                        ; implicit-def: $sgpr33
.LBB78_3:
	s_waitcnt lgkmcnt(0)
	s_mov_b32 s33, s8
.LBB78_4:
	s_waitcnt lgkmcnt(0)
	v_cmp_eq_f32_e64 s[6:7], s33, 0
	s_and_b64 vcc, exec, s[6:7]
	s_cbranch_vccnz .LBB78_26
; %bb.5:
	s_load_dwordx2 s[8:9], s[0:1], 0x80
	s_waitcnt lgkmcnt(0)
	v_cvt_f32_u32_e32 v1, s9
	s_add_i32 s5, s8, -1
	s_cmp_eq_u32 s2, s5
	v_rcp_iflag_f32_e32 v1, v1
	s_nop 0
	v_mul_f32_e32 v1, 0x4f7ffffe, v1
	v_cvt_u32_f32_e32 v1, v1
	s_nop 0
	v_readfirstlane_b32 s6, v1
	s_cbranch_scc1 .LBB78_26
; %bb.6:
	s_load_dwordx4 s[24:27], s[0:1], 0x48
	s_sub_i32 s7, 0, s9
	s_mul_i32 s7, s7, s6
	s_not_b32 s5, s2
	s_mul_hi_u32 s7, s6, s7
	s_add_i32 s5, s8, s5
	s_add_i32 s6, s6, s7
	s_mul_hi_u32 s8, s5, s6
	s_waitcnt lgkmcnt(0)
	s_mul_i32 s6, s27, s4
	s_mul_hi_u32 s7, s26, s4
	s_add_i32 s27, s7, s6
	s_mul_i32 s26, s26, s4
	s_lshl_b64 s[6:7], s[26:27], 2
	s_add_u32 s10, s20, s6
	s_addc_u32 s11, s21, s7
	s_lshl_b64 s[6:7], s[22:23], 2
	s_add_u32 s6, s10, s6
	s_addc_u32 s7, s11, s7
	s_lshl_b32 s28, s2, 5
	s_ashr_i32 s29, s28, 31
	s_mul_i32 s2, s24, s29
	s_mul_hi_u32 s10, s24, s28
	s_add_i32 s2, s10, s2
	s_mul_i32 s10, s25, s28
	s_add_i32 s11, s2, s10
	s_mul_i32 s10, s24, s28
	s_lshl_b64 s[10:11], s[10:11], 2
	v_and_b32_e32 v36, 0x3ff, v0
	v_bfe_u32 v0, v0, 10, 10
	s_add_u32 s30, s6, s10
	s_addc_u32 s31, s7, s11
	v_cmp_eq_u32_e32 vcc, 0, v0
	s_and_saveexec_b64 s[10:11], vcc
	s_cbranch_execz .LBB78_8
; %bb.7:
	v_mad_u64_u32 v[2:3], s[34:35], s24, v36, 0
	v_mov_b32_e32 v4, v3
	v_mad_u64_u32 v[4:5], s[34:35], s25, v36, v[4:5]
	v_mov_b32_e32 v3, v4
	v_lshl_add_u64 v[2:3], v[2:3], 2, s[30:31]
	global_load_dword v1, v[2:3], off
	v_lshlrev_b32_e32 v2, 2, v36
	s_waitcnt vmcnt(0)
	ds_write_b32 v2, v1 offset:3072
.LBB78_8:
	s_or_b64 exec, exec, s[10:11]
	s_mul_i32 s2, s8, s9
	s_sub_i32 s2, s5, s2
	s_add_i32 s10, s8, 1
	s_sub_i32 s11, s2, s9
	s_cmp_ge_u32 s2, s9
	s_cselect_b32 s8, s10, s8
	s_cselect_b32 s2, s11, s2
	s_add_i32 s10, s8, 1
	s_cmp_ge_u32 s2, s9
	s_cselect_b32 s2, s10, s8
	s_add_i32 s8, s9, -1
	s_cmp_lg_u32 s3, s8
	s_mov_b32 s42, s2
	s_cbranch_scc1 .LBB78_10
; %bb.9:
	s_mul_i32 s8, s2, s9
	s_sub_i32 s5, s5, s8
	s_add_i32 s42, s5, s2
.LBB78_10:
	s_cmp_eq_u32 s42, 0
	s_cbranch_scc1 .LBB78_26
; %bb.11:
	s_load_dwordx2 s[34:35], s[0:1], 0x70
	s_load_dwordx2 s[36:37], s[0:1], 0x58
	s_load_dwordx4 s[8:11], s[0:1], 0x60
	v_lshl_add_u32 v2, v0, 5, v36
	v_and_b32_e32 v6, 15, v36
	s_waitcnt lgkmcnt(0)
	s_mul_i32 s1, s35, s4
	s_mul_hi_u32 s5, s34, s4
	s_mul_i32 s0, s34, s4
	s_add_i32 s1, s5, s1
	s_lshl_b64 s[0:1], s[0:1], 2
	s_add_u32 s5, s36, s0
	s_addc_u32 s34, s37, s1
	s_lshl_b64 s[0:1], s[8:9], 2
	s_add_u32 s5, s5, s0
	s_addc_u32 s8, s34, s1
	s_mul_i32 s0, s10, s29
	s_mul_hi_u32 s1, s10, s28
	s_add_i32 s0, s1, s0
	s_mul_i32 s1, s11, s28
	s_add_i32 s1, s0, s1
	s_mul_i32 s0, s10, s28
	s_lshl_b64 s[0:1], s[0:1], 2
	s_add_u32 s0, s5, s0
	s_addc_u32 s1, s8, s1
	v_lshrrev_b32_e32 v37, 4, v2
	s_cmp_lt_i32 s42, 1
	s_barrier
	s_cbranch_scc1 .LBB78_18
; %bb.12:
	s_mul_i32 s3, s3, s2
	s_mul_i32 s5, s19, s4
	s_mul_hi_u32 s8, s18, s4
	s_lshl_b32 s2, s3, 5
	s_add_i32 s5, s8, s5
	s_mul_i32 s4, s18, s4
	s_ashr_i32 s3, s2, 31
	s_lshl_b64 s[18:19], s[4:5], 2
	s_add_u32 s4, s12, s18
	s_addc_u32 s5, s13, s19
	s_lshl_b64 s[34:35], s[14:15], 2
	s_add_u32 s8, s4, s34
	s_addc_u32 s9, s5, s35
	s_add_u32 s4, s16, 1
	s_addc_u32 s5, s17, 0
	s_mul_i32 s14, s4, s29
	s_mul_hi_u32 s15, s4, s28
	s_add_i32 s14, s15, s14
	s_mul_i32 s5, s5, s28
	s_add_i32 s5, s14, s5
	s_mul_i32 s4, s4, s28
	s_lshl_b64 s[38:39], s[4:5], 2
	s_add_u32 s4, s8, s38
	s_addc_u32 s5, s9, s39
	s_lshl_b64 s[36:37], s[2:3], 2
	s_add_u32 s14, s4, s36
	v_lshlrev_b32_e32 v1, 2, v37
	v_mov_b32_e32 v7, 0
	s_addc_u32 s15, s5, s37
	v_mad_u64_u32 v[10:11], s[4:5], s16, v1, v[6:7]
	v_mov_b32_e32 v0, v11
	v_mad_u64_u32 v[0:1], s[4:5], s17, v1, v[0:1]
	v_mov_b32_e32 v11, v0
	v_lshl_add_u64 v[4:5], v[10:11], 2, s[14:15]
	s_lshl_b64 s[4:5], s[16:17], 2
	v_lshl_add_u64 v[8:9], v[4:5], 0, s[4:5]
	v_lshl_add_u64 v[14:15], v[8:9], 0, s[4:5]
	;; [unrolled: 1-line block ×3, first 2 shown]
	global_load_dword v0, v[4:5], off offset:128
	global_load_dword v1, v[8:9], off offset:128
	;; [unrolled: 1-line block ×4, first 2 shown]
	s_mul_i32 s40, s10, s3
	s_mul_hi_u32 s41, s10, s2
	s_add_i32 s40, s41, s40
	s_mul_i32 s41, s11, s2
	s_add_i32 s41, s40, s41
	s_mul_i32 s40, s10, s2
	s_lshl_b64 s[8:9], s[24:25], 7
	s_lshl_b64 s[40:41], s[40:41], 2
	s_add_u32 s40, s0, s40
	s_mul_i32 s3, s24, s3
	s_mul_hi_u32 s43, s24, s2
	s_addc_u32 s41, s1, s41
	s_add_i32 s3, s43, s3
	s_mul_i32 s43, s25, s2
	s_add_i32 s3, s3, s43
	s_mul_i32 s2, s24, s2
	s_lshl_b64 s[2:3], s[2:3], 2
	v_mov_b32_e32 v4, 0xc00
	v_mad_u64_u32 v[8:9], s[44:45], s10, v36, 0
	s_add_u32 s30, s30, s2
	v_lshl_add_u32 v41, v37, 4, v4
	v_mov_b32_e32 v4, v9
	s_addc_u32 s31, s31, s3
	v_mov_b32_e32 v3, 0x800
	s_lshl_b64 s[2:3], s[10:11], 7
	v_mad_u64_u32 v[4:5], s[44:45], s11, v36, v[4:5]
	v_lshl_or_b32 v39, v6, 2, v3
	v_lshlrev_b32_e32 v40, 7, v37
	v_lshl_add_u32 v38, v36, 2, v3
	v_mov_b32_e32 v9, v4
	s_cmp_eq_u32 s42, 1
	s_cbranch_scc1 .LBB78_19
; %bb.13:
	s_lshl_b64 s[14:15], s[28:29], 2
	s_add_u32 s14, s36, s14
	s_addc_u32 s15, s37, s15
	s_mul_i32 s28, s24, s15
	s_mul_hi_u32 s29, s24, s14
	s_add_i32 s28, s29, s28
	s_mul_i32 s29, s25, s14
	v_lshlrev_b32_e32 v14, 2, v6
	v_mov_b32_e32 v15, 0
	s_add_i32 s28, s28, s29
	s_mul_i32 s29, s24, s14
	v_lshl_add_u64 v[4:5], s[14:15], 0, v[14:15]
	s_mov_b64 s[14:15], 0x80
	s_add_u32 s22, s22, s26
	v_lshl_add_u64 v[16:17], v[4:5], 0, s[14:15]
	s_addc_u32 s23, s23, s27
	v_mad_u64_u32 v[20:21], s[14:15], s24, v16, 0
	s_lshl_b64 s[22:23], s[22:23], 2
	s_mov_b64 s[14:15], 0xc0
	s_add_u32 s20, s20, s22
	v_lshl_add_u64 v[4:5], v[4:5], 0, s[14:15]
	s_addc_u32 s21, s21, s23
	v_mad_u64_u32 v[22:23], s[14:15], s24, v4, 0
	s_add_i32 s22, s42, -1
	s_add_u32 s14, s38, s18
	s_addc_u32 s15, s39, s19
	s_add_u32 s14, s14, s34
	s_addc_u32 s15, s15, s35
	s_add_u32 s14, s14, s36
	v_mul_lo_u32 v3, s25, v16
	v_mul_lo_u32 v7, s24, v17
	s_addc_u32 s15, s15, s37
	v_add3_u32 v21, v21, v7, v3
	v_mul_lo_u32 v3, s25, v4
	v_mul_lo_u32 v5, s24, v5
	s_add_u32 s14, s12, s14
	v_add3_u32 v23, v23, v5, v3
	s_addc_u32 s15, s13, s15
	v_mad_u64_u32 v[4:5], s[12:13], s16, v37, 0
	v_mov_b32_e32 v16, v5
	v_mad_u64_u32 v[16:17], s[12:13], s17, v37, v[16:17]
	v_mov_b32_e32 v5, v16
	v_lshl_add_u64 v[24:25], v[4:5], 4, v[14:15]
	v_and_b32_e32 v4, 0xfff0, v2
	v_or_b32_e32 v3, 8, v4
	v_mad_u64_u32 v[26:27], s[12:13], s16, v3, v[14:15]
	v_mov_b32_e32 v2, v27
	v_mad_u64_u32 v[2:3], s[12:13], s17, v3, v[2:3]
	v_or_b32_e32 v3, 12, v4
	v_mad_u64_u32 v[28:29], s[12:13], s16, v3, v[14:15]
	v_mov_b32_e32 v27, v2
	v_mov_b32_e32 v2, v29
	v_mad_u64_u32 v[2:3], s[12:13], s17, v3, v[2:3]
	v_or_b32_e32 v3, 4, v4
	v_mad_u64_u32 v[30:31], s[12:13], s16, v3, v[14:15]
	v_mov_b32_e32 v29, v2
	v_mov_b32_e32 v2, v31
	v_mad_u64_u32 v[2:3], s[12:13], s17, v3, v[2:3]
	v_mov_b32_e32 v31, v2
	v_mov_b64_e32 v[16:17], s[40:41]
	v_mov_b32_e32 v14, v15
	v_mov_b32_e32 v18, v15
	;; [unrolled: 1-line block ×3, first 2 shown]
.LBB78_14:                              ; =>This Inner Loop Header: Depth=1
	v_lshl_add_u64 v[48:49], s[14:15], 0, v[24:25]
	v_lshl_add_u64 v[44:45], s[6:7], 0, v[20:21]
	;; [unrolled: 1-line block ×6, first 2 shown]
	global_load_dword v32, v[48:49], off offset:192
	global_load_dword v33, v[50:51], off offset:192
	;; [unrolled: 1-line block ×4, first 2 shown]
	global_load_dword v34, v[44:45], off
	global_load_dword v4, v[46:47], off
	global_load_dword v5, v[54:55], off offset:256
	global_load_dword v7, v[52:53], off offset:256
	;; [unrolled: 1-line block ×4, first 2 shown]
	ds_read_b128 v[44:47], v41
	v_add_u32_e32 v43, v39, v40
	s_waitcnt lgkmcnt(0)
	s_barrier
	s_waitcnt vmcnt(13)
	v_fma_f32 v48, v0, v44, 0
	s_waitcnt vmcnt(12)
	v_fmac_f32_e32 v48, v1, v45
	s_waitcnt vmcnt(11)
	v_fmac_f32_e32 v48, v35, v46
	s_waitcnt vmcnt(10)
	v_fmac_f32_e32 v48, v12, v47
	s_waitcnt vmcnt(9)
	v_fma_f32 v44, v32, v44, 0
	s_waitcnt vmcnt(8)
	v_fmac_f32_e32 v44, v33, v45
	s_waitcnt vmcnt(7)
	v_fmac_f32_e32 v44, v42, v46
	;; [unrolled: 2-line block ×3, first 2 shown]
	ds_write2_b32 v43, v48, v44 offset1:16
	s_waitcnt lgkmcnt(0)
	s_barrier
	s_and_saveexec_b64 s[12:13], vcc
	s_cbranch_execz .LBB78_16
; %bb.15:                               ;   in Loop: Header=BB78_14 Depth=1
	ds_read2_b32 v[44:45], v38 offset1:32
	ds_read2_b32 v[46:47], v38 offset0:64 offset1:96
	ds_read2_b32 v[48:49], v38 offset0:128 offset1:160
	;; [unrolled: 1-line block ×3, first 2 shown]
	v_lshl_add_u64 v[16:17], v[16:17], 0, s[2:3]
	s_waitcnt lgkmcnt(3)
	v_add_f32_e32 v43, 0, v44
	v_add_f32_e32 v43, v43, v45
	s_waitcnt lgkmcnt(2)
	v_add_f32_e32 v43, v43, v46
	v_add_f32_e32 v43, v43, v47
	;; [unrolled: 3-line block ×4, first 2 shown]
	v_lshl_add_u64 v[44:45], v[8:9], 2, v[16:17]
	v_mul_f32_e32 v43, s33, v43
	global_atomic_add_f32 v[44:45], v43, off
.LBB78_16:                              ;   in Loop: Header=BB78_14 Depth=1
	s_or_b64 exec, exec, s[12:13]
	s_add_u32 s20, s20, s8
	s_addc_u32 s21, s21, s9
	s_add_u32 s6, s6, s8
	s_addc_u32 s7, s7, s9
	s_add_i32 s22, s22, -1
	s_waitcnt vmcnt(5)
	v_mul_f32_e32 v44, v34, v35
	s_waitcnt vmcnt(4)
	v_mov_b32_e32 v35, v4
	s_add_u32 s14, s14, 0x80
	v_pk_mul_f32 v[12:13], v[34:35], v[12:13]
	s_addc_u32 s15, s15, 0
	v_mov_b32_e32 v45, v12
	s_add_u32 s30, s20, s29
	v_mul_f32_e32 v42, v4, v42
	v_mov_b32_e32 v43, v13
	v_pk_fma_f32 v[0:1], v[34:35], v[0:1], v[14:15] op_sel_hi:[0,1,1]
	v_pk_add_f32 v[12:13], v[18:19], v[44:45]
	s_addc_u32 s31, s21, s28
	v_pk_add_f32 v[18:19], v[12:13], v[42:43]
	s_cmp_eq_u32 s22, 0
	s_waitcnt vmcnt(3)
	v_pk_fma_f32 v[14:15], v[4:5], v[32:33], v[0:1] op_sel_hi:[0,1,1]
	s_cbranch_scc1 .LBB78_20
; %bb.17:                               ;   in Loop: Header=BB78_14 Depth=1
	s_waitcnt vmcnt(0)
	v_mov_b32_e32 v0, v2
	v_mov_b32_e32 v1, v3
	;; [unrolled: 1-line block ×4, first 2 shown]
	s_branch .LBB78_14
.LBB78_18:
	v_mov_b32_e32 v1, 0
	v_mov_b32_e32 v0, v1
	;; [unrolled: 1-line block ×4, first 2 shown]
	s_branch .LBB78_24
.LBB78_19:
	s_waitcnt vmcnt(0)
	v_mov_b32_e32 v3, v12
	v_mov_b64_e32 v[4:5], v[2:3]
	v_mov_b64_e32 v[16:17], s[40:41]
	v_mov_b32_e32 v18, v7
	v_mov_b32_e32 v15, v7
	;; [unrolled: 1-line block ×3, first 2 shown]
	v_mov_b64_e32 v[2:3], v[0:1]
	s_branch .LBB78_21
.LBB78_20:
	v_mov_b32_e32 v12, v5
	s_waitcnt vmcnt(2)
	v_mov_b32_e32 v35, v7
	s_waitcnt vmcnt(1)
	;; [unrolled: 2-line block ×3, first 2 shown]
	v_mov_b32_e32 v0, v2
	v_mov_b32_e32 v7, v19
.LBB78_21:
	v_mad_u64_u32 v[20:21], s[6:7], s24, v6, 0
	v_mov_b32_e32 v4, v21
	v_mad_u64_u32 v[22:23], s[6:7], s25, v6, v[4:5]
	v_or_b32_e32 v13, 16, v6
	v_mov_b32_e32 v21, v22
	v_mad_u64_u32 v[22:23], s[6:7], s24, v13, 0
	s_add_u32 s6, s30, s8
	s_addc_u32 s7, s31, s9
	v_lshl_add_u64 v[20:21], v[20:21], 2, s[6:7]
	v_lshl_add_u64 v[10:11], v[10:11], 2, s[14:15]
	global_load_dword v24, v[20:21], off
	v_lshl_add_u64 v[20:21], s[16:17], 2, v[10:11]
	v_mov_b32_e32 v4, v23
	v_lshl_add_u64 v[26:27], v[20:21], 0, s[4:5]
	v_lshl_add_u64 v[28:29], v[26:27], 0, s[4:5]
	global_load_dword v30, v[10:11], off offset:192
	global_load_dword v31, v[20:21], off offset:192
	;; [unrolled: 1-line block ×4, first 2 shown]
	v_mad_u64_u32 v[10:11], s[4:5], s25, v13, v[4:5]
	v_mov_b32_e32 v23, v10
	v_lshl_add_u64 v[10:11], v[22:23], 2, s[6:7]
	global_load_dword v4, v[10:11], off
	ds_read_b128 v[20:23], v41
	v_mov_b32_e32 v19, v7
	v_mov_b32_e32 v32, v5
	v_add_u32_e32 v5, v39, v40
	s_waitcnt lgkmcnt(0)
	v_fma_f32 v7, v0, v20, 0
	v_fmac_f32_e32 v7, v1, v21
	v_fmac_f32_e32 v7, v35, v22
	;; [unrolled: 1-line block ×3, first 2 shown]
	s_barrier
	s_waitcnt vmcnt(5)
	v_mul_f32_e32 v0, v24, v35
	s_waitcnt vmcnt(4)
	v_fma_f32 v1, v30, v20, 0
	s_waitcnt vmcnt(3)
	v_fmac_f32_e32 v1, v31, v21
	s_waitcnt vmcnt(2)
	v_fmac_f32_e32 v1, v25, v22
	;; [unrolled: 2-line block ×3, first 2 shown]
	ds_write2_b32 v5, v7, v1 offset1:16
	s_waitcnt lgkmcnt(0)
	s_barrier
	s_waitcnt vmcnt(0)
	v_mul_f32_e32 v10, v4, v25
	v_mov_b32_e32 v25, v4
	v_pk_mul_f32 v[12:13], v[24:25], v[32:33]
	v_pk_fma_f32 v[2:3], v[24:25], v[2:3], v[14:15] op_sel_hi:[0,1,1]
	v_mov_b32_e32 v1, v12
	v_mov_b32_e32 v11, v13
	v_pk_add_f32 v[0:1], v[18:19], v[0:1]
	v_pk_fma_f32 v[2:3], v[4:5], v[30:31], v[2:3] op_sel_hi:[0,1,1]
	v_pk_add_f32 v[0:1], v[0:1], v[10:11]
	s_and_saveexec_b64 s[4:5], vcc
	s_cbranch_execz .LBB78_23
; %bb.22:
	ds_read2_b32 v[4:5], v38 offset1:32
	ds_read2_b32 v[10:11], v38 offset0:64 offset1:96
	ds_read2_b32 v[12:13], v38 offset0:128 offset1:160
	;; [unrolled: 1-line block ×3, first 2 shown]
	v_lshl_add_u64 v[16:17], v[16:17], 0, s[2:3]
	s_waitcnt lgkmcnt(3)
	v_add_f32_e32 v4, 0, v4
	v_add_f32_e32 v4, v4, v5
	s_waitcnt lgkmcnt(2)
	v_add_f32_e32 v4, v4, v10
	v_add_f32_e32 v4, v4, v11
	;; [unrolled: 3-line block ×4, first 2 shown]
	v_lshl_add_u64 v[4:5], v[8:9], 2, v[16:17]
	v_mul_f32_e32 v7, s33, v7
	global_atomic_add_f32 v[4:5], v7, off
.LBB78_23:
	s_or_b64 exec, exec, s[4:5]
.LBB78_24:
	v_lshlrev_b32_e32 v4, 8, v37
	v_lshl_or_b32 v4, v6, 2, v4
	ds_write2_b32 v4, v2, v3 offset1:16
	ds_write2_b32 v4, v0, v1 offset0:32 offset1:48
	s_waitcnt lgkmcnt(0)
	s_barrier
	s_and_saveexec_b64 s[2:3], vcc
	s_cbranch_execz .LBB78_26
; %bb.25:
	v_add_u32_e32 v2, 1, v36
	v_add_u32_e32 v3, 2, v36
	;; [unrolled: 1-line block ×7, first 2 shown]
	v_lshlrev_b32_e32 v0, 6, v36
	v_and_b32_e32 v2, 15, v2
	v_and_b32_e32 v3, 15, v3
	;; [unrolled: 1-line block ×7, first 2 shown]
	v_lshl_or_b32 v1, v6, 2, v0
	v_lshl_or_b32 v2, v2, 2, v0
	;; [unrolled: 1-line block ×8, first 2 shown]
	ds_read_b32 v1, v1
	ds_read_b32 v2, v2
	;; [unrolled: 1-line block ×8, first 2 shown]
	s_waitcnt lgkmcnt(7)
	v_add_f32_e32 v1, 0, v1
	s_waitcnt lgkmcnt(6)
	v_add_f32_e32 v1, v1, v2
	;; [unrolled: 2-line block ×8, first 2 shown]
	v_xor_b32_e32 v2, 8, v6
	v_add_u32_e32 v3, 9, v36
	v_add_u32_e32 v4, 10, v36
	;; [unrolled: 1-line block ×6, first 2 shown]
	v_add_u32_e32 v9, -1, v36
	v_and_b32_e32 v3, 15, v3
	v_and_b32_e32 v4, 15, v4
	;; [unrolled: 1-line block ×7, first 2 shown]
	v_lshl_or_b32 v2, v2, 2, v0
	v_lshl_or_b32 v3, v3, 2, v0
	;; [unrolled: 1-line block ×8, first 2 shown]
	ds_read_b32 v2, v2
	ds_read_b32 v3, v3
	;; [unrolled: 1-line block ×8, first 2 shown]
	s_waitcnt lgkmcnt(7)
	v_add_f32_e32 v1, v1, v2
	s_waitcnt lgkmcnt(6)
	v_add_f32_e32 v1, v1, v3
	;; [unrolled: 2-line block ×8, first 2 shown]
	v_mad_u64_u32 v[0:1], s[2:3], s10, v36, 0
	v_mov_b32_e32 v2, v1
	v_mad_u64_u32 v[2:3], s[2:3], s11, v36, v[2:3]
	v_mov_b32_e32 v1, v2
	v_lshl_add_u64 v[0:1], v[0:1], 2, s[0:1]
	v_mul_f32_e32 v2, s33, v4
	global_atomic_add_f32 v[0:1], v2, off
.LBB78_26:
	s_endpgm
	.section	.rodata,"a",@progbits
	.p2align	6, 0x0
	.amdhsa_kernel _ZL54rocblas_symv_kernel_lower_double_buffered_non_diagonalILi32ELi4ELi4E24rocblas_internal_val_ptrIfEPKfPfEvbiT2_lT3_lllS6_lllT4_llli
		.amdhsa_group_segment_fixed_size 3200
		.amdhsa_private_segment_fixed_size 0
		.amdhsa_kernarg_size 384
		.amdhsa_user_sgpr_count 2
		.amdhsa_user_sgpr_dispatch_ptr 0
		.amdhsa_user_sgpr_queue_ptr 0
		.amdhsa_user_sgpr_kernarg_segment_ptr 1
		.amdhsa_user_sgpr_dispatch_id 0
		.amdhsa_user_sgpr_kernarg_preload_length 0
		.amdhsa_user_sgpr_kernarg_preload_offset 0
		.amdhsa_user_sgpr_private_segment_size 0
		.amdhsa_uses_dynamic_stack 0
		.amdhsa_enable_private_segment 0
		.amdhsa_system_sgpr_workgroup_id_x 1
		.amdhsa_system_sgpr_workgroup_id_y 1
		.amdhsa_system_sgpr_workgroup_id_z 1
		.amdhsa_system_sgpr_workgroup_info 0
		.amdhsa_system_vgpr_workitem_id 1
		.amdhsa_next_free_vgpr 56
		.amdhsa_next_free_sgpr 46
		.amdhsa_accum_offset 56
		.amdhsa_reserve_vcc 1
		.amdhsa_float_round_mode_32 0
		.amdhsa_float_round_mode_16_64 0
		.amdhsa_float_denorm_mode_32 3
		.amdhsa_float_denorm_mode_16_64 3
		.amdhsa_dx10_clamp 1
		.amdhsa_ieee_mode 1
		.amdhsa_fp16_overflow 0
		.amdhsa_tg_split 0
		.amdhsa_exception_fp_ieee_invalid_op 0
		.amdhsa_exception_fp_denorm_src 0
		.amdhsa_exception_fp_ieee_div_zero 0
		.amdhsa_exception_fp_ieee_overflow 0
		.amdhsa_exception_fp_ieee_underflow 0
		.amdhsa_exception_fp_ieee_inexact 0
		.amdhsa_exception_int_div_zero 0
	.end_amdhsa_kernel
	.section	.text._ZL54rocblas_symv_kernel_lower_double_buffered_non_diagonalILi32ELi4ELi4E24rocblas_internal_val_ptrIfEPKfPfEvbiT2_lT3_lllS6_lllT4_llli,"axG",@progbits,_ZL54rocblas_symv_kernel_lower_double_buffered_non_diagonalILi32ELi4ELi4E24rocblas_internal_val_ptrIfEPKfPfEvbiT2_lT3_lllS6_lllT4_llli,comdat
.Lfunc_end78:
	.size	_ZL54rocblas_symv_kernel_lower_double_buffered_non_diagonalILi32ELi4ELi4E24rocblas_internal_val_ptrIfEPKfPfEvbiT2_lT3_lllS6_lllT4_llli, .Lfunc_end78-_ZL54rocblas_symv_kernel_lower_double_buffered_non_diagonalILi32ELi4ELi4E24rocblas_internal_val_ptrIfEPKfPfEvbiT2_lT3_lllS6_lllT4_llli
                                        ; -- End function
	.set _ZL54rocblas_symv_kernel_lower_double_buffered_non_diagonalILi32ELi4ELi4E24rocblas_internal_val_ptrIfEPKfPfEvbiT2_lT3_lllS6_lllT4_llli.num_vgpr, 56
	.set _ZL54rocblas_symv_kernel_lower_double_buffered_non_diagonalILi32ELi4ELi4E24rocblas_internal_val_ptrIfEPKfPfEvbiT2_lT3_lllS6_lllT4_llli.num_agpr, 0
	.set _ZL54rocblas_symv_kernel_lower_double_buffered_non_diagonalILi32ELi4ELi4E24rocblas_internal_val_ptrIfEPKfPfEvbiT2_lT3_lllS6_lllT4_llli.numbered_sgpr, 46
	.set _ZL54rocblas_symv_kernel_lower_double_buffered_non_diagonalILi32ELi4ELi4E24rocblas_internal_val_ptrIfEPKfPfEvbiT2_lT3_lllS6_lllT4_llli.num_named_barrier, 0
	.set _ZL54rocblas_symv_kernel_lower_double_buffered_non_diagonalILi32ELi4ELi4E24rocblas_internal_val_ptrIfEPKfPfEvbiT2_lT3_lllS6_lllT4_llli.private_seg_size, 0
	.set _ZL54rocblas_symv_kernel_lower_double_buffered_non_diagonalILi32ELi4ELi4E24rocblas_internal_val_ptrIfEPKfPfEvbiT2_lT3_lllS6_lllT4_llli.uses_vcc, 1
	.set _ZL54rocblas_symv_kernel_lower_double_buffered_non_diagonalILi32ELi4ELi4E24rocblas_internal_val_ptrIfEPKfPfEvbiT2_lT3_lllS6_lllT4_llli.uses_flat_scratch, 0
	.set _ZL54rocblas_symv_kernel_lower_double_buffered_non_diagonalILi32ELi4ELi4E24rocblas_internal_val_ptrIfEPKfPfEvbiT2_lT3_lllS6_lllT4_llli.has_dyn_sized_stack, 0
	.set _ZL54rocblas_symv_kernel_lower_double_buffered_non_diagonalILi32ELi4ELi4E24rocblas_internal_val_ptrIfEPKfPfEvbiT2_lT3_lllS6_lllT4_llli.has_recursion, 0
	.set _ZL54rocblas_symv_kernel_lower_double_buffered_non_diagonalILi32ELi4ELi4E24rocblas_internal_val_ptrIfEPKfPfEvbiT2_lT3_lllS6_lllT4_llli.has_indirect_call, 0
	.section	.AMDGPU.csdata,"",@progbits
; Kernel info:
; codeLenInByte = 2912
; TotalNumSgprs: 52
; NumVgprs: 56
; NumAgprs: 0
; TotalNumVgprs: 56
; ScratchSize: 0
; MemoryBound: 0
; FloatMode: 240
; IeeeMode: 1
; LDSByteSize: 3200 bytes/workgroup (compile time only)
; SGPRBlocks: 6
; VGPRBlocks: 6
; NumSGPRsForWavesPerEU: 52
; NumVGPRsForWavesPerEU: 56
; AccumOffset: 56
; Occupancy: 8
; WaveLimiterHint : 0
; COMPUTE_PGM_RSRC2:SCRATCH_EN: 0
; COMPUTE_PGM_RSRC2:USER_SGPR: 2
; COMPUTE_PGM_RSRC2:TRAP_HANDLER: 0
; COMPUTE_PGM_RSRC2:TGID_X_EN: 1
; COMPUTE_PGM_RSRC2:TGID_Y_EN: 1
; COMPUTE_PGM_RSRC2:TGID_Z_EN: 1
; COMPUTE_PGM_RSRC2:TIDIG_COMP_CNT: 1
; COMPUTE_PGM_RSRC3_GFX90A:ACCUM_OFFSET: 13
; COMPUTE_PGM_RSRC3_GFX90A:TG_SPLIT: 0
	.section	.text._ZL58rocblas_symv_kernel_lower_double_buffered_diagonal_genericILi32ELi4E24rocblas_internal_val_ptrIfEPKfPfEvbiT1_lT2_lllS6_lllS5_lT3_lllii,"axG",@progbits,_ZL58rocblas_symv_kernel_lower_double_buffered_diagonal_genericILi32ELi4E24rocblas_internal_val_ptrIfEPKfPfEvbiT1_lT2_lllS6_lllS5_lT3_lllii,comdat
	.globl	_ZL58rocblas_symv_kernel_lower_double_buffered_diagonal_genericILi32ELi4E24rocblas_internal_val_ptrIfEPKfPfEvbiT1_lT2_lllS6_lllS5_lT3_lllii ; -- Begin function _ZL58rocblas_symv_kernel_lower_double_buffered_diagonal_genericILi32ELi4E24rocblas_internal_val_ptrIfEPKfPfEvbiT1_lT2_lllS6_lllS5_lT3_lllii
	.p2align	8
	.type	_ZL58rocblas_symv_kernel_lower_double_buffered_diagonal_genericILi32ELi4E24rocblas_internal_val_ptrIfEPKfPfEvbiT1_lT2_lllS6_lllS5_lT3_lllii,@function
_ZL58rocblas_symv_kernel_lower_double_buffered_diagonal_genericILi32ELi4E24rocblas_internal_val_ptrIfEPKfPfEvbiT1_lT2_lllS6_lllS5_lT3_lllii: ; @_ZL58rocblas_symv_kernel_lower_double_buffered_diagonal_genericILi32ELi4E24rocblas_internal_val_ptrIfEPKfPfEvbiT1_lT2_lllS6_lllS5_lT3_lllii
; %bb.0:
	s_load_dword s20, s[0:1], 0x0
	s_load_dwordx16 s[4:19], s[0:1], 0x8
	s_mov_b64 s[30:31], -1
                                        ; implicit-def: $sgpr33
	s_waitcnt lgkmcnt(0)
	s_bitcmp1_b32 s20, 0
	s_cselect_b64 s[20:21], -1, 0
	s_xor_b64 s[28:29], s[20:21], -1
	s_and_b64 vcc, exec, s[28:29]
	s_cbranch_vccnz .LBB79_13
; %bb.1:
	s_load_dwordx8 s[20:27], s[0:1], 0x48
	s_andn2_b64 vcc, exec, s[30:31]
	s_cbranch_vccz .LBB79_14
.LBB79_2:
	s_andn2_b64 vcc, exec, s[28:29]
	s_cbranch_vccnz .LBB79_4
.LBB79_3:
	s_waitcnt lgkmcnt(0)
	s_mul_i32 s4, s27, s3
	s_mul_hi_u32 s5, s26, s3
	s_add_i32 s5, s5, s4
	s_mul_i32 s4, s26, s3
	s_lshl_b64 s[4:5], s[4:5], 2
	s_add_u32 s4, s24, s4
	s_addc_u32 s5, s25, s5
	s_load_dword s24, s[4:5], 0x0
.LBB79_4:
	s_waitcnt lgkmcnt(0)
	v_cmp_eq_f32_e64 s[4:5], s33, 0
	v_cmp_eq_f32_e64 s[6:7], s24, 1.0
	s_and_b64 s[4:5], s[4:5], s[6:7]
	s_and_b64 vcc, exec, s[4:5]
	s_cbranch_vccnz .LBB79_12
; %bb.5:
	s_load_dwordx2 s[26:27], s[0:1], 0x80
	s_load_dwordx2 s[28:29], s[0:1], 0x68
	s_load_dwordx4 s[4:7], s[0:1], 0x70
	s_load_dword s25, s[0:1], 0x88
	v_bfe_u32 v7, v0, 10, 10
	s_waitcnt lgkmcnt(0)
	s_mul_i32 s27, s27, s3
	s_mul_hi_u32 s30, s26, s3
	s_add_i32 s27, s30, s27
	s_mul_i32 s26, s26, s3
	s_lshl_b64 s[26:27], s[26:27], 2
	s_add_u32 s26, s28, s26
	s_addc_u32 s27, s29, s27
	s_lshl_b64 s[4:5], s[4:5], 2
	s_add_u32 s26, s26, s4
	s_addc_u32 s27, s27, s5
	s_lshl_b32 s34, s2, 5
	s_ashr_i32 s35, s34, 31
	s_mul_i32 s4, s6, s35
	s_mul_hi_u32 s5, s6, s34
	s_add_i32 s4, s5, s4
	s_mul_i32 s5, s7, s34
	s_add_i32 s5, s4, s5
	s_mul_i32 s4, s6, s34
	s_lshl_b64 s[4:5], s[4:5], 2
	s_add_u32 s26, s26, s4
	s_addc_u32 s27, s27, s5
	v_cmp_neq_f32_e64 s[4:5], s33, 0
	v_and_b32_e32 v6, 0x3ff, v0
	s_and_b64 vcc, exec, s[4:5]
	v_cmp_eq_u32_e64 s[4:5], 0, v7
	s_cbranch_vccnz .LBB79_15
; %bb.6:
	s_and_saveexec_b64 s[28:29], s[4:5]
	s_cbranch_execz .LBB79_11
; %bb.7:
	v_cmp_gt_i32_e64 s[4:5], s25, v6
	v_cmp_le_i32_e32 vcc, s25, v6
	s_and_saveexec_b64 s[30:31], vcc
	s_cbranch_execz .LBB79_9
; %bb.8:
	s_load_dword s36, s[0:1], 0x90
	s_waitcnt lgkmcnt(0)
	s_add_i32 s36, s36, -1
	s_cmp_lt_u32 s2, s36
	s_cselect_b64 s[36:37], -1, 0
	s_andn2_b64 s[4:5], s[4:5], exec
	s_and_b64 s[36:37], s[36:37], exec
	s_or_b64 s[4:5], s[4:5], s[36:37]
.LBB79_9:
	s_or_b64 exec, exec, s[30:31]
	s_and_b64 exec, exec, s[4:5]
	s_cbranch_execz .LBB79_11
; %bb.10:
	v_mad_u64_u32 v[0:1], s[4:5], s6, v6, 0
	v_mov_b32_e32 v2, v1
	v_mad_u64_u32 v[2:3], s[4:5], s7, v6, v[2:3]
	v_mov_b32_e32 v1, v2
	v_lshl_add_u64 v[0:1], v[0:1], 2, s[26:27]
	global_load_dword v2, v[0:1], off
	s_waitcnt vmcnt(0)
	v_mul_f32_e32 v2, s24, v2
	global_store_dword v[0:1], v2, off
.LBB79_11:
	s_or_b64 exec, exec, s[28:29]
	s_cbranch_execz .LBB79_16
.LBB79_12:
	s_endpgm
.LBB79_13:
	s_mul_i32 s7, s7, s3
	s_mul_hi_u32 s20, s6, s3
	s_add_i32 s7, s20, s7
	s_mul_i32 s6, s6, s3
	s_lshl_b64 s[6:7], s[6:7], 2
	s_add_u32 s6, s4, s6
	s_addc_u32 s7, s5, s7
	s_load_dword s33, s[6:7], 0x0
	s_load_dwordx8 s[20:27], s[0:1], 0x48
	s_cbranch_execnz .LBB79_2
.LBB79_14:
	s_waitcnt lgkmcnt(0)
	s_mov_b32 s33, s4
	s_andn2_b64 vcc, exec, s[28:29]
	s_cbranch_vccz .LBB79_3
	s_branch .LBB79_4
.LBB79_15:
.LBB79_16:
	s_mul_i32 s4, s23, s3
	s_mul_hi_u32 s5, s22, s3
	s_add_i32 s5, s5, s4
	s_mul_i32 s4, s22, s3
	s_lshl_b64 s[4:5], s[4:5], 2
	s_add_u32 s16, s16, s4
	s_addc_u32 s17, s17, s5
	s_lshl_b64 s[4:5], s[18:19], 2
	s_add_u32 s16, s16, s4
	s_addc_u32 s17, s17, s5
	s_mul_i32 s4, s20, s35
	s_mul_hi_u32 s5, s20, s34
	s_load_dword s18, s[0:1], 0x90
	s_add_i32 s4, s5, s4
	s_mul_i32 s5, s21, s34
	s_add_i32 s5, s4, s5
	s_mul_i32 s4, s20, s34
	s_lshl_b64 s[0:1], s[4:5], 2
	s_add_u32 s16, s16, s0
	s_addc_u32 s17, s17, s1
	s_waitcnt lgkmcnt(0)
	s_add_i32 s18, s18, -1
	s_cmp_lg_u32 s2, s18
	s_cselect_b64 s[4:5], -1, 0
	v_mov_b32_e32 v8, 0
	v_cmp_eq_u32_e64 s[0:1], 0, v7
	s_and_b64 vcc, exec, s[4:5]
	s_cbranch_vccz .LBB79_21
; %bb.17:
	s_and_saveexec_b64 s[18:19], s[0:1]
	s_cbranch_execz .LBB79_20
; %bb.18:
	v_mad_u64_u32 v[0:1], s[22:23], s20, v6, 0
	v_mov_b32_e32 v2, v1
	v_mad_u64_u32 v[2:3], s[22:23], s21, v6, v[2:3]
	v_mov_b32_e32 v1, v2
	v_lshl_add_u64 v[0:1], v[0:1], 2, s[16:17]
	global_load_dword v0, v[0:1], off
	v_cmp_eq_f32_e64 s[22:23], s24, 0
	v_lshlrev_b32_e32 v1, 2, v6
	v_mov_b32_e32 v8, 0
	s_and_b64 vcc, exec, s[22:23]
	s_waitcnt vmcnt(0)
	ds_write_b32 v1, v0 offset:5120
	s_cbranch_vccnz .LBB79_20
; %bb.19:
	v_mad_u64_u32 v[0:1], s[22:23], s6, v6, 0
	v_mov_b32_e32 v2, v1
	v_mad_u64_u32 v[2:3], s[22:23], s7, v6, v[2:3]
	v_mov_b32_e32 v1, v2
	v_lshl_add_u64 v[0:1], v[0:1], 2, s[26:27]
	global_load_dword v0, v[0:1], off
	s_waitcnt vmcnt(0)
	v_mul_f32_e32 v8, s24, v0
.LBB79_20:
	s_or_b64 exec, exec, s[18:19]
	s_cbranch_execz .LBB79_22
	s_branch .LBB79_30
.LBB79_21:
                                        ; implicit-def: $vgpr8
.LBB79_22:
	v_mov_b32_e32 v8, 0
	s_and_saveexec_b64 s[18:19], s[0:1]
	s_cbranch_execz .LBB79_29
; %bb.23:
	v_cmp_le_i32_e32 vcc, s25, v6
	s_and_saveexec_b64 s[22:23], vcc
	s_xor_b64 s[22:23], exec, s[22:23]
; %bb.24:
	v_lshlrev_b32_e32 v0, 2, v6
	v_mov_b32_e32 v1, 0
	ds_write_b32 v0, v1 offset:5120
; %bb.25:
	s_or_saveexec_b64 s[22:23], s[22:23]
	v_mov_b32_e32 v8, 0
	s_xor_b64 exec, exec, s[22:23]
	s_cbranch_execz .LBB79_28
; %bb.26:
	v_mad_u64_u32 v[0:1], s[28:29], s20, v6, 0
	v_mov_b32_e32 v2, v1
	v_mad_u64_u32 v[2:3], s[20:21], s21, v6, v[2:3]
	v_mov_b32_e32 v1, v2
	v_lshl_add_u64 v[0:1], v[0:1], 2, s[16:17]
	global_load_dword v0, v[0:1], off
	v_cmp_eq_f32_e64 s[16:17], s24, 0
	v_lshlrev_b32_e32 v1, 2, v6
	v_mov_b32_e32 v8, 0
	s_and_b64 vcc, exec, s[16:17]
	s_waitcnt vmcnt(0)
	ds_write_b32 v1, v0 offset:5120
	s_cbranch_vccnz .LBB79_28
; %bb.27:
	v_mad_u64_u32 v[0:1], s[16:17], s6, v6, 0
	v_mov_b32_e32 v2, v1
	v_mad_u64_u32 v[2:3], s[16:17], s7, v6, v[2:3]
	v_mov_b32_e32 v1, v2
	v_lshl_add_u64 v[0:1], v[0:1], 2, s[26:27]
	global_load_dword v0, v[0:1], off
	s_waitcnt vmcnt(0)
	v_mul_f32_e32 v8, s24, v0
.LBB79_28:
	s_or_b64 exec, exec, s[22:23]
.LBB79_29:
	s_or_b64 exec, exec, s[18:19]
.LBB79_30:
	s_mul_i32 s2, s15, s3
	s_mul_hi_u32 s15, s14, s3
	s_add_i32 s15, s15, s2
	s_mul_i32 s14, s14, s3
	s_lshl_b64 s[14:15], s[14:15], 2
	s_add_u32 s16, s8, s14
	s_addc_u32 s17, s9, s15
	s_lshl_b64 s[2:3], s[10:11], 2
	s_add_u32 s16, s16, s2
	s_addc_u32 s17, s17, s3
	s_add_u32 s10, s12, 1
	s_addc_u32 s11, s13, 0
	s_mul_i32 s18, s10, s35
	s_mul_hi_u32 s19, s10, s34
	s_add_i32 s18, s19, s18
	s_mul_i32 s11, s11, s34
	s_add_i32 s11, s18, s11
	s_mul_i32 s10, s10, s34
	v_mad_u64_u32 v[2:3], s[18:19], s12, v7, 0
	s_lshl_b64 s[10:11], s[10:11], 2
	v_mov_b32_e32 v1, 0
	v_mov_b32_e32 v0, v3
	s_add_u32 s16, s16, s10
	v_mad_u64_u32 v[4:5], s[18:19], s13, v7, v[0:1]
	s_addc_u32 s17, s17, s11
	v_mov_b32_e32 v3, v4
	v_lshl_add_u64 v[2:3], v[2:3], 2, s[16:17]
	v_lshlrev_b32_e32 v0, 2, v6
	v_lshl_add_u64 v[2:3], v[2:3], 0, v[0:1]
	v_lshlrev_b32_e32 v1, 7, v7
	v_lshlrev_b32_e32 v11, 5, v7
	s_mov_b64 s[16:17], -1
	s_andn2_b64 vcc, exec, s[4:5]
	v_add_u32_e32 v10, v0, v1
	s_cbranch_vccnz .LBB79_32
; %bb.31:
	s_lshl_b64 s[16:17], s[12:13], 4
	v_lshl_add_u64 v[4:5], v[2:3], 0, s[16:17]
	v_lshl_add_u64 v[12:13], v[4:5], 0, s[16:17]
	;; [unrolled: 1-line block ×5, first 2 shown]
	global_load_dword v9, v[2:3], off
	global_load_dword v20, v[4:5], off
	;; [unrolled: 1-line block ×6, first 2 shown]
	v_lshl_add_u64 v[4:5], v[18:19], 0, s[16:17]
	global_load_dword v12, v[4:5], off
	v_lshl_add_u64 v[4:5], v[4:5], 0, s[16:17]
	global_load_dword v4, v[4:5], off
	s_mov_b64 s[16:17], 0
	s_waitcnt vmcnt(6)
	ds_write2st64_b32 v10, v9, v20 offset1:2
	s_waitcnt vmcnt(4)
	ds_write2st64_b32 v10, v21, v22 offset0:4 offset1:6
	s_waitcnt vmcnt(2)
	ds_write2st64_b32 v10, v23, v24 offset0:8 offset1:10
	;; [unrolled: 2-line block ×3, first 2 shown]
.LBB79_32:
	s_andn2_b64 vcc, exec, s[16:17]
	v_add_u32_e32 v9, v11, v6
	s_cbranch_vccnz .LBB79_46
; %bb.33:
	v_mov_b32_e32 v4, 0
	v_cmp_gt_i32_e32 vcc, s25, v6
	ds_write2st64_b32 v10, v4, v4 offset1:2
	ds_write2st64_b32 v10, v4, v4 offset0:4 offset1:6
	ds_write2st64_b32 v10, v4, v4 offset0:8 offset1:10
	;; [unrolled: 1-line block ×3, first 2 shown]
	s_and_saveexec_b64 s[16:17], vcc
	s_cbranch_execz .LBB79_45
; %bb.34:
	s_cmp_lt_u32 s25, 4
	s_mov_b32 s22, 0
	s_cbranch_scc1 .LBB79_43
; %bb.35:
	s_lshr_b32 s22, s25, 2
	s_cmp_lt_u32 s25, 8
	s_cbranch_scc1 .LBB79_39
; %bb.36:
	s_and_b32 s18, s22, 0x3ffffffe
	v_lshl_add_u32 v4, v11, 2, v0
	s_mov_b32 s19, s12
	s_mov_b32 s20, s13
	;; [unrolled: 1-line block ×5, first 2 shown]
.LBB79_37:                              ; =>This Inner Loop Header: Depth=1
	s_lshl_b32 s29, s23, 2
	s_lshl_b32 s30, s21, 2
	s_mul_i32 s31, s20, s30
	s_mul_hi_u32 s35, s19, s30
	s_mul_i32 s36, s13, s29
	s_mul_hi_u32 s37, s12, s29
	s_mul_i32 s34, s12, s29
	s_add_i32 s31, s35, s31
	s_add_i32 s35, s37, s36
	s_mul_i32 s30, s19, s30
	v_lshl_add_u64 v[12:13], s[34:35], 2, v[2:3]
	v_lshl_add_u64 v[14:15], s[30:31], 2, v[2:3]
	global_load_dword v5, v[12:13], off
	global_load_dword v16, v[14:15], off
	v_lshl_add_u32 v12, s23, 9, v4
	v_lshl_add_u32 v13, s21, 9, v4
	s_add_i32 s23, s23, 2
	s_add_i32 s21, s21, 2
	s_add_i32 s28, s28, -2
	s_cmp_lg_u32 s28, 0
	s_waitcnt vmcnt(1)
	ds_write_b32 v12, v5
	s_waitcnt vmcnt(0)
	ds_write_b32 v13, v16
	s_cbranch_scc1 .LBB79_37
; %bb.38:
	s_cmp_lg_u32 s22, s18
	s_cselect_b64 s[20:21], -1, 0
	s_branch .LBB79_40
.LBB79_39:
	s_mov_b64 s[20:21], -1
	s_mov_b32 s18, 0
.LBB79_40:
	s_and_b64 vcc, exec, s[20:21]
	s_cbranch_vccz .LBB79_43
; %bb.41:
	s_sub_i32 s20, s22, s18
	s_lshl_b32 s19, s18, 9
	s_add_u32 s10, s10, s14
	s_addc_u32 s11, s11, s15
	s_add_u32 s2, s2, s10
	v_add3_u32 v12, s19, v1, v0
	s_mov_b32 s19, 0
	v_lshlrev_b32_e32 v4, 2, v7
	v_mov_b32_e32 v5, 0
	s_addc_u32 s3, s3, s11
	v_lshl_add_u64 v[14:15], s[18:19], 4, v[4:5]
	v_mov_b64_e32 v[16:17], s[2:3]
	v_mad_u64_u32 v[16:17], s[2:3], s12, v14, v[16:17]
	v_mul_lo_u32 v1, s12, v15
	v_mul_lo_u32 v4, s13, v14
	v_add3_u32 v17, v4, v17, v1
	v_mov_b32_e32 v1, v5
	v_lshl_add_u64 v[4:5], v[16:17], 0, v[0:1]
	v_lshl_add_u64 v[4:5], s[8:9], 0, v[4:5]
	s_lshl_b64 s[2:3], s[12:13], 4
.LBB79_42:                              ; =>This Inner Loop Header: Depth=1
	global_load_dword v1, v[4:5], off
	s_add_i32 s20, s20, -1
	v_lshl_add_u64 v[4:5], v[4:5], 0, s[2:3]
	s_cmp_lg_u32 s20, 0
	s_waitcnt vmcnt(0)
	ds_write_b32 v12, v1
	v_add_u32_e32 v12, 0x200, v12
	s_cbranch_scc1 .LBB79_42
.LBB79_43:
	s_and_b32 s2, s25, 3
	v_cmp_gt_u32_e32 vcc, s2, v7
	s_and_b64 exec, exec, vcc
	s_cbranch_execz .LBB79_45
; %bb.44:
	s_lshl_b32 s2, s22, 2
	s_mul_i32 s3, s13, s2
	s_mul_hi_u32 s8, s12, s2
	s_add_i32 s3, s8, s3
	s_mul_i32 s2, s12, s2
	v_lshl_add_u64 v[2:3], s[2:3], 2, v[2:3]
	global_load_dword v1, v[2:3], off
	v_lshlrev_b32_e32 v2, 2, v9
	v_lshl_add_u32 v2, s22, 9, v2
	s_waitcnt vmcnt(0)
	ds_write_b32 v2, v1
.LBB79_45:
	s_or_b64 exec, exec, s[16:17]
.LBB79_46:
	v_cmp_ge_u32_e32 vcc, v6, v7
	v_lshlrev_b32_e32 v2, 7, v6
	s_waitcnt lgkmcnt(0)
	s_barrier
	s_and_saveexec_b64 s[2:3], vcc
	s_xor_b64 s[2:3], exec, s[2:3]
; %bb.47:
	v_lshlrev_b32_e32 v2, 7, v6
                                        ; implicit-def: $vgpr11
; %bb.48:
	s_or_saveexec_b64 s[2:3], s[2:3]
	v_lshlrev_b32_e32 v1, 2, v7
	s_xor_b64 exec, exec, s[2:3]
	s_cbranch_execz .LBB79_50
; %bb.49:
	v_mul_u32_u24_e32 v3, 0x7c, v6
	v_add3_u32 v3, v0, v3, v1
	ds_read_b32 v3, v3
	v_lshl_add_u32 v4, v11, 2, v0
	s_waitcnt lgkmcnt(0)
	ds_write_b32 v4, v3
.LBB79_50:
	s_or_b64 exec, exec, s[2:3]
	v_sub_u32_e32 v3, v6, v7
	v_sub_u32_e32 v4, 0, v3
	v_max_i32_e32 v4, v3, v4
	v_cmp_gt_u32_e32 vcc, 4, v4
	v_lshl_add_u32 v3, v7, 2, v2
	v_lshl_add_u32 v2, v7, 7, v0
	s_and_saveexec_b64 s[2:3], vcc
	s_cbranch_execnz .LBB79_67
; %bb.51:
	s_or_b64 exec, exec, s[2:3]
	v_cmp_gt_u32_e32 vcc, 8, v4
	s_and_saveexec_b64 s[2:3], vcc
	s_cbranch_execnz .LBB79_68
.LBB79_52:
	s_or_b64 exec, exec, s[2:3]
	v_cmp_gt_u32_e32 vcc, 12, v4
	s_and_saveexec_b64 s[2:3], vcc
	s_cbranch_execnz .LBB79_69
.LBB79_53:
	s_or_b64 exec, exec, s[2:3]
	v_cmp_gt_u32_e32 vcc, 16, v4
	s_and_saveexec_b64 s[2:3], vcc
	s_cbranch_execnz .LBB79_70
.LBB79_54:
	s_or_b64 exec, exec, s[2:3]
	v_cmp_gt_u32_e32 vcc, 20, v4
	s_and_saveexec_b64 s[2:3], vcc
	s_cbranch_execnz .LBB79_71
.LBB79_55:
	s_or_b64 exec, exec, s[2:3]
	v_cmp_gt_u32_e32 vcc, 24, v4
	s_and_saveexec_b64 s[2:3], vcc
	s_cbranch_execz .LBB79_57
.LBB79_56:
	ds_read_b32 v5, v3 offset:96
	s_waitcnt lgkmcnt(0)
	ds_write_b32 v10, v5 offset:3072
.LBB79_57:
	s_or_b64 exec, exec, s[2:3]
	v_cmp_lt_u32_e32 vcc, 27, v4
	v_add_u32_e32 v4, 28, v7
                                        ; implicit-def: $vgpr5
	s_and_saveexec_b64 s[2:3], vcc
	s_xor_b64 s[2:3], exec, s[2:3]
; %bb.58:
	v_add_u32_e32 v4, 28, v7
	v_lshlrev_b32_e32 v5, 7, v4
                                        ; implicit-def: $vgpr3
; %bb.59:
	s_andn2_saveexec_b64 s[2:3], s[2:3]
	s_cbranch_execz .LBB79_61
; %bb.60:
	ds_read_b32 v3, v3 offset:112
	v_lshlrev_b32_e32 v5, 7, v4
	v_add_u32_e32 v7, v0, v5
	s_waitcnt lgkmcnt(0)
	ds_write_b32 v7, v3
.LBB79_61:
	s_or_b64 exec, exec, s[2:3]
	s_waitcnt lgkmcnt(0)
	s_barrier
	ds_read2st64_b32 v[16:17], v2 offset0:2 offset1:4
	ds_read_b32 v10, v10
	v_add_u32_e32 v7, 0x1400, v1
	ds_read2_b32 v[12:13], v7 offset1:4
	ds_read2_b32 v[14:15], v7 offset0:8 offset1:12
	ds_read2st64_b32 v[18:19], v2 offset0:6 offset1:8
	v_add_u32_e32 v3, v0, v5
	s_waitcnt lgkmcnt(4)
	v_mov_b32_e32 v11, v16
	v_lshlrev_b32_e32 v5, 2, v4
	s_waitcnt lgkmcnt(2)
	v_pk_mul_f32 v[10:11], v[10:11], v[12:13]
	ds_read_b32 v4, v1 offset:5216
	ds_read_b32 v3, v3
	ds_read_b32 v5, v5 offset:5120
	v_add_f32_e32 v1, 0, v10
	v_add_f32_e32 v1, v1, v11
	v_mov_b32_e32 v10, v17
	s_waitcnt lgkmcnt(3)
	v_mov_b32_e32 v11, v18
	v_pk_mul_f32 v[10:11], v[10:11], v[14:15]
	ds_read2st64_b32 v[14:15], v2 offset0:10 offset1:12
	ds_read2_b32 v[12:13], v7 offset0:16 offset1:20
	v_add_f32_e32 v1, v1, v10
	v_add_f32_e32 v1, v1, v11
	v_mov_b32_e32 v10, v19
	s_waitcnt lgkmcnt(1)
	v_mov_b32_e32 v11, v14
	s_waitcnt lgkmcnt(0)
	v_pk_mul_f32 v[10:11], v[10:11], v[12:13]
	v_mov_b32_e32 v2, v15
	v_add_f32_e32 v1, v1, v10
	v_add_f32_e32 v1, v1, v11
	v_pk_mul_f32 v[2:3], v[2:3], v[4:5]
	s_nop 0
	v_add_f32_e32 v1, v1, v2
	v_add_f32_e32 v1, v1, v3
	v_lshlrev_b32_e32 v2, 2, v9
	ds_write_b32 v2, v1 offset:4096
	s_waitcnt lgkmcnt(0)
	s_barrier
	s_and_saveexec_b64 s[2:3], s[0:1]
	s_cbranch_execz .LBB79_12
; %bb.62:
	v_add_u32_e32 v2, 0x1000, v0
	ds_read2_b32 v[0:1], v2 offset1:32
	ds_read2_b32 v[2:3], v2 offset0:64 offset1:96
	v_cmp_neq_f32_e64 vcc, s24, 0
	s_mov_b64 s[0:1], -1
	s_waitcnt lgkmcnt(1)
	v_add_f32_e32 v0, 0, v0
	v_add_f32_e32 v0, v0, v1
	s_waitcnt lgkmcnt(0)
	v_add_f32_e32 v0, v0, v2
	v_add_f32_e32 v0, v0, v3
	v_mul_f32_e32 v1, s33, v0
	v_fmac_f32_e32 v8, s33, v0
	v_cndmask_b32_e32 v0, v1, v8, vcc
	s_and_b64 vcc, exec, s[4:5]
	s_cbranch_vccz .LBB79_64
; %bb.63:
	v_mad_u64_u32 v[2:3], s[0:1], s6, v6, 0
	v_mov_b32_e32 v4, v3
	v_mad_u64_u32 v[4:5], s[0:1], s7, v6, v[4:5]
	v_mov_b32_e32 v3, v4
	v_lshl_add_u64 v[2:3], v[2:3], 2, s[26:27]
	global_store_dword v[2:3], v0, off
	s_mov_b64 s[0:1], 0
.LBB79_64:
	s_andn2_b64 vcc, exec, s[0:1]
	s_cbranch_vccnz .LBB79_12
; %bb.65:
	v_cmp_gt_i32_e32 vcc, s25, v6
	s_and_b64 exec, exec, vcc
	s_cbranch_execz .LBB79_12
; %bb.66:
	v_mad_u64_u32 v[2:3], s[0:1], s6, v6, 0
	v_mov_b32_e32 v4, v3
	v_mad_u64_u32 v[4:5], s[0:1], s7, v6, v[4:5]
	v_mov_b32_e32 v3, v4
	v_lshl_add_u64 v[2:3], v[2:3], 2, s[26:27]
	global_store_dword v[2:3], v0, off
	s_endpgm
.LBB79_67:
	ds_read_b32 v5, v3 offset:16
	s_waitcnt lgkmcnt(0)
	ds_write_b32 v2, v5 offset:512
	s_or_b64 exec, exec, s[2:3]
	v_cmp_gt_u32_e32 vcc, 8, v4
	s_and_saveexec_b64 s[2:3], vcc
	s_cbranch_execz .LBB79_52
.LBB79_68:
	ds_read_b32 v5, v3 offset:32
	s_waitcnt lgkmcnt(0)
	ds_write_b32 v2, v5 offset:1024
	s_or_b64 exec, exec, s[2:3]
	v_cmp_gt_u32_e32 vcc, 12, v4
	s_and_saveexec_b64 s[2:3], vcc
	s_cbranch_execz .LBB79_53
.LBB79_69:
	ds_read_b32 v5, v3 offset:48
	s_waitcnt lgkmcnt(0)
	ds_write_b32 v2, v5 offset:1536
	s_or_b64 exec, exec, s[2:3]
	v_cmp_gt_u32_e32 vcc, 16, v4
	s_and_saveexec_b64 s[2:3], vcc
	s_cbranch_execz .LBB79_54
.LBB79_70:
	ds_read_b32 v5, v3 offset:64
	s_waitcnt lgkmcnt(0)
	ds_write_b32 v10, v5 offset:2048
	s_or_b64 exec, exec, s[2:3]
	v_cmp_gt_u32_e32 vcc, 20, v4
	s_and_saveexec_b64 s[2:3], vcc
	s_cbranch_execz .LBB79_55
.LBB79_71:
	ds_read_b32 v5, v3 offset:80
	s_waitcnt lgkmcnt(0)
	ds_write_b32 v10, v5 offset:2560
	s_or_b64 exec, exec, s[2:3]
	v_cmp_gt_u32_e32 vcc, 24, v4
	s_and_saveexec_b64 s[2:3], vcc
	s_cbranch_execnz .LBB79_56
	s_branch .LBB79_57
	.section	.rodata,"a",@progbits
	.p2align	6, 0x0
	.amdhsa_kernel _ZL58rocblas_symv_kernel_lower_double_buffered_diagonal_genericILi32ELi4E24rocblas_internal_val_ptrIfEPKfPfEvbiT1_lT2_lllS6_lllS5_lT3_lllii
		.amdhsa_group_segment_fixed_size 5248
		.amdhsa_private_segment_fixed_size 0
		.amdhsa_kernarg_size 400
		.amdhsa_user_sgpr_count 2
		.amdhsa_user_sgpr_dispatch_ptr 0
		.amdhsa_user_sgpr_queue_ptr 0
		.amdhsa_user_sgpr_kernarg_segment_ptr 1
		.amdhsa_user_sgpr_dispatch_id 0
		.amdhsa_user_sgpr_kernarg_preload_length 0
		.amdhsa_user_sgpr_kernarg_preload_offset 0
		.amdhsa_user_sgpr_private_segment_size 0
		.amdhsa_uses_dynamic_stack 0
		.amdhsa_enable_private_segment 0
		.amdhsa_system_sgpr_workgroup_id_x 1
		.amdhsa_system_sgpr_workgroup_id_y 0
		.amdhsa_system_sgpr_workgroup_id_z 1
		.amdhsa_system_sgpr_workgroup_info 0
		.amdhsa_system_vgpr_workitem_id 1
		.amdhsa_next_free_vgpr 25
		.amdhsa_next_free_sgpr 38
		.amdhsa_accum_offset 28
		.amdhsa_reserve_vcc 1
		.amdhsa_float_round_mode_32 0
		.amdhsa_float_round_mode_16_64 0
		.amdhsa_float_denorm_mode_32 3
		.amdhsa_float_denorm_mode_16_64 3
		.amdhsa_dx10_clamp 1
		.amdhsa_ieee_mode 1
		.amdhsa_fp16_overflow 0
		.amdhsa_tg_split 0
		.amdhsa_exception_fp_ieee_invalid_op 0
		.amdhsa_exception_fp_denorm_src 0
		.amdhsa_exception_fp_ieee_div_zero 0
		.amdhsa_exception_fp_ieee_overflow 0
		.amdhsa_exception_fp_ieee_underflow 0
		.amdhsa_exception_fp_ieee_inexact 0
		.amdhsa_exception_int_div_zero 0
	.end_amdhsa_kernel
	.section	.text._ZL58rocblas_symv_kernel_lower_double_buffered_diagonal_genericILi32ELi4E24rocblas_internal_val_ptrIfEPKfPfEvbiT1_lT2_lllS6_lllS5_lT3_lllii,"axG",@progbits,_ZL58rocblas_symv_kernel_lower_double_buffered_diagonal_genericILi32ELi4E24rocblas_internal_val_ptrIfEPKfPfEvbiT1_lT2_lllS6_lllS5_lT3_lllii,comdat
.Lfunc_end79:
	.size	_ZL58rocblas_symv_kernel_lower_double_buffered_diagonal_genericILi32ELi4E24rocblas_internal_val_ptrIfEPKfPfEvbiT1_lT2_lllS6_lllS5_lT3_lllii, .Lfunc_end79-_ZL58rocblas_symv_kernel_lower_double_buffered_diagonal_genericILi32ELi4E24rocblas_internal_val_ptrIfEPKfPfEvbiT1_lT2_lllS6_lllS5_lT3_lllii
                                        ; -- End function
	.set _ZL58rocblas_symv_kernel_lower_double_buffered_diagonal_genericILi32ELi4E24rocblas_internal_val_ptrIfEPKfPfEvbiT1_lT2_lllS6_lllS5_lT3_lllii.num_vgpr, 25
	.set _ZL58rocblas_symv_kernel_lower_double_buffered_diagonal_genericILi32ELi4E24rocblas_internal_val_ptrIfEPKfPfEvbiT1_lT2_lllS6_lllS5_lT3_lllii.num_agpr, 0
	.set _ZL58rocblas_symv_kernel_lower_double_buffered_diagonal_genericILi32ELi4E24rocblas_internal_val_ptrIfEPKfPfEvbiT1_lT2_lllS6_lllS5_lT3_lllii.numbered_sgpr, 38
	.set _ZL58rocblas_symv_kernel_lower_double_buffered_diagonal_genericILi32ELi4E24rocblas_internal_val_ptrIfEPKfPfEvbiT1_lT2_lllS6_lllS5_lT3_lllii.num_named_barrier, 0
	.set _ZL58rocblas_symv_kernel_lower_double_buffered_diagonal_genericILi32ELi4E24rocblas_internal_val_ptrIfEPKfPfEvbiT1_lT2_lllS6_lllS5_lT3_lllii.private_seg_size, 0
	.set _ZL58rocblas_symv_kernel_lower_double_buffered_diagonal_genericILi32ELi4E24rocblas_internal_val_ptrIfEPKfPfEvbiT1_lT2_lllS6_lllS5_lT3_lllii.uses_vcc, 1
	.set _ZL58rocblas_symv_kernel_lower_double_buffered_diagonal_genericILi32ELi4E24rocblas_internal_val_ptrIfEPKfPfEvbiT1_lT2_lllS6_lllS5_lT3_lllii.uses_flat_scratch, 0
	.set _ZL58rocblas_symv_kernel_lower_double_buffered_diagonal_genericILi32ELi4E24rocblas_internal_val_ptrIfEPKfPfEvbiT1_lT2_lllS6_lllS5_lT3_lllii.has_dyn_sized_stack, 0
	.set _ZL58rocblas_symv_kernel_lower_double_buffered_diagonal_genericILi32ELi4E24rocblas_internal_val_ptrIfEPKfPfEvbiT1_lT2_lllS6_lllS5_lT3_lllii.has_recursion, 0
	.set _ZL58rocblas_symv_kernel_lower_double_buffered_diagonal_genericILi32ELi4E24rocblas_internal_val_ptrIfEPKfPfEvbiT1_lT2_lllS6_lllS5_lT3_lllii.has_indirect_call, 0
	.section	.AMDGPU.csdata,"",@progbits
; Kernel info:
; codeLenInByte = 2732
; TotalNumSgprs: 44
; NumVgprs: 25
; NumAgprs: 0
; TotalNumVgprs: 25
; ScratchSize: 0
; MemoryBound: 0
; FloatMode: 240
; IeeeMode: 1
; LDSByteSize: 5248 bytes/workgroup (compile time only)
; SGPRBlocks: 5
; VGPRBlocks: 3
; NumSGPRsForWavesPerEU: 44
; NumVGPRsForWavesPerEU: 25
; AccumOffset: 28
; Occupancy: 8
; WaveLimiterHint : 0
; COMPUTE_PGM_RSRC2:SCRATCH_EN: 0
; COMPUTE_PGM_RSRC2:USER_SGPR: 2
; COMPUTE_PGM_RSRC2:TRAP_HANDLER: 0
; COMPUTE_PGM_RSRC2:TGID_X_EN: 1
; COMPUTE_PGM_RSRC2:TGID_Y_EN: 0
; COMPUTE_PGM_RSRC2:TGID_Z_EN: 1
; COMPUTE_PGM_RSRC2:TIDIG_COMP_CNT: 1
; COMPUTE_PGM_RSRC3_GFX90A:ACCUM_OFFSET: 6
; COMPUTE_PGM_RSRC3_GFX90A:TG_SPLIT: 0
	.section	.text._ZL62rocblas_symv_kernel_lower_double_buffered_non_diagonal_genericILi32ELi4ELi4E24rocblas_internal_val_ptrIfEPKfPfEvbiT2_lT3_lllS6_lllT4_lllii,"axG",@progbits,_ZL62rocblas_symv_kernel_lower_double_buffered_non_diagonal_genericILi32ELi4ELi4E24rocblas_internal_val_ptrIfEPKfPfEvbiT2_lT3_lllS6_lllT4_lllii,comdat
	.globl	_ZL62rocblas_symv_kernel_lower_double_buffered_non_diagonal_genericILi32ELi4ELi4E24rocblas_internal_val_ptrIfEPKfPfEvbiT2_lT3_lllS6_lllT4_lllii ; -- Begin function _ZL62rocblas_symv_kernel_lower_double_buffered_non_diagonal_genericILi32ELi4ELi4E24rocblas_internal_val_ptrIfEPKfPfEvbiT2_lT3_lllS6_lllT4_lllii
	.p2align	8
	.type	_ZL62rocblas_symv_kernel_lower_double_buffered_non_diagonal_genericILi32ELi4ELi4E24rocblas_internal_val_ptrIfEPKfPfEvbiT2_lT3_lllS6_lllT4_lllii,@function
_ZL62rocblas_symv_kernel_lower_double_buffered_non_diagonal_genericILi32ELi4ELi4E24rocblas_internal_val_ptrIfEPKfPfEvbiT2_lT3_lllS6_lllT4_lllii: ; @_ZL62rocblas_symv_kernel_lower_double_buffered_non_diagonal_genericILi32ELi4ELi4E24rocblas_internal_val_ptrIfEPKfPfEvbiT2_lT3_lllS6_lllT4_lllii
; %bb.0:
	s_load_dword s5, s[0:1], 0x0
	s_load_dwordx16 s[8:23], s[0:1], 0x8
	s_waitcnt lgkmcnt(0)
	s_bitcmp0_b32 s5, 0
	s_cbranch_scc0 .LBB80_2
; %bb.1:
	s_mul_i32 s5, s11, s4
	s_mul_hi_u32 s6, s10, s4
	s_add_i32 s7, s6, s5
	s_mul_i32 s6, s10, s4
	s_lshl_b64 s[6:7], s[6:7], 2
	s_add_u32 s6, s8, s6
	s_addc_u32 s7, s9, s7
	s_load_dword s33, s[6:7], 0x0
	s_cbranch_execz .LBB80_3
	s_branch .LBB80_4
.LBB80_2:
                                        ; implicit-def: $sgpr33
.LBB80_3:
	s_waitcnt lgkmcnt(0)
	s_mov_b32 s33, s8
.LBB80_4:
	s_waitcnt lgkmcnt(0)
	v_cmp_eq_f32_e64 s[6:7], s33, 0
	s_and_b64 vcc, exec, s[6:7]
	s_cbranch_vccnz .LBB80_36
; %bb.5:
	s_load_dwordx2 s[8:9], s[0:1], 0x80
	s_waitcnt lgkmcnt(0)
	v_cvt_f32_u32_e32 v1, s9
	s_add_i32 s5, s8, -1
	s_cmp_eq_u32 s2, s5
	v_rcp_iflag_f32_e32 v1, v1
	s_nop 0
	v_mul_f32_e32 v1, 0x4f7ffffe, v1
	v_cvt_u32_f32_e32 v1, v1
	s_nop 0
	v_readfirstlane_b32 s6, v1
	s_cbranch_scc1 .LBB80_36
; %bb.6:
	s_not_b32 s7, s2
	s_load_dwordx4 s[24:27], s[0:1], 0x48
	s_add_i32 s5, s5, s7
	s_sub_i32 s7, 0, s9
	s_mul_i32 s7, s7, s6
	s_mul_hi_u32 s7, s6, s7
	s_add_i32 s6, s6, s7
	s_mul_hi_u32 s30, s5, s6
	s_waitcnt lgkmcnt(0)
	s_mul_i32 s6, s27, s4
	s_mul_hi_u32 s7, s26, s4
	s_add_i32 s35, s7, s6
	s_mul_i32 s34, s26, s4
	s_lshl_b64 s[6:7], s[34:35], 2
	s_add_u32 s10, s20, s6
	s_addc_u32 s11, s21, s7
	s_lshl_b64 s[6:7], s[22:23], 2
	s_add_u32 s28, s10, s6
	s_addc_u32 s29, s11, s7
	s_lshl_b32 s36, s2, 5
	s_ashr_i32 s37, s36, 31
	s_mul_i32 s6, s24, s37
	s_mul_hi_u32 s7, s24, s36
	s_add_i32 s6, s7, s6
	s_mul_i32 s7, s25, s36
	s_add_i32 s7, s6, s7
	s_mul_i32 s6, s24, s36
	s_lshl_b64 s[6:7], s[6:7], 2
	v_and_b32_e32 v31, 0x3ff, v0
	v_bfe_u32 v0, v0, 10, 10
	s_add_u32 s10, s28, s6
	s_addc_u32 s11, s29, s7
	v_cmp_eq_u32_e64 s[6:7], 0, v0
	s_and_saveexec_b64 s[26:27], s[6:7]
	s_cbranch_execz .LBB80_8
; %bb.7:
	v_mad_u64_u32 v[2:3], s[38:39], s24, v31, 0
	v_mov_b32_e32 v4, v3
	v_mad_u64_u32 v[4:5], s[38:39], s25, v31, v[4:5]
	v_mov_b32_e32 v3, v4
	v_lshl_add_u64 v[2:3], v[2:3], 2, s[10:11]
	global_load_dword v1, v[2:3], off
	v_lshlrev_b32_e32 v2, 2, v31
	s_waitcnt vmcnt(0)
	ds_write_b32 v2, v1 offset:3072
.LBB80_8:
	s_or_b64 exec, exec, s[26:27]
	s_mul_i32 s26, s30, s9
	s_sub_i32 s26, s5, s26
	s_add_i32 s27, s30, 1
	s_sub_i32 s31, s26, s9
	s_cmp_ge_u32 s26, s9
	s_cselect_b32 s27, s27, s30
	s_cselect_b32 s26, s31, s26
	s_add_i32 s30, s27, 1
	s_cmp_ge_u32 s26, s9
	s_cselect_b32 s30, s30, s27
	s_add_i32 s31, s9, -1
	s_cmp_eq_u32 s3, s31
	s_cselect_b64 s[26:27], -1, 0
	s_cmp_lg_u32 s3, s31
	s_mov_b32 s42, s30
	s_cbranch_scc1 .LBB80_10
; %bb.9:
	s_mul_i32 s9, s30, s9
	s_sub_i32 s5, s5, s9
	s_add_i32 s42, s5, s30
.LBB80_10:
	s_cmp_lg_u32 s3, s31
	s_cselect_b64 s[38:39], -1, 0
	s_cmp_eq_u32 s42, 0
	s_cselect_b64 s[40:41], -1, 0
	s_and_b64 s[38:39], s[38:39], s[40:41]
	s_and_b64 vcc, exec, s[38:39]
	s_cbranch_vccnz .LBB80_36
; %bb.11:
	s_mul_i32 s3, s3, s30
	s_lshl_b32 s30, s3, 5
	s_mul_i32 s3, s19, s4
	s_mul_hi_u32 s5, s18, s4
	s_add_i32 s19, s5, s3
	s_mul_i32 s18, s18, s4
	s_ashr_i32 s31, s30, 31
	s_lshl_b64 s[18:19], s[18:19], 2
	s_add_u32 s3, s12, s18
	s_addc_u32 s5, s13, s19
	s_lshl_b64 s[12:13], s[14:15], 2
	s_add_u32 s3, s3, s12
	s_addc_u32 s5, s5, s13
	s_add_u32 s9, s16, 1
	s_addc_u32 s12, s17, 0
	s_mul_i32 s13, s9, s37
	s_mul_hi_u32 s14, s9, s36
	s_add_i32 s13, s14, s13
	s_mul_i32 s12, s12, s36
	s_add_i32 s13, s13, s12
	s_mul_i32 s12, s9, s36
	s_lshl_b64 s[12:13], s[12:13], 2
	s_add_u32 s3, s3, s12
	s_addc_u32 s5, s5, s13
	s_lshl_b64 s[38:39], s[30:31], 2
	s_add_u32 s18, s3, s38
	s_addc_u32 s19, s5, s39
	s_mul_i32 s3, s24, s31
	s_mul_hi_u32 s5, s24, s30
	s_add_i32 s3, s5, s3
	s_mul_i32 s5, s25, s30
	s_add_i32 s13, s3, s5
	s_mul_i32 s12, s24, s30
	v_lshl_add_u32 v0, v0, 5, v31
	s_lshl_b64 s[12:13], s[12:13], 2
	v_lshrrev_b32_e32 v38, 4, v0
	s_load_dwordx2 s[40:41], s[0:1], 0x58
	s_add_u32 s14, s10, s12
	v_and_b32_e32 v2, 15, v31
	v_lshlrev_b32_e32 v39, 2, v38
	v_mov_b32_e32 v3, 0
	s_addc_u32 s15, s11, s13
	v_mad_u64_u32 v[8:9], s[10:11], s16, v39, v[2:3]
	v_mov_b32_e32 v4, v9
	v_mad_u64_u32 v[4:5], s[10:11], s17, v39, v[4:5]
	s_lshl_b64 s[12:13], s[24:25], 5
	s_add_i32 s3, s8, -2
	v_mov_b32_e32 v9, v4
	s_cmp_ge_u32 s2, s3
	v_mov_b32_e32 v48, v3
	v_mov_b32_e32 v46, v3
	;; [unrolled: 1-line block ×5, first 2 shown]
	s_waitcnt lgkmcnt(0)
	s_barrier
	s_cbranch_scc1 .LBB80_13
; %bb.12:
	v_lshl_add_u64 v[4:5], v[8:9], 2, s[18:19]
	v_lshl_add_u64 v[6:7], s[16:17], 2, v[4:5]
	;; [unrolled: 1-line block ×3, first 2 shown]
	global_load_dword v46, v[4:5], off offset:128
	global_load_dword v47, v[6:7], off offset:128
	;; [unrolled: 1-line block ×3, first 2 shown]
	v_mad_u64_u32 v[4:5], s[8:9], s16, 12, v[4:5]
	v_mov_b32_e32 v6, v5
	v_mad_u64_u32 v[6:7], s[8:9], s17, 12, v[6:7]
	v_mov_b32_e32 v5, v6
	global_load_dword v49, v[4:5], off offset:128
	v_mad_u64_u32 v[4:5], s[8:9], s24, v2, 0
	s_lshl_b64 s[2:3], s[12:13], 2
	v_mov_b32_e32 v6, v5
	s_add_u32 s2, s14, s2
	v_mad_u64_u32 v[6:7], s[8:9], s25, v2, v[6:7]
	s_addc_u32 s3, s15, s3
	v_mov_b32_e32 v5, v6
	v_lshl_add_u64 v[4:5], v[4:5], 2, s[2:3]
	global_load_dword v48, v[4:5], off
.LBB80_13:
	s_load_dwordx2 s[2:3], s[0:1], 0x70
	s_load_dwordx4 s[8:11], s[0:1], 0x60
	s_waitcnt lgkmcnt(0)
	s_mul_i32 s3, s3, s4
	s_mul_hi_u32 s5, s2, s4
	s_mul_i32 s2, s2, s4
	s_add_i32 s3, s5, s3
	s_lshl_b64 s[2:3], s[2:3], 2
	s_add_u32 s4, s40, s2
	s_addc_u32 s5, s41, s3
	s_lshl_b64 s[2:3], s[8:9], 2
	s_add_u32 s4, s4, s2
	s_addc_u32 s5, s5, s3
	s_mul_i32 s2, s10, s37
	s_mul_hi_u32 s3, s10, s36
	s_add_i32 s2, s3, s2
	s_mul_i32 s3, s11, s36
	s_add_i32 s3, s2, s3
	s_mul_i32 s2, s10, s36
	s_lshl_b64 s[2:3], s[2:3], 2
	s_add_u32 s2, s4, s2
	s_addc_u32 s3, s5, s3
	s_mul_i32 s4, s10, s31
	s_mul_hi_u32 s5, s10, s30
	s_add_i32 s4, s5, s4
	s_mul_i32 s5, s11, s30
	s_add_i32 s5, s4, s5
	s_mul_i32 s4, s10, s30
	s_lshl_b64 s[4:5], s[4:5], 2
	s_add_u32 s30, s2, s4
	s_addc_u32 s31, s3, s5
	s_cmp_lt_i32 s42, 1
	s_cbranch_scc1 .LBB80_20
; %bb.14:
	v_mad_u64_u32 v[12:13], s[8:9], s10, v31, 0
	v_mov_b32_e32 v4, v13
	v_mov_b32_e32 v1, 0x800
	;; [unrolled: 1-line block ×3, first 2 shown]
	s_lshl_b64 s[4:5], s[10:11], 7
	v_mad_u64_u32 v[4:5], s[8:9], s11, v31, v[4:5]
	v_lshl_or_b32 v15, v2, 2, v1
	v_lshl_add_u32 v42, v39, 2, v3
	v_lshlrev_b32_e32 v41, 7, v38
	v_lshl_add_u32 v40, v31, 2, v1
	s_cmp_lg_u32 s42, 1
	v_mov_b32_e32 v13, v4
	s_cbranch_scc0 .LBB80_21
; %bb.15:
	s_add_i32 s40, s42, -1
	v_mad_u64_u32 v[4:5], s[42:43], s16, v38, 0
	v_mov_b32_e32 v6, v5
	v_and_b32_e32 v3, 0xfff0, v0
	v_mad_u64_u32 v[6:7], s[42:43], s17, v38, v[6:7]
	v_lshlrev_b32_e32 v16, 2, v2
	v_mov_b32_e32 v17, 0
	v_or_b32_e32 v1, 8, v3
	v_mov_b32_e32 v5, v6
	v_mad_u64_u32 v[6:7], s[42:43], s16, v1, v[16:17]
	v_mov_b32_e32 v0, v7
	v_mad_u64_u32 v[0:1], s[42:43], s17, v1, v[0:1]
	v_or_b32_e32 v1, 12, v3
	v_mad_u64_u32 v[20:21], s[42:43], s16, v1, v[16:17]
	v_mov_b32_e32 v7, v0
	v_mov_b32_e32 v0, v21
	v_mad_u64_u32 v[0:1], s[42:43], s17, v1, v[0:1]
	v_or_b32_e32 v1, 4, v3
	v_mad_u64_u32 v[22:23], s[42:43], s16, v1, v[16:17]
	v_mov_b32_e32 v21, v0
	v_mov_b32_e32 v0, v23
	s_lshl_b64 s[8:9], s[16:17], 2
	v_mad_u64_u32 v[0:1], s[42:43], s17, v1, v[0:1]
	s_lshl_b64 s[36:37], s[36:37], 2
	s_add_u32 s42, s38, s36
	s_addc_u32 s43, s39, s37
	s_mul_i32 s36, s24, s43
	s_mul_hi_u32 s37, s24, s42
	s_add_i32 s36, s37, s36
	s_mul_i32 s37, s25, s42
	s_add_i32 s36, s36, s37
	s_add_u32 s22, s22, s34
	s_addc_u32 s23, s23, s35
	s_lshl_b64 s[22:23], s[22:23], 2
	s_add_u32 s38, s20, s22
	v_mov_b32_e32 v23, v0
	s_addc_u32 s39, s21, s23
	v_lshl_add_u64 v[0:1], s[42:43], 0, v[16:17]
	s_mov_b64 s[20:21], 0xc0
	v_lshl_add_u64 v[10:11], v[0:1], 0, s[20:21]
	v_mad_u64_u32 v[24:25], s[20:21], s24, v10, 0
	s_mov_b64 s[20:21], 0x100
	v_mul_lo_u32 v3, s25, v10
	v_mul_lo_u32 v11, s24, v11
	v_lshl_add_u64 v[0:1], v[0:1], 0, s[20:21]
	v_add3_u32 v25, v25, v11, v3
	v_mul_lo_u32 v3, s25, v0
	v_mul_lo_u32 v1, s24, v1
	v_mad_u64_u32 v[26:27], s[20:21], s24, v0, 0
	v_lshl_add_u64 v[4:5], v[4:5], 4, v[16:17]
	s_mul_i32 s37, s24, s42
	s_lshl_b64 s[22:23], s[24:25], 7
	v_add3_u32 v27, v27, v1, v3
	v_mov_b64_e32 v[10:11], s[30:31]
	s_mov_b64 s[20:21], s[18:19]
	s_waitcnt vmcnt(0)
	v_mov_b32_e32 v28, v48
	v_mov_b32_e32 v16, v17
	;; [unrolled: 1-line block ×8, first 2 shown]
.LBB80_16:                              ; =>This Inner Loop Header: Depth=1
	v_lshl_add_u64 v[0:1], s[28:29], 0, v[24:25]
	v_lshl_add_u64 v[50:51], s[20:21], 0, v[4:5]
	global_load_dword v30, v[0:1], off
	v_lshl_add_u64 v[52:53], s[20:21], 0, v[22:23]
	v_lshl_add_u64 v[54:55], s[20:21], 0, v[6:7]
	;; [unrolled: 1-line block ×3, first 2 shown]
	global_load_dword v34, v[50:51], off offset:192
	global_load_dword v35, v[52:53], off offset:192
	global_load_dword v44, v[54:55], off offset:192
	global_load_dword v37, v[56:57], off offset:192
	global_load_dword v3, v[56:57], off offset:256
	global_load_dword v43, v[54:55], off offset:256
	global_load_dword v1, v[52:53], off offset:256
	global_load_dword v0, v[50:51], off offset:256
	v_lshl_add_u64 v[50:51], s[28:29], 0, v[26:27]
	global_load_dword v14, v[50:51], off
	ds_read_b128 v[50:53], v42
	v_add_u32_e32 v54, v15, v41
	s_waitcnt lgkmcnt(0)
	s_barrier
	v_fma_f32 v55, v32, v50, 0
	v_fmac_f32_e32 v55, v33, v51
	v_fmac_f32_e32 v55, v29, v52
	;; [unrolled: 1-line block ×3, first 2 shown]
	s_waitcnt vmcnt(8)
	v_fma_f32 v50, v34, v50, 0
	s_waitcnt vmcnt(7)
	v_fmac_f32_e32 v50, v35, v51
	s_waitcnt vmcnt(6)
	v_fmac_f32_e32 v50, v44, v52
	;; [unrolled: 2-line block ×3, first 2 shown]
	ds_write2_b32 v54, v55, v50 offset1:16
	s_waitcnt lgkmcnt(0)
	s_barrier
	s_and_saveexec_b64 s[34:35], s[6:7]
	s_cbranch_execz .LBB80_18
; %bb.17:                               ;   in Loop: Header=BB80_16 Depth=1
	ds_read2_b32 v[50:51], v40 offset1:32
	ds_read2_b32 v[52:53], v40 offset0:64 offset1:96
	ds_read2_b32 v[54:55], v40 offset0:128 offset1:160
	;; [unrolled: 1-line block ×3, first 2 shown]
	v_lshl_add_u64 v[10:11], v[10:11], 0, s[4:5]
	s_waitcnt lgkmcnt(3)
	v_add_f32_e32 v50, 0, v50
	v_add_f32_e32 v50, v50, v51
	s_waitcnt lgkmcnt(2)
	v_add_f32_e32 v50, v50, v52
	v_add_f32_e32 v50, v50, v53
	;; [unrolled: 3-line block ×4, first 2 shown]
	v_lshl_add_u64 v[50:51], v[12:13], 2, v[10:11]
	v_mul_f32_e32 v52, s33, v52
	global_atomic_add_f32 v[50:51], v52, off
.LBB80_18:                              ;   in Loop: Header=BB80_16 Depth=1
	s_or_b64 exec, exec, s[34:35]
	s_add_u32 s20, s20, 0x80
	s_addc_u32 s21, s21, 0
	s_add_i32 s40, s40, -1
	s_add_u32 s38, s38, s22
	s_addc_u32 s39, s39, s23
	v_mul_f32_e32 v50, v28, v29
	v_mov_b32_e32 v29, v30
	s_add_u32 s28, s28, s22
	v_pk_mul_f32 v[36:37], v[28:29], v[36:37]
	s_addc_u32 s29, s29, s23
	v_mov_b32_e32 v51, v36
	s_add_u32 s34, s38, s37
	v_mul_f32_e32 v52, v30, v44
	v_mov_b32_e32 v53, v37
	v_pk_fma_f32 v[16:17], v[28:29], v[32:33], v[16:17] op_sel_hi:[0,1,1]
	v_pk_add_f32 v[18:19], v[18:19], v[50:51]
	s_addc_u32 s35, s39, s36
	v_pk_add_f32 v[18:19], v[18:19], v[52:53]
	s_cmp_eq_u32 s40, 0
	v_pk_fma_f32 v[16:17], v[30:31], v[34:35], v[16:17] op_sel_hi:[0,1,1]
	s_cbranch_scc1 .LBB80_22
; %bb.19:                               ;   in Loop: Header=BB80_16 Depth=1
	s_waitcnt vmcnt(0)
	v_mov_b32_e32 v28, v14
	v_mov_b32_e32 v32, v0
	;; [unrolled: 1-line block ×5, first 2 shown]
	s_branch .LBB80_16
.LBB80_20:
	v_mov_b64_e32 v[10:11], s[30:31]
	v_mov_b32_e32 v0, v3
	v_mov_b32_e32 v5, v3
	;; [unrolled: 1-line block ×4, first 2 shown]
	s_waitcnt vmcnt(0)
	v_mov_b32_e32 v14, v48
	s_and_b64 vcc, exec, s[26:27]
	s_cbranch_vccnz .LBB80_27
	s_branch .LBB80_34
.LBB80_21:
                                        ; implicit-def: $vgpr3
                                        ; implicit-def: $vgpr43
                                        ; implicit-def: $vgpr19
                                        ; implicit-def: $vgpr17
                                        ; implicit-def: $sgpr34_sgpr35
                                        ; implicit-def: $vgpr10_vgpr11
                                        ; implicit-def: $vgpr14
                                        ; implicit-def: $sgpr20_sgpr21
                                        ; implicit-def: $sgpr8_sgpr9
                                        ; implicit-def: $vgpr4_vgpr5_vgpr6_vgpr7
	s_cbranch_execnz .LBB80_23
	s_branch .LBB80_24
.LBB80_22:
	s_waitcnt vmcnt(1)
	v_mov_b64_e32 v[6:7], v[2:3]
	v_mov_b64_e32 v[4:5], v[0:1]
	s_branch .LBB80_24
.LBB80_23:
	v_mov_b32_e32 v16, 0
	s_waitcnt vmcnt(0)
	v_mov_b64_e32 v[4:5], v[46:47]
	s_lshl_b64 s[8:9], s[16:17], 2
	v_mov_b64_e32 v[10:11], s[30:31]
	v_mov_b64_e32 v[6:7], v[48:49]
	s_mov_b64 s[20:21], s[18:19]
	v_mov_b32_e32 v14, v48
	s_mov_b64 s[34:35], s[14:15]
	v_mov_b32_e32 v17, v16
	v_mov_b32_e32 v18, v16
	;; [unrolled: 1-line block ×7, first 2 shown]
.LBB80_24:
	v_or_b32_e32 v22, 16, v2
	v_mad_u64_u32 v[20:21], s[14:15], s24, v22, 0
	v_mov_b32_e32 v6, v21
	v_mad_u64_u32 v[22:23], s[14:15], s25, v22, v[6:7]
	s_lshl_b64 s[14:15], s[12:13], 2
	s_add_u32 s14, s34, s14
	v_mov_b32_e32 v21, v22
	s_addc_u32 s15, s35, s15
	v_lshl_add_u64 v[20:21], v[20:21], 2, s[14:15]
	global_load_dword v6, v[20:21], off
	v_lshl_add_u64 v[20:21], v[8:9], 2, s[20:21]
	v_mad_u64_u32 v[22:23], s[18:19], s16, 12, v[20:21]
	v_mov_b32_e32 v24, v23
	v_mad_u64_u32 v[24:25], s[18:19], s17, 12, v[24:25]
	s_sub_u32 s8, 0, s8
	v_mov_b32_e32 v23, v24
	s_subb_u32 s9, 0, s9
	v_lshl_add_u64 v[24:25], v[22:23], 0, s[8:9]
	v_lshl_add_u64 v[26:27], v[24:25], 0, s[8:9]
	global_load_dword v30, v[24:25], off offset:192
	global_load_dword v29, v[26:27], off offset:192
	;; [unrolled: 1-line block ×4, first 2 shown]
	ds_read_b128 v[20:23], v42
	v_mov_b32_e32 v32, v7
	v_add_u32_e32 v7, v15, v41
	s_waitcnt vmcnt(5)
	v_mul_f32_e32 v24, v14, v43
	s_add_u32 s18, s20, 0x80
	s_waitcnt lgkmcnt(0)
	v_fma_f32 v34, v0, v20, 0
	v_fmac_f32_e32 v34, v1, v21
	v_fmac_f32_e32 v34, v43, v22
	;; [unrolled: 1-line block ×3, first 2 shown]
	s_addc_u32 s19, s21, 0
	s_barrier
	s_waitcnt vmcnt(4)
	v_mov_b32_e32 v15, v6
	v_pk_fma_f32 v[4:5], v[14:15], v[4:5], v[16:17] op_sel_hi:[0,1,1]
	s_waitcnt vmcnt(3)
	v_mul_f32_e32 v0, v6, v30
	s_waitcnt vmcnt(1)
	v_fma_f32 v3, v28, v20, 0
	s_waitcnt vmcnt(0)
	v_pk_mul_f32 v[26:27], v[14:15], v[32:33]
	v_fmac_f32_e32 v3, v29, v21
	v_mov_b32_e32 v25, v26
	v_mov_b32_e32 v1, v27
	v_fmac_f32_e32 v3, v30, v22
	v_pk_add_f32 v[16:17], v[18:19], v[24:25]
	v_pk_fma_f32 v[4:5], v[6:7], v[28:29], v[4:5] op_sel_hi:[0,1,1]
	v_fmac_f32_e32 v3, v33, v23
	v_pk_add_f32 v[0:1], v[16:17], v[0:1]
	ds_write2_b32 v7, v34, v3 offset1:16
	s_waitcnt lgkmcnt(0)
	s_barrier
	s_and_saveexec_b64 s[8:9], s[6:7]
	s_cbranch_execz .LBB80_26
; %bb.25:
	ds_read2_b32 v[16:17], v40 offset1:32
	ds_read2_b32 v[18:19], v40 offset0:64 offset1:96
	ds_read2_b32 v[20:21], v40 offset0:128 offset1:160
	;; [unrolled: 1-line block ×3, first 2 shown]
	v_lshl_add_u64 v[10:11], v[10:11], 0, s[4:5]
	s_waitcnt lgkmcnt(3)
	v_add_f32_e32 v3, 0, v16
	v_add_f32_e32 v3, v3, v17
	s_waitcnt lgkmcnt(2)
	v_add_f32_e32 v3, v3, v18
	v_add_f32_e32 v3, v3, v19
	;; [unrolled: 3-line block ×4, first 2 shown]
	v_lshl_add_u64 v[12:13], v[12:13], 2, v[10:11]
	v_mul_f32_e32 v3, s33, v3
	global_atomic_add_f32 v[12:13], v3, off
.LBB80_26:
	s_or_b64 exec, exec, s[8:9]
	v_mov_b32_e32 v3, v1
	s_and_b64 vcc, exec, s[26:27]
	s_cbranch_vccz .LBB80_34
.LBB80_27:
	s_load_dword s8, s[0:1], 0x78
	s_lshl_b64 s[0:1], s[12:13], 2
	s_add_u32 s0, s14, s0
	v_mov_b32_e32 v18, 0
	s_addc_u32 s1, s15, s1
	s_waitcnt lgkmcnt(0)
	v_cmp_gt_i32_e32 vcc, s8, v2
	v_mov_b32_e32 v12, 0
	v_mov_b32_e32 v13, 0
	;; [unrolled: 1-line block ×4, first 2 shown]
	s_and_saveexec_b64 s[4:5], vcc
	s_cbranch_execz .LBB80_29
; %bb.28:
	v_lshl_add_u64 v[14:15], v[8:9], 2, s[18:19]
	v_lshl_add_u64 v[16:17], s[16:17], 2, v[14:15]
	;; [unrolled: 1-line block ×3, first 2 shown]
	global_load_dword v12, v[14:15], off offset:128
	global_load_dword v13, v[16:17], off offset:128
	;; [unrolled: 1-line block ×3, first 2 shown]
	v_mad_u64_u32 v[14:15], s[12:13], s16, 12, v[14:15]
	v_mov_b32_e32 v16, v15
	v_mad_u64_u32 v[16:17], s[12:13], s17, 12, v[16:17]
	v_mov_b32_e32 v15, v16
	global_load_dword v16, v[14:15], off offset:128
	v_mad_u64_u32 v[14:15], s[12:13], s24, v2, 0
	v_mov_b32_e32 v20, v15
	v_mad_u64_u32 v[20:21], s[12:13], s25, v2, v[20:21]
	v_mov_b32_e32 v15, v20
	v_lshl_add_u64 v[14:15], v[14:15], 2, s[0:1]
	global_load_dword v14, v[14:15], off
.LBB80_29:
	s_or_b64 exec, exec, s[4:5]
	v_or_b32_e32 v15, 16, v2
	v_cmp_gt_i32_e32 vcc, s8, v15
	v_mov_b32_e32 v19, 0
	v_mov_b32_e32 v1, 0
	;; [unrolled: 1-line block ×3, first 2 shown]
	s_and_saveexec_b64 s[4:5], vcc
	s_cbranch_execz .LBB80_31
; %bb.30:
	v_lshl_add_u64 v[8:9], v[8:9], 2, s[18:19]
	v_lshl_add_u64 v[20:21], s[16:17], 2, v[8:9]
	;; [unrolled: 1-line block ×3, first 2 shown]
	global_load_dword v18, v[8:9], off offset:192
	global_load_dword v19, v[20:21], off offset:192
	;; [unrolled: 1-line block ×3, first 2 shown]
	v_mad_u64_u32 v[8:9], s[12:13], s16, 12, v[8:9]
	v_mov_b32_e32 v6, v9
	s_waitcnt vmcnt(5)
	v_mad_u64_u32 v[20:21], s[12:13], s17, 12, v[6:7]
	v_mov_b32_e32 v9, v20
	global_load_dword v17, v[8:9], off offset:192
	v_mad_u64_u32 v[8:9], s[12:13], s24, v15, 0
	v_mov_b32_e32 v6, v9
	v_mad_u64_u32 v[20:21], s[12:13], s25, v15, v[6:7]
	v_mov_b32_e32 v9, v20
	v_lshl_add_u64 v[8:9], v[8:9], 2, s[0:1]
	global_load_dword v6, v[8:9], off
.LBB80_31:
	s_or_b64 exec, exec, s[4:5]
	v_lshlrev_b32_e32 v8, 2, v39
	ds_read_b128 v[20:23], v8 offset:3072
	s_waitcnt vmcnt(0)
	v_pk_fma_f32 v[4:5], v[14:15], v[12:13], v[4:5] op_sel_hi:[0,1,1]
	v_pk_fma_f32 v[4:5], v[6:7], v[18:19], v[4:5] op_sel_hi:[0,1,1]
	v_mov_b32_e32 v15, v6
	v_mul_f32_e32 v8, v14, v7
	s_waitcnt lgkmcnt(0)
	v_fma_f32 v18, v18, v20, 0
	v_fmac_f32_e32 v18, v19, v21
	v_mul_f32_e32 v24, v6, v1
	v_fmac_f32_e32 v18, v1, v22
	v_pk_mul_f32 v[14:15], v[14:15], v[16:17]
	v_mov_b32_e32 v1, v3
	v_fma_f32 v3, v12, v20, 0
	v_mov_b32_e32 v9, v14
	v_fmac_f32_e32 v3, v13, v21
	v_lshlrev_b32_e32 v6, 2, v2
	v_pk_add_f32 v[0:1], v[0:1], v[8:9]
	v_mov_b32_e32 v25, v15
	v_fmac_f32_e32 v3, v7, v22
	v_lshl_or_b32 v6, v38, 7, v6
	v_cmp_gt_i32_e32 vcc, s8, v31
	v_fmac_f32_e32 v18, v17, v23
	v_pk_add_f32 v[0:1], v[0:1], v[24:25]
	v_fmac_f32_e32 v3, v16, v23
	v_add_u32_e32 v6, 0x800, v6
	s_and_b64 s[4:5], s[6:7], vcc
	s_barrier
	ds_write2_b32 v6, v3, v18 offset1:16
	s_waitcnt lgkmcnt(0)
	s_barrier
	s_and_saveexec_b64 s[0:1], s[4:5]
	s_cbranch_execz .LBB80_33
; %bb.32:
	v_lshlrev_b32_e32 v3, 2, v31
	v_add_u32_e32 v3, 0x800, v3
	ds_read2_b32 v[6:7], v3 offset1:32
	s_lshl_b64 s[4:5], s[10:11], 7
	v_lshl_add_u64 v[8:9], v[10:11], 0, s[4:5]
	ds_read2_b32 v[10:11], v3 offset0:64 offset1:96
	ds_read2_b32 v[12:13], v3 offset0:128 offset1:160
	s_waitcnt lgkmcnt(2)
	v_add_f32_e32 v6, 0, v6
	v_add_f32_e32 v14, v6, v7
	ds_read2_b32 v[6:7], v3 offset0:192 offset1:224
	s_waitcnt lgkmcnt(2)
	v_add_f32_e32 v3, v14, v10
	v_add_f32_e32 v3, v3, v11
	s_waitcnt lgkmcnt(1)
	v_add_f32_e32 v3, v3, v12
	v_add_f32_e32 v3, v3, v13
	s_waitcnt lgkmcnt(0)
	v_add_f32_e32 v3, v3, v6
	v_add_f32_e32 v3, v3, v7
	v_mad_u64_u32 v[6:7], s[4:5], s10, v31, 0
	v_mov_b32_e32 v10, v7
	v_mad_u64_u32 v[10:11], s[4:5], s11, v31, v[10:11]
	v_mov_b32_e32 v7, v10
	v_lshl_add_u64 v[6:7], v[6:7], 2, v[8:9]
	v_mul_f32_e32 v3, s33, v3
	global_atomic_add_f32 v[6:7], v3, off
.LBB80_33:
	s_or_b64 exec, exec, s[0:1]
	v_mov_b32_e32 v3, v1
.LBB80_34:
	v_lshlrev_b32_e32 v1, 8, v38
	v_lshl_or_b32 v1, v2, 2, v1
	ds_write2_b32 v1, v4, v5 offset1:16
	ds_write2_b32 v1, v0, v3 offset0:32 offset1:48
	s_waitcnt lgkmcnt(0)
	s_barrier
	s_and_saveexec_b64 s[0:1], s[6:7]
	s_cbranch_execz .LBB80_36
; %bb.35:
	v_add_u32_e32 v3, 1, v31
	v_add_u32_e32 v4, 2, v31
	;; [unrolled: 1-line block ×7, first 2 shown]
	v_lshlrev_b32_e32 v0, 6, v31
	v_and_b32_e32 v3, 15, v3
	v_and_b32_e32 v4, 15, v4
	;; [unrolled: 1-line block ×7, first 2 shown]
	v_lshl_or_b32 v1, v2, 2, v0
	v_lshl_or_b32 v3, v3, 2, v0
	;; [unrolled: 1-line block ×8, first 2 shown]
	ds_read_b32 v1, v1
	ds_read_b32 v3, v3
	;; [unrolled: 1-line block ×8, first 2 shown]
	s_waitcnt lgkmcnt(7)
	v_add_f32_e32 v1, 0, v1
	s_waitcnt lgkmcnt(6)
	v_add_f32_e32 v1, v1, v3
	;; [unrolled: 2-line block ×8, first 2 shown]
	v_add_u32_e32 v3, 9, v31
	v_add_u32_e32 v4, 10, v31
	;; [unrolled: 1-line block ×6, first 2 shown]
	v_add_u32_e32 v9, -1, v31
	v_xor_b32_e32 v2, 8, v2
	v_and_b32_e32 v3, 15, v3
	v_and_b32_e32 v4, 15, v4
	;; [unrolled: 1-line block ×7, first 2 shown]
	v_lshl_or_b32 v2, v2, 2, v0
	v_lshl_or_b32 v3, v3, 2, v0
	;; [unrolled: 1-line block ×8, first 2 shown]
	ds_read_b32 v2, v2
	ds_read_b32 v3, v3
	;; [unrolled: 1-line block ×8, first 2 shown]
	s_waitcnt lgkmcnt(7)
	v_add_f32_e32 v1, v1, v2
	s_waitcnt lgkmcnt(6)
	v_add_f32_e32 v1, v1, v3
	s_waitcnt lgkmcnt(5)
	v_add_f32_e32 v1, v1, v4
	s_waitcnt lgkmcnt(4)
	v_add_f32_e32 v1, v1, v5
	s_waitcnt lgkmcnt(3)
	v_add_f32_e32 v1, v1, v6
	s_waitcnt lgkmcnt(2)
	v_add_f32_e32 v1, v1, v7
	s_waitcnt lgkmcnt(1)
	v_add_f32_e32 v1, v1, v8
	s_waitcnt lgkmcnt(0)
	v_add_f32_e32 v4, v1, v0
	v_mad_u64_u32 v[0:1], s[0:1], s10, v31, 0
	v_mov_b32_e32 v2, v1
	v_mad_u64_u32 v[2:3], s[0:1], s11, v31, v[2:3]
	v_mov_b32_e32 v1, v2
	v_lshl_add_u64 v[0:1], v[0:1], 2, s[2:3]
	v_mul_f32_e32 v2, s33, v4
	global_atomic_add_f32 v[0:1], v2, off
.LBB80_36:
	s_endpgm
	.section	.rodata,"a",@progbits
	.p2align	6, 0x0
	.amdhsa_kernel _ZL62rocblas_symv_kernel_lower_double_buffered_non_diagonal_genericILi32ELi4ELi4E24rocblas_internal_val_ptrIfEPKfPfEvbiT2_lT3_lllS6_lllT4_lllii
		.amdhsa_group_segment_fixed_size 3200
		.amdhsa_private_segment_fixed_size 0
		.amdhsa_kernarg_size 384
		.amdhsa_user_sgpr_count 2
		.amdhsa_user_sgpr_dispatch_ptr 0
		.amdhsa_user_sgpr_queue_ptr 0
		.amdhsa_user_sgpr_kernarg_segment_ptr 1
		.amdhsa_user_sgpr_dispatch_id 0
		.amdhsa_user_sgpr_kernarg_preload_length 0
		.amdhsa_user_sgpr_kernarg_preload_offset 0
		.amdhsa_user_sgpr_private_segment_size 0
		.amdhsa_uses_dynamic_stack 0
		.amdhsa_enable_private_segment 0
		.amdhsa_system_sgpr_workgroup_id_x 1
		.amdhsa_system_sgpr_workgroup_id_y 1
		.amdhsa_system_sgpr_workgroup_id_z 1
		.amdhsa_system_sgpr_workgroup_info 0
		.amdhsa_system_vgpr_workitem_id 1
		.amdhsa_next_free_vgpr 58
		.amdhsa_next_free_sgpr 44
		.amdhsa_accum_offset 60
		.amdhsa_reserve_vcc 1
		.amdhsa_float_round_mode_32 0
		.amdhsa_float_round_mode_16_64 0
		.amdhsa_float_denorm_mode_32 3
		.amdhsa_float_denorm_mode_16_64 3
		.amdhsa_dx10_clamp 1
		.amdhsa_ieee_mode 1
		.amdhsa_fp16_overflow 0
		.amdhsa_tg_split 0
		.amdhsa_exception_fp_ieee_invalid_op 0
		.amdhsa_exception_fp_denorm_src 0
		.amdhsa_exception_fp_ieee_div_zero 0
		.amdhsa_exception_fp_ieee_overflow 0
		.amdhsa_exception_fp_ieee_underflow 0
		.amdhsa_exception_fp_ieee_inexact 0
		.amdhsa_exception_int_div_zero 0
	.end_amdhsa_kernel
	.section	.text._ZL62rocblas_symv_kernel_lower_double_buffered_non_diagonal_genericILi32ELi4ELi4E24rocblas_internal_val_ptrIfEPKfPfEvbiT2_lT3_lllS6_lllT4_lllii,"axG",@progbits,_ZL62rocblas_symv_kernel_lower_double_buffered_non_diagonal_genericILi32ELi4ELi4E24rocblas_internal_val_ptrIfEPKfPfEvbiT2_lT3_lllS6_lllT4_lllii,comdat
.Lfunc_end80:
	.size	_ZL62rocblas_symv_kernel_lower_double_buffered_non_diagonal_genericILi32ELi4ELi4E24rocblas_internal_val_ptrIfEPKfPfEvbiT2_lT3_lllS6_lllT4_lllii, .Lfunc_end80-_ZL62rocblas_symv_kernel_lower_double_buffered_non_diagonal_genericILi32ELi4ELi4E24rocblas_internal_val_ptrIfEPKfPfEvbiT2_lT3_lllS6_lllT4_lllii
                                        ; -- End function
	.set _ZL62rocblas_symv_kernel_lower_double_buffered_non_diagonal_genericILi32ELi4ELi4E24rocblas_internal_val_ptrIfEPKfPfEvbiT2_lT3_lllS6_lllT4_lllii.num_vgpr, 58
	.set _ZL62rocblas_symv_kernel_lower_double_buffered_non_diagonal_genericILi32ELi4ELi4E24rocblas_internal_val_ptrIfEPKfPfEvbiT2_lT3_lllS6_lllT4_lllii.num_agpr, 0
	.set _ZL62rocblas_symv_kernel_lower_double_buffered_non_diagonal_genericILi32ELi4ELi4E24rocblas_internal_val_ptrIfEPKfPfEvbiT2_lT3_lllS6_lllT4_lllii.numbered_sgpr, 44
	.set _ZL62rocblas_symv_kernel_lower_double_buffered_non_diagonal_genericILi32ELi4ELi4E24rocblas_internal_val_ptrIfEPKfPfEvbiT2_lT3_lllS6_lllT4_lllii.num_named_barrier, 0
	.set _ZL62rocblas_symv_kernel_lower_double_buffered_non_diagonal_genericILi32ELi4ELi4E24rocblas_internal_val_ptrIfEPKfPfEvbiT2_lT3_lllS6_lllT4_lllii.private_seg_size, 0
	.set _ZL62rocblas_symv_kernel_lower_double_buffered_non_diagonal_genericILi32ELi4ELi4E24rocblas_internal_val_ptrIfEPKfPfEvbiT2_lT3_lllS6_lllT4_lllii.uses_vcc, 1
	.set _ZL62rocblas_symv_kernel_lower_double_buffered_non_diagonal_genericILi32ELi4ELi4E24rocblas_internal_val_ptrIfEPKfPfEvbiT2_lT3_lllS6_lllT4_lllii.uses_flat_scratch, 0
	.set _ZL62rocblas_symv_kernel_lower_double_buffered_non_diagonal_genericILi32ELi4ELi4E24rocblas_internal_val_ptrIfEPKfPfEvbiT2_lT3_lllS6_lllT4_lllii.has_dyn_sized_stack, 0
	.set _ZL62rocblas_symv_kernel_lower_double_buffered_non_diagonal_genericILi32ELi4ELi4E24rocblas_internal_val_ptrIfEPKfPfEvbiT2_lT3_lllS6_lllT4_lllii.has_recursion, 0
	.set _ZL62rocblas_symv_kernel_lower_double_buffered_non_diagonal_genericILi32ELi4ELi4E24rocblas_internal_val_ptrIfEPKfPfEvbiT2_lT3_lllS6_lllT4_lllii.has_indirect_call, 0
	.section	.AMDGPU.csdata,"",@progbits
; Kernel info:
; codeLenInByte = 3740
; TotalNumSgprs: 50
; NumVgprs: 58
; NumAgprs: 0
; TotalNumVgprs: 58
; ScratchSize: 0
; MemoryBound: 0
; FloatMode: 240
; IeeeMode: 1
; LDSByteSize: 3200 bytes/workgroup (compile time only)
; SGPRBlocks: 6
; VGPRBlocks: 7
; NumSGPRsForWavesPerEU: 50
; NumVGPRsForWavesPerEU: 58
; AccumOffset: 60
; Occupancy: 8
; WaveLimiterHint : 0
; COMPUTE_PGM_RSRC2:SCRATCH_EN: 0
; COMPUTE_PGM_RSRC2:USER_SGPR: 2
; COMPUTE_PGM_RSRC2:TRAP_HANDLER: 0
; COMPUTE_PGM_RSRC2:TGID_X_EN: 1
; COMPUTE_PGM_RSRC2:TGID_Y_EN: 1
; COMPUTE_PGM_RSRC2:TGID_Z_EN: 1
; COMPUTE_PGM_RSRC2:TIDIG_COMP_CNT: 1
; COMPUTE_PGM_RSRC3_GFX90A:ACCUM_OFFSET: 14
; COMPUTE_PGM_RSRC3_GFX90A:TG_SPLIT: 0
	.section	.text._ZL26rocblas_hemvn_kernel_lowerILb0ELi64ELi4ELi33ELi32ELi16ElPKfS1_PfEviT6_lT7_lT5_lS4_lS5_lS3_lT8_i,"axG",@progbits,_ZL26rocblas_hemvn_kernel_lowerILb0ELi64ELi4ELi33ELi32ELi16ElPKfS1_PfEviT6_lT7_lT5_lS4_lS5_lS3_lT8_i,comdat
	.globl	_ZL26rocblas_hemvn_kernel_lowerILb0ELi64ELi4ELi33ELi32ELi16ElPKfS1_PfEviT6_lT7_lT5_lS4_lS5_lS3_lT8_i ; -- Begin function _ZL26rocblas_hemvn_kernel_lowerILb0ELi64ELi4ELi33ELi32ELi16ElPKfS1_PfEviT6_lT7_lT5_lS4_lS5_lS3_lT8_i
	.p2align	8
	.type	_ZL26rocblas_hemvn_kernel_lowerILb0ELi64ELi4ELi33ELi32ELi16ElPKfS1_PfEviT6_lT7_lT5_lS4_lS5_lS3_lT8_i,@function
_ZL26rocblas_hemvn_kernel_lowerILb0ELi64ELi4ELi33ELi32ELi16ElPKfS1_PfEviT6_lT7_lT5_lS4_lS5_lS3_lT8_i: ; @_ZL26rocblas_hemvn_kernel_lowerILb0ELi64ELi4ELi33ELi32ELi16ElPKfS1_PfEviT6_lT7_lT5_lS4_lS5_lS3_lT8_i
; %bb.0:
	s_load_dwordx2 s[6:7], s[0:1], 0x84
	s_add_u32 s4, s0, 0x78
	s_addc_u32 s5, s1, 0
	s_waitcnt lgkmcnt(0)
	s_lshr_b32 s8, s6, 16
	s_and_b32 s6, s6, 0xffff
	s_and_b32 s7, s7, 0xffff
	s_mul_i32 s6, s8, s6
	s_mul_i32 s6, s6, s7
	s_cmpk_lg_i32 s6, 0x100
	s_cbranch_scc1 .LBB81_78
; %bb.1:
	s_load_dwordx16 s[16:31], s[0:1], 0x8
	s_load_dwordx8 s[36:43], s[0:1], 0x48
	s_waitcnt lgkmcnt(0)
	s_mul_i32 s7, s19, s3
	s_mul_hi_u32 s8, s18, s3
	s_mul_i32 s6, s18, s3
	s_add_i32 s7, s8, s7
	s_lshl_b64 s[6:7], s[6:7], 2
	s_add_u32 s6, s16, s6
	s_addc_u32 s7, s17, s7
	s_mul_i32 s9, s43, s3
	s_load_dword s8, s[6:7], 0x0
	s_mul_hi_u32 s6, s42, s3
	s_add_i32 s7, s6, s9
	s_mul_i32 s6, s42, s3
	s_lshl_b64 s[6:7], s[6:7], 2
	s_add_u32 s6, s40, s6
	s_addc_u32 s7, s41, s7
	s_load_dword s9, s[6:7], 0x0
	s_waitcnt lgkmcnt(0)
	v_cmp_eq_f32_e64 s[6:7], s8, 0
	v_cmp_eq_f32_e64 s[8:9], s9, 1.0
	s_and_b64 s[8:9], s[6:7], s[8:9]
	s_and_b64 vcc, exec, s[8:9]
	s_cbranch_vccnz .LBB81_78
; %bb.2:
	s_and_b64 vcc, exec, s[6:7]
	s_cbranch_vccnz .LBB81_78
; %bb.3:
	s_load_dword s42, s[4:5], 0x0
	s_load_dwordx2 s[34:35], s[0:1], 0x68
	s_load_dword s33, s[0:1], 0x0
	s_mul_i32 s0, s39, s3
	s_mul_hi_u32 s1, s38, s3
	s_add_i32 s1, s1, s0
	s_mul_i32 s0, s38, s3
	s_lshl_b64 s[0:1], s[0:1], 2
	s_add_u32 s4, s28, s0
	s_addc_u32 s5, s29, s1
	s_lshl_b64 s[0:1], s[30:31], 2
	s_add_u32 s0, s4, s0
	s_addc_u32 s1, s5, s1
	s_waitcnt lgkmcnt(0)
	s_ashr_i32 s43, s33, 31
	s_lshr_b32 s5, s43, 26
	s_add_i32 s5, s33, s5
	v_and_b32_e32 v27, 0x3ff, v0
	s_lshl_b32 s30, s2, 6
	s_andn2_b32 s5, s5, 63
	s_add_i32 s4, s42, -1
	s_sub_i32 s5, s33, s5
	v_add_u32_e32 v16, s30, v27
	s_cmp_eq_u32 s2, s4
	v_ashrrev_i32_e32 v17, 31, v16
	v_bfe_u32 v26, v0, 10, 10
	s_cselect_b32 s28, s5, 0
	v_mul_lo_u32 v2, s36, v17
	v_mul_lo_u32 v3, s37, v16
	v_mad_u64_u32 v[0:1], s[4:5], s36, v16, 0
	v_add3_u32 v1, v1, v2, v3
	v_lshl_add_u64 v[4:5], v[0:1], 2, s[0:1]
	v_cmp_ne_u32_e64 s[0:1], 0, v26
	v_cmp_eq_u32_e64 s[16:17], 0, v26
	s_and_saveexec_b64 s[4:5], s[16:17]
	s_cbranch_execz .LBB81_7
; %bb.4:
	s_cmp_eq_u32 s28, 0
	s_cselect_b64 s[6:7], -1, 0
	v_cmp_gt_i32_e32 vcc, s28, v27
	s_or_b64 s[8:9], s[6:7], vcc
	v_mov_b32_e32 v0, 0
	s_and_saveexec_b64 s[6:7], s[8:9]
	s_cbranch_execz .LBB81_6
; %bb.5:
	global_load_dword v0, v[4:5], off
.LBB81_6:
	s_or_b64 exec, exec, s[6:7]
	v_lshlrev_b32_e32 v1, 2, v27
	s_waitcnt vmcnt(0)
	ds_write_b32 v1, v0 offset:4544
.LBB81_7:
	s_or_b64 exec, exec, s[4:5]
	s_mul_i32 s4, s27, s3
	s_mul_hi_u32 s5, s26, s3
	s_add_i32 s5, s5, s4
	s_mul_i32 s4, s26, s3
	s_lshl_b64 s[4:5], s[4:5], 2
	s_add_u32 s6, s20, s4
	s_addc_u32 s7, s21, s5
	s_lshl_b64 s[4:5], s[22:23], 2
	s_add_u32 s6, s6, s4
	s_addc_u32 s7, s7, s5
	s_ashr_i32 s31, s30, 31
	v_lshl_add_u32 v14, v26, 6, v27
	s_lshl_b64 s[4:5], s[30:31], 2
	v_and_b32_e32 v0, 31, v27
	v_lshrrev_b32_e32 v12, 5, v14
	s_add_u32 s4, s6, s4
	v_mov_b32_e32 v1, 0
	s_addc_u32 s5, s7, s5
	v_mad_u64_u32 v[6:7], s[6:7], s24, v12, v[0:1]
	v_mov_b32_e32 v2, v7
	v_mad_u64_u32 v[2:3], s[6:7], s25, v12, v[2:3]
	v_mov_b32_e32 v7, v2
	v_lshl_add_u64 v[2:3], v[6:7], 2, s[4:5]
	s_mul_hi_u32 s4, s24, s30
	s_mul_i32 s5, s24, s31
	s_add_i32 s4, s4, s5
	s_mul_i32 s5, s25, s30
	s_add_i32 s23, s4, s5
	s_cmp_lg_u32 s28, 0
	s_mul_i32 s22, s24, s30
	s_cselect_b64 s[26:27], -1, 0
	s_cmp_eq_u32 s28, 0
	v_lshl_add_u64 v[2:3], s[22:23], 2, v[2:3]
	s_cselect_b64 s[18:19], -1, 0
	s_mov_b64 s[4:5], -1
	s_and_b64 vcc, exec, s[26:27]
	s_cbranch_vccnz .LBB81_9
; %bb.8:
	s_lshl_b64 s[4:5], s[24:25], 5
	v_lshl_add_u64 v[8:9], v[2:3], 0, s[4:5]
	v_lshl_add_u64 v[10:11], v[8:9], 0, s[4:5]
	;; [unrolled: 1-line block ×3, first 2 shown]
	global_load_dword v1, v[2:3], off
	global_load_dword v13, v[8:9], off
	;; [unrolled: 1-line block ×4, first 2 shown]
	v_mul_u32_u24_e32 v8, 0x84, v12
	v_lshl_add_u32 v8, v0, 2, v8
	s_mov_b64 s[4:5], 0
	s_waitcnt vmcnt(3)
	ds_write_b32 v8, v1
	s_waitcnt vmcnt(2)
	ds_write_b32 v8, v13 offset:1056
	s_waitcnt vmcnt(1)
	ds_write_b32 v8, v15 offset:2112
	;; [unrolled: 2-line block ×3, first 2 shown]
.LBB81_9:
	s_andn2_b64 vcc, exec, s[4:5]
	s_cbranch_vccnz .LBB81_19
; %bb.10:
	v_lshlrev_b32_e32 v8, 2, v0
	v_sub_co_u32_e32 v10, vcc, v2, v8
	s_ashr_i32 s29, s28, 31
	s_nop 0
	v_subbrev_co_u32_e32 v11, vcc, 0, v3, vcc
	v_lshl_add_u64 v[10:11], s[28:29], 2, v[10:11]
	v_lshl_add_u64 v[10:11], v[10:11], 0, -4
	v_cmp_gt_i32_e32 vcc, s28, v0
	v_mov_b32_e32 v13, 0
	v_cmp_gt_i32_e64 s[4:5], s28, v12
	v_cndmask_b32_e32 v11, v11, v3, vcc
	v_cndmask_b32_e32 v10, v10, v2, vcc
	v_mov_b32_e32 v15, 0
	s_and_saveexec_b64 s[6:7], s[4:5]
	s_cbranch_execz .LBB81_12
; %bb.11:
	global_load_dword v15, v[10:11], off
.LBB81_12:
	s_or_b64 exec, exec, s[6:7]
	v_lshlrev_b32_e32 v1, 2, v0
	s_movk_i32 s4, 0x84
	v_mad_u32_u24 v18, v12, s4, v1
	s_waitcnt vmcnt(0)
	ds_write_b32 v18, v15
	v_add_u32_e32 v15, 8, v12
	v_mul_u32_u24_e32 v9, 0x84, v12
	v_cmp_gt_i32_e64 s[4:5], s28, v15
	s_and_saveexec_b64 s[6:7], s[4:5]
	s_cbranch_execz .LBB81_14
; %bb.13:
	s_lshl_b64 s[4:5], s[24:25], 5
	v_lshl_add_u64 v[18:19], v[10:11], 0, s[4:5]
	global_load_dword v13, v[18:19], off
.LBB81_14:
	s_or_b64 exec, exec, s[6:7]
	v_add_u32_e32 v1, v9, v1
	v_add_u32_e32 v9, 16, v12
	s_waitcnt vmcnt(0)
	ds_write_b32 v1, v13 offset:1056
	v_cmp_gt_i32_e64 s[4:5], s28, v9
	v_mov_b32_e32 v9, 0
	v_mov_b32_e32 v13, 0
	s_and_saveexec_b64 s[6:7], s[4:5]
	s_cbranch_execz .LBB81_16
; %bb.15:
	s_lshl_b64 s[4:5], s[24:25], 6
	v_lshl_add_u64 v[18:19], v[10:11], 0, s[4:5]
	global_load_dword v13, v[18:19], off
.LBB81_16:
	s_or_b64 exec, exec, s[6:7]
	s_waitcnt vmcnt(0)
	ds_write_b32 v1, v13 offset:2112
	v_add_u32_e32 v13, 24, v12
	v_cmp_gt_i32_e64 s[4:5], s28, v13
	s_and_saveexec_b64 s[6:7], s[4:5]
	s_cbranch_execz .LBB81_18
; %bb.17:
	v_mov_b32_e32 v9, 0x60
	v_mad_u64_u32 v[18:19], s[4:5], s24, v9, v[10:11]
	s_mul_i32 s4, s25, 0x60
	s_nop 0
	v_add_u32_e32 v19, s4, v19
	global_load_dword v9, v[18:19], off
.LBB81_18:
	s_or_b64 exec, exec, s[6:7]
	s_waitcnt vmcnt(0)
	ds_write_b32 v1, v9 offset:3168
	v_mov_b32_e32 v9, 0
	v_lshl_add_u64 v[8:9], v[10:11], 0, v[8:9]
	s_lshl_b64 s[4:5], s[28:29], 2
	v_mov_b32_e32 v1, s5
	v_subrev_co_u32_e64 v8, s[4:5], s4, v8
	s_nop 1
	v_subb_co_u32_e64 v9, s[4:5], v9, v1, s[4:5]
	v_lshl_add_u64 v[8:9], v[8:9], 0, 4
	v_cndmask_b32_e32 v3, v9, v3, vcc
	v_cndmask_b32_e32 v2, v8, v2, vcc
.LBB81_19:
	v_lshlrev_b32_e32 v13, 2, v12
	v_lshlrev_b32_e32 v15, 2, v0
	v_lshl_or_b32 v8, v0, 7, v15
	v_cmp_lt_u32_e64 s[6:7], v13, v0
	s_waitcnt lgkmcnt(0)
	s_barrier
	s_and_saveexec_b64 s[4:5], s[6:7]
	s_cbranch_execz .LBB81_21
; %bb.20:
	s_movk_i32 s8, 0x210
	v_mad_u32_u24 v1, v12, s8, v15
	ds_read_b32 v1, v1
	v_lshl_add_u32 v9, v13, 2, v8
	s_waitcnt lgkmcnt(0)
	ds_write_b32 v9, v1
.LBB81_21:
	s_or_b64 exec, exec, s[4:5]
	v_or_b32_e32 v1, 1, v13
	v_cmp_lt_u32_e64 s[8:9], v1, v0
	s_and_saveexec_b64 s[4:5], s[8:9]
	s_cbranch_execz .LBB81_23
; %bb.22:
	s_movk_i32 s10, 0x84
	v_mad_u32_u24 v9, v1, s10, v15
	ds_read_b32 v9, v9
	v_lshl_add_u32 v10, v13, 2, v8
	s_waitcnt lgkmcnt(0)
	ds_write_b32 v10, v9 offset:4
.LBB81_23:
	s_or_b64 exec, exec, s[4:5]
	v_or_b32_e32 v9, 2, v13
	v_cmp_lt_u32_e64 s[10:11], v9, v0
	s_and_saveexec_b64 s[4:5], s[10:11]
	s_cbranch_execz .LBB81_25
; %bb.24:
	s_movk_i32 s12, 0x84
	v_mad_u32_u24 v9, v9, s12, v15
	ds_read_b32 v9, v9
	v_lshl_add_u32 v10, v13, 2, v8
	s_waitcnt lgkmcnt(0)
	ds_write_b32 v10, v9 offset:8
.LBB81_25:
	s_or_b64 exec, exec, s[4:5]
	v_or_b32_e32 v10, 3, v13
	v_cmp_lt_u32_e64 s[12:13], v10, v0
	v_cmp_ge_u32_e32 vcc, v10, v0
                                        ; implicit-def: $vgpr9
	s_and_saveexec_b64 s[4:5], vcc
	s_xor_b64 s[4:5], exec, s[4:5]
; %bb.26:
	v_mul_u32_u24_e32 v9, 0x84, v10
                                        ; implicit-def: $vgpr8
                                        ; implicit-def: $vgpr10
; %bb.27:
	s_andn2_saveexec_b64 s[4:5], s[4:5]
	s_cbranch_execz .LBB81_29
; %bb.28:
	s_movk_i32 s14, 0x84
	v_mad_u32_u24 v9, v10, s14, v15
	ds_read_b32 v11, v9
	v_lshl_add_u32 v8, v13, 2, v8
	v_mul_u32_u24_e32 v9, 0x84, v10
	s_waitcnt lgkmcnt(0)
	ds_write_b32 v8, v11 offset:12
.LBB81_29:
	s_or_b64 exec, exec, s[4:5]
	s_movk_i32 s4, 0x210
	v_mad_u32_u24 v8, v12, s4, v15
	s_movk_i32 s4, 0x84
	v_mad_u32_u24 v10, v1, s4, v15
	s_waitcnt lgkmcnt(0)
	s_barrier
	ds_read2_b32 v[18:19], v10 offset1:33
	v_lshlrev_b32_e32 v20, 2, v13
	ds_read_b32 v10, v8
	ds_read_b128 v[22:25], v20 offset:4544
	v_add_u32_e32 v21, v15, v9
	ds_read_b32 v9, v21
	s_waitcnt lgkmcnt(3)
	v_mov_b32_e32 v11, v18
	v_mov_b32_e32 v28, 0
	s_waitcnt lgkmcnt(1)
	v_pk_mul_f32 v[10:11], v[10:11], v[22:23]
	v_cmp_gt_u32_e64 s[4:5], 32, v14
	v_add_f32_e32 v8, 0, v10
	v_add_f32_e32 v10, v8, v11
	v_mov_b32_e32 v8, v19
	s_waitcnt lgkmcnt(0)
	v_pk_mul_f32 v[8:9], v[8:9], v[24:25]
	s_nop 0
	v_add_f32_e32 v8, v10, v8
	v_add_f32_e32 v8, v8, v9
	v_mul_u32_u24_e32 v9, 33, v0
	v_lshlrev_b32_e32 v18, 2, v9
	v_lshl_add_u32 v19, v12, 2, v18
	s_barrier
	ds_write_b32 v19, v8
	s_waitcnt lgkmcnt(0)
	s_barrier
	s_and_saveexec_b64 s[14:15], s[4:5]
	s_cbranch_execz .LBB81_31
; %bb.30:
	ds_read2_b32 v[8:9], v18 offset1:1
	ds_read2_b32 v[10:11], v18 offset0:2 offset1:3
	ds_read2_b32 v[22:23], v18 offset0:4 offset1:5
	;; [unrolled: 1-line block ×3, first 2 shown]
	s_waitcnt lgkmcnt(3)
	v_add_f32_e32 v8, v8, v9
	s_waitcnt lgkmcnt(2)
	v_add_f32_e32 v8, v8, v10
	v_add_f32_e32 v8, v8, v11
	s_waitcnt lgkmcnt(1)
	v_add_f32_e32 v8, v8, v22
	;; [unrolled: 3-line block ×3, first 2 shown]
	v_add_f32_e32 v28, v8, v25
.LBB81_31:
	s_or_b64 exec, exec, s[14:15]
	s_lshl_b64 s[20:21], s[24:25], 7
	v_lshl_add_u64 v[10:11], v[2:3], 0, s[20:21]
	v_cndmask_b32_e64 v2, 0, 1, s[18:19]
	s_lshl_b64 s[38:39], s[24:25], 5
	s_mov_b64 s[40:41], 0x80
	v_cmp_ne_u32_e64 s[14:15], 1, v2
	s_andn2_b64 vcc, exec, s[18:19]
	s_mov_b64 s[18:19], -1
	s_barrier
	s_cbranch_vccnz .LBB81_33
; %bb.32:
	v_lshl_add_u64 v[2:3], v[10:11], 0, s[38:39]
	v_lshl_add_u64 v[8:9], v[2:3], 0, s[38:39]
	;; [unrolled: 1-line block ×3, first 2 shown]
	global_load_dword v24, v[10:11], off offset:128
	global_load_dword v25, v[2:3], off offset:128
	;; [unrolled: 1-line block ×4, first 2 shown]
	s_movk_i32 s18, 0x84
	v_mad_u32_u24 v2, v12, s18, v15
	s_mov_b64 s[18:19], 0
	s_waitcnt vmcnt(3)
	ds_write_b32 v2, v24
	s_waitcnt vmcnt(2)
	ds_write_b32 v2, v25 offset:1056
	s_waitcnt vmcnt(1)
	ds_write_b32 v2, v29 offset:2112
	;; [unrolled: 2-line block ×3, first 2 shown]
.LBB81_33:
	s_andn2_b64 vcc, exec, s[18:19]
	v_lshl_add_u64 v[2:3], v[10:11], 0, s[40:41]
	s_cbranch_vccnz .LBB81_43
; %bb.34:
	v_lshlrev_b32_e32 v8, 2, v0
	v_sub_co_u32_e32 v10, vcc, v10, v8
	s_ashr_i32 s29, s28, 31
	s_nop 0
	v_subbrev_co_u32_e32 v11, vcc, 0, v11, vcc
	v_or_b32_e32 v9, 32, v0
	v_lshl_add_u64 v[10:11], s[28:29], 2, v[10:11]
	v_lshl_add_u64 v[10:11], v[10:11], 0, -4
	v_cmp_gt_i32_e32 vcc, s28, v9
	s_sub_i32 s44, s28, 32
	v_mov_b32_e32 v22, 0
	v_cndmask_b32_e32 v11, v11, v3, vcc
	v_cndmask_b32_e32 v10, v10, v2, vcc
	v_cmp_gt_i32_e64 s[18:19], s44, v12
	v_mov_b32_e32 v23, 0
	s_and_saveexec_b64 s[40:41], s[18:19]
	s_cbranch_execz .LBB81_36
; %bb.35:
	global_load_dword v23, v[10:11], off
.LBB81_36:
	s_or_b64 exec, exec, s[40:41]
	s_movk_i32 s18, 0x84
	v_mad_u32_u24 v24, v12, s18, v15
	s_waitcnt vmcnt(0)
	ds_write_b32 v24, v23
	v_add_u32_e32 v23, 8, v12
	v_mul_u32_u24_e32 v9, 0x84, v12
	v_cmp_gt_i32_e64 s[18:19], s44, v23
	s_and_saveexec_b64 s[40:41], s[18:19]
	s_cbranch_execz .LBB81_38
; %bb.37:
	v_lshl_add_u64 v[22:23], v[10:11], 0, s[38:39]
	global_load_dword v22, v[22:23], off
.LBB81_38:
	s_or_b64 exec, exec, s[40:41]
	v_add_u32_e32 v9, v9, v15
	s_waitcnt vmcnt(0)
	ds_write_b32 v9, v22 offset:1056
	v_add_u32_e32 v22, 16, v12
	v_cmp_gt_i32_e64 s[18:19], s44, v22
	v_mov_b32_e32 v22, 0
	v_mov_b32_e32 v23, 0
	s_and_saveexec_b64 s[40:41], s[18:19]
	s_cbranch_execz .LBB81_40
; %bb.39:
	s_lshl_b64 s[18:19], s[24:25], 6
	v_lshl_add_u64 v[24:25], v[10:11], 0, s[18:19]
	global_load_dword v23, v[24:25], off
.LBB81_40:
	s_or_b64 exec, exec, s[40:41]
	s_waitcnt vmcnt(0)
	ds_write_b32 v9, v23 offset:2112
	v_add_u32_e32 v23, 24, v12
	v_cmp_gt_i32_e64 s[18:19], s44, v23
	s_and_saveexec_b64 s[40:41], s[18:19]
	s_cbranch_execz .LBB81_42
; %bb.41:
	v_mov_b32_e32 v22, 0x60
	v_mad_u64_u32 v[22:23], s[18:19], s24, v22, v[10:11]
	s_mul_i32 s18, s25, 0x60
	s_nop 0
	v_add_u32_e32 v23, s18, v23
	global_load_dword v22, v[22:23], off
.LBB81_42:
	s_or_b64 exec, exec, s[40:41]
	s_waitcnt vmcnt(0)
	ds_write_b32 v9, v22 offset:3168
	v_mov_b32_e32 v9, 0
	v_lshl_add_u64 v[8:9], v[10:11], 0, v[8:9]
	s_lshl_b64 s[18:19], s[28:29], 2
	v_mov_b32_e32 v10, s19
	v_subrev_co_u32_e64 v8, s[18:19], s18, v8
	s_nop 1
	v_subb_co_u32_e64 v9, s[18:19], v9, v10, s[18:19]
	s_mov_b64 s[18:19], 0x84
	s_nop 0
	v_lshl_add_u64 v[8:9], v[8:9], 0, s[18:19]
	v_cndmask_b32_e32 v3, v9, v3, vcc
	v_cndmask_b32_e32 v2, v8, v2, vcc
.LBB81_43:
	v_mul_u32_u24_e32 v9, 0x210, v12
	v_add_u32_e32 v20, 0x11c0, v20
	v_mul_u32_u24_e32 v8, 0x84, v1
	v_add_u32_e32 v1, v15, v9
	s_waitcnt lgkmcnt(0)
	s_barrier
	s_and_saveexec_b64 s[18:19], s[6:7]
	s_cbranch_execnz .LBB81_52
; %bb.44:
	s_or_b64 exec, exec, s[18:19]
	v_add_u32_e32 v8, v15, v8
	s_and_saveexec_b64 s[6:7], s[8:9]
	s_cbranch_execnz .LBB81_53
.LBB81_45:
	s_or_b64 exec, exec, s[6:7]
	s_and_saveexec_b64 s[6:7], s[10:11]
	s_cbranch_execnz .LBB81_54
.LBB81_46:
	s_or_b64 exec, exec, s[6:7]
	s_and_saveexec_b64 s[6:7], s[12:13]
	s_cbranch_execz .LBB81_48
.LBB81_47:
	ds_read_b32 v9, v21
	v_lshl_add_u32 v10, v13, 2, v18
	s_waitcnt lgkmcnt(0)
	ds_write_b32 v10, v9 offset:12
.LBB81_48:
	s_or_b64 exec, exec, s[6:7]
	s_waitcnt lgkmcnt(0)
	s_barrier
	ds_read2_b32 v[30:31], v8 offset1:33
	ds_read_b32 v22, v1
	ds_read_b128 v[8:11], v20 offset:128
	ds_read_b32 v25, v21
	v_cmp_eq_u32_e64 s[6:7], 1, v12
	s_waitcnt lgkmcnt(3)
	v_mov_b32_e32 v23, v30
	v_mov_b32_e32 v24, v31
	s_waitcnt lgkmcnt(1)
	v_pk_mul_f32 v[8:9], v[22:23], v[8:9]
	s_waitcnt lgkmcnt(0)
	v_add_f32_e32 v1, 0, v8
	v_add_f32_e32 v1, v1, v9
	v_pk_mul_f32 v[8:9], v[24:25], v[10:11]
	s_barrier
	v_add_f32_e32 v1, v1, v8
	v_add_f32_e32 v1, v1, v9
	ds_write_b32 v19, v1
	s_waitcnt lgkmcnt(0)
	s_barrier
	s_and_saveexec_b64 s[8:9], s[6:7]
	s_cbranch_execz .LBB81_50
; %bb.49:
	ds_read2_b32 v[8:9], v18 offset1:1
	ds_read2_b32 v[10:11], v18 offset0:2 offset1:3
	ds_read2_b32 v[22:23], v18 offset0:4 offset1:5
	;; [unrolled: 1-line block ×3, first 2 shown]
	s_waitcnt lgkmcnt(3)
	v_add_f32_e32 v1, v8, v9
	s_waitcnt lgkmcnt(2)
	v_add_f32_e32 v1, v1, v10
	v_add_f32_e32 v1, v1, v11
	s_waitcnt lgkmcnt(1)
	v_add_f32_e32 v1, v1, v22
	;; [unrolled: 3-line block ×3, first 2 shown]
	v_add_f32_e32 v28, v1, v25
.LBB81_50:
	s_or_b64 exec, exec, s[8:9]
	s_lshl_b64 s[8:9], s[38:39], 2
	v_mov_b32_e32 v1, s9
	v_subrev_co_u32_e64 v8, s[8:9], s8, v2
	s_and_b64 vcc, exec, s[14:15]
	s_nop 0
	v_subb_co_u32_e64 v9, s[8:9], v3, v1, s[8:9]
	s_barrier
	s_cbranch_vccnz .LBB81_55
; %bb.51:
	v_lshl_add_u64 v[2:3], v[8:9], 0, s[38:39]
	v_lshl_add_u64 v[10:11], v[2:3], 0, s[38:39]
	;; [unrolled: 1-line block ×3, first 2 shown]
	global_load_dword v1, v[8:9], off
	global_load_dword v29, v[2:3], off
	global_load_dword v30, v[10:11], off
	global_load_dword v31, v[22:23], off
	s_movk_i32 s8, 0x84
	v_mov_b32_e32 v2, 0x420
	v_mov_b32_e32 v3, 0x840
	;; [unrolled: 1-line block ×3, first 2 shown]
	v_mul_u32_u24_e32 v11, 0x84, v12
	v_add_u32_e32 v10, 8, v12
	v_add_u32_e32 v21, 16, v12
	;; [unrolled: 1-line block ×3, first 2 shown]
	v_mad_u32_u24 v32, v12, s8, v15
	v_mad_u32_u24 v22, v12, s8, v2
	;; [unrolled: 1-line block ×4, first 2 shown]
	v_add_u32_e32 v2, v15, v22
	v_add_u32_e32 v3, v15, v24
	;; [unrolled: 1-line block ×3, first 2 shown]
	s_waitcnt vmcnt(3)
	ds_write_b32 v32, v1
	s_waitcnt vmcnt(2)
	ds_write_b32 v2, v29
	;; [unrolled: 2-line block ×4, first 2 shown]
	s_cbranch_execz .LBB81_56
	s_branch .LBB81_65
.LBB81_52:
	ds_read_b32 v9, v1
	v_lshl_add_u32 v10, v13, 2, v18
	s_waitcnt lgkmcnt(0)
	ds_write_b32 v10, v9
	s_or_b64 exec, exec, s[18:19]
	v_add_u32_e32 v8, v15, v8
	s_and_saveexec_b64 s[6:7], s[8:9]
	s_cbranch_execz .LBB81_45
.LBB81_53:
	ds_read_b32 v9, v8
	v_lshl_add_u32 v10, v13, 2, v18
	s_waitcnt lgkmcnt(0)
	ds_write_b32 v10, v9 offset:4
	s_or_b64 exec, exec, s[6:7]
	s_and_saveexec_b64 s[6:7], s[10:11]
	s_cbranch_execz .LBB81_46
.LBB81_54:
	ds_read_b32 v9, v8 offset:132
	v_lshl_add_u32 v10, v13, 2, v18
	s_waitcnt lgkmcnt(0)
	ds_write_b32 v10, v9 offset:8
	s_or_b64 exec, exec, s[6:7]
	s_and_saveexec_b64 s[6:7], s[12:13]
	s_cbranch_execnz .LBB81_47
	s_branch .LBB81_48
.LBB81_55:
                                        ; implicit-def: $vgpr11
                                        ; implicit-def: $vgpr10
                                        ; implicit-def: $vgpr22
                                        ; implicit-def: $vgpr21
                                        ; implicit-def: $vgpr24
                                        ; implicit-def: $vgpr23
                                        ; implicit-def: $vgpr25
.LBB81_56:
	v_or_b32_e32 v10, 32, v0
	v_lshlrev_b32_e32 v0, 2, v0
	v_sub_co_u32_e32 v2, vcc, v8, v0
	s_ashr_i32 s29, s28, 31
	s_nop 0
	v_subbrev_co_u32_e32 v3, vcc, 0, v9, vcc
	s_movk_i32 s8, 0xff7c
	v_lshl_add_u64 v[2:3], s[28:29], 2, v[2:3]
	s_mov_b32 s9, -1
	v_lshl_add_u64 v[2:3], v[2:3], 0, s[8:9]
	v_cmp_gt_i32_e32 vcc, s28, v10
	v_mov_b32_e32 v1, 0
	v_cmp_gt_i32_e64 s[8:9], s28, v12
	v_cndmask_b32_e32 v3, v3, v9, vcc
	v_cndmask_b32_e32 v2, v2, v8, vcc
	v_mov_b32_e32 v10, 0
	s_and_saveexec_b64 s[10:11], s[8:9]
	s_cbranch_execz .LBB81_58
; %bb.57:
	global_load_dword v10, v[2:3], off
.LBB81_58:
	s_or_b64 exec, exec, s[10:11]
	s_movk_i32 s8, 0x84
	v_mad_u32_u24 v21, v12, s8, v15
	s_waitcnt vmcnt(0)
	ds_write_b32 v21, v10
	v_add_u32_e32 v10, 8, v12
	v_mul_u32_u24_e32 v11, 0x84, v12
	v_cmp_gt_i32_e64 s[8:9], s28, v10
	s_and_saveexec_b64 s[10:11], s[8:9]
	s_cbranch_execz .LBB81_60
; %bb.59:
	v_lshl_add_u64 v[22:23], v[2:3], 0, s[38:39]
	global_load_dword v1, v[22:23], off
.LBB81_60:
	s_or_b64 exec, exec, s[10:11]
	v_add_u32_e32 v22, 0x420, v11
	v_add_u32_e32 v21, v15, v22
	s_waitcnt vmcnt(0)
	ds_write_b32 v21, v1
	v_add_u32_e32 v21, 16, v12
	v_cmp_gt_i32_e64 s[8:9], s28, v21
	v_mov_b32_e32 v1, 0
	v_mov_b32_e32 v23, 0
	s_and_saveexec_b64 s[10:11], s[8:9]
	s_cbranch_execz .LBB81_62
; %bb.61:
	s_lshl_b64 s[8:9], s[24:25], 6
	v_lshl_add_u64 v[24:25], v[2:3], 0, s[8:9]
	global_load_dword v23, v[24:25], off
.LBB81_62:
	s_or_b64 exec, exec, s[10:11]
	v_add_u32_e32 v24, 0x420, v22
	v_add_u32_e32 v25, v15, v24
	s_waitcnt vmcnt(0)
	ds_write_b32 v25, v23
	v_add_u32_e32 v23, 24, v12
	v_cmp_gt_i32_e64 s[8:9], s28, v23
	s_and_saveexec_b64 s[10:11], s[8:9]
	s_cbranch_execz .LBB81_64
; %bb.63:
	v_mov_b32_e32 v1, 0x60
	v_mad_u64_u32 v[30:31], s[8:9], s24, v1, v[2:3]
	s_mul_i32 s8, s25, 0x60
	s_nop 0
	v_add_u32_e32 v31, s8, v31
	global_load_dword v1, v[30:31], off
.LBB81_64:
	s_or_b64 exec, exec, s[10:11]
	v_add_u32_e32 v25, 0x420, v24
	v_add_u32_e32 v12, v15, v25
	s_waitcnt vmcnt(0)
	ds_write_b32 v12, v1
	v_mov_b32_e32 v1, 0
	v_lshl_add_u64 v[0:1], v[2:3], 0, v[0:1]
	s_lshl_b64 s[8:9], s[28:29], 2
	v_mov_b32_e32 v2, s9
	v_subrev_co_u32_e64 v0, s[8:9], s8, v0
	s_nop 1
	v_subb_co_u32_e64 v1, s[8:9], v1, v2, s[8:9]
	s_mov_b64 s[8:9], 0x84
	s_nop 0
	v_lshl_add_u64 v[0:1], v[0:1], 0, s[8:9]
	v_cndmask_b32_e32 v9, v1, v9, vcc
	v_cndmask_b32_e32 v8, v0, v8, vcc
.LBB81_65:
	v_add_u32_e32 v0, v15, v11
	s_waitcnt lgkmcnt(0)
	s_barrier
	v_add_u32_e32 v1, v15, v22
	ds_read_b32 v30, v0
	ds_read_b32 v22, v13 offset:4544
	ds_read_b32 v31, v1
	v_lshlrev_b32_e32 v0, 2, v10
	v_add_u32_e32 v1, v15, v24
	v_lshlrev_b32_e32 v2, 2, v21
	v_add_u32_e32 v3, v15, v25
	v_lshlrev_b32_e32 v10, 2, v23
	ds_read_b32 v23, v0 offset:4544
	ds_read_b32 v24, v1
	ds_read_b32 v32, v2 offset:4544
	ds_read_b32 v25, v3
	ds_read_b32 v33, v10 offset:4544
	v_lshl_add_u32 v12, v13, 2, v18
	ds_read2_b32 v[10:11], v12 offset1:1
	ds_read_b128 v[0:3], v20 offset:128
	s_waitcnt lgkmcnt(6)
	v_pk_mul_f32 v[20:21], v[30:31], v[22:23]
	ds_read2_b32 v[12:13], v12 offset0:2 offset1:3
	v_add_f32_e32 v15, 0, v20
	s_waitcnt lgkmcnt(3)
	v_pk_mul_f32 v[22:23], v[24:25], v[32:33]
	v_add_f32_e32 v15, v15, v21
	v_add_f32_e32 v15, v15, v22
	;; [unrolled: 1-line block ×3, first 2 shown]
	s_waitcnt lgkmcnt(0)
	s_barrier
	ds_write_b32 v19, v15
	s_waitcnt lgkmcnt(0)
	s_barrier
	s_and_saveexec_b64 s[8:9], s[6:7]
	s_cbranch_execz .LBB81_67
; %bb.66:
	ds_read2_b32 v[20:21], v18 offset1:1
	ds_read2_b32 v[22:23], v18 offset0:2 offset1:3
	ds_read2_b32 v[24:25], v18 offset0:4 offset1:5
	;; [unrolled: 1-line block ×3, first 2 shown]
	s_waitcnt lgkmcnt(3)
	v_add_f32_e32 v15, v28, v20
	v_add_f32_e32 v15, v15, v21
	s_waitcnt lgkmcnt(2)
	v_add_f32_e32 v15, v15, v22
	v_add_f32_e32 v15, v15, v23
	s_waitcnt lgkmcnt(1)
	v_add_f32_e32 v15, v15, v24
	v_add_f32_e32 v15, v15, v25
	s_waitcnt lgkmcnt(0)
	v_add_f32_e32 v15, v15, v30
	v_add_f32_e32 v28, v15, v31
.LBB81_67:
	s_or_b64 exec, exec, s[8:9]
	v_fma_f32 v0, v10, v0, 0
	v_fmac_f32_e32 v0, v11, v1
	v_fmac_f32_e32 v0, v12, v2
	;; [unrolled: 1-line block ×3, first 2 shown]
	s_barrier
	ds_write_b32 v19, v0
	s_waitcnt lgkmcnt(0)
	s_barrier
	s_and_saveexec_b64 s[6:7], s[4:5]
	s_cbranch_execz .LBB81_69
; %bb.68:
	ds_read2_b32 v[0:1], v18 offset1:1
	ds_read2_b32 v[2:3], v18 offset0:2 offset1:3
	ds_read2_b32 v[10:11], v18 offset0:4 offset1:5
	;; [unrolled: 1-line block ×3, first 2 shown]
	s_waitcnt lgkmcnt(3)
	v_add_f32_e32 v0, v28, v0
	v_add_f32_e32 v0, v0, v1
	s_waitcnt lgkmcnt(2)
	v_add_f32_e32 v0, v0, v2
	v_add_f32_e32 v0, v0, v3
	;; [unrolled: 3-line block ×4, first 2 shown]
.LBB81_69:
	s_or_b64 exec, exec, s[6:7]
	s_mul_hi_u32 s4, s33, s3
	s_mul_i32 s43, s43, s3
	s_add_i32 s4, s4, s43
	s_mul_i32 s3, s33, s3
	s_mul_i32 s4, s4, s42
	s_mul_hi_u32 s5, s3, s42
	s_add_i32 s5, s5, s4
	s_mul_i32 s4, s3, s42
	s_lshl_b64 s[4:5], s[4:5], 2
	s_add_u32 s3, s34, s4
	s_mul_i32 s4, s33, s2
	s_addc_u32 s7, s35, s5
	s_ashr_i32 s5, s4, 31
	s_lshl_b64 s[4:5], s[4:5], 2
	s_add_u32 s6, s3, s4
	v_cmp_le_i32_e32 vcc, s28, v27
	s_addc_u32 s7, s7, s5
	s_and_b64 vcc, s[26:27], vcc
	s_cmp_lt_i32 s2, 1
	v_lshlrev_b32_e32 v18, 2, v27
	s_barrier
	s_cbranch_scc1 .LBB81_76
; %bb.70:
	s_mul_i32 s3, s36, s31
	s_mul_hi_u32 s4, s36, s30
	s_add_i32 s3, s4, s3
	s_mul_i32 s4, s37, s30
	s_add_i32 s5, s3, s4
	s_mul_i32 s4, s36, s30
	s_lshl_b64 s[4:5], s[4:5], 2
	v_mov_b32_e32 v0, s5
	v_subrev_co_u32_e64 v20, s[4:5], s4, v4
	s_ashr_i32 s29, s28, 31
	s_nop 0
	v_subb_co_u32_e64 v21, s[4:5], v5, v0, s[4:5]
	s_lshl_b64 s[4:5], s[22:23], 2
	s_nop 0
	v_mov_b32_e32 v0, s5
	v_subrev_co_u32_e64 v2, s[4:5], s4, v8
	v_lshlrev_b32_e32 v5, 2, v26
	s_nop 0
	v_subb_co_u32_e64 v3, s[4:5], v9, v0, s[4:5]
	v_lshlrev_b64 v[0:1], 2, v[6:7]
	v_sub_co_u32_e64 v0, s[4:5], v2, v0
	v_mov_b32_e32 v23, 0
	s_nop 0
	v_subb_co_u32_e64 v1, s[4:5], v3, v1, s[4:5]
	v_mad_u64_u32 v[2:3], s[4:5], s24, v5, 0
	v_mov_b32_e32 v4, v3
	v_mad_u64_u32 v[4:5], s[4:5], s25, v5, v[4:5]
	v_mov_b32_e32 v3, v4
	v_lshl_add_u64 v[0:1], v[2:3], 2, v[0:1]
	s_movk_i32 s4, 0xff7c
	v_lshl_add_u64 v[2:3], s[28:29], 2, v[0:1]
	s_mov_b32 s5, -1
	v_lshl_add_u64 v[2:3], v[2:3], 0, s[4:5]
	v_mov_b32_e32 v19, v23
	s_movk_i32 s4, 0xff80
	v_lshl_add_u64 v[0:1], v[0:1], 0, v[18:19]
	s_mov_b32 s5, -1
	v_lshl_add_u64 v[0:1], v[0:1], 0, s[4:5]
	v_cndmask_b32_e32 v24, v0, v2, vcc
	s_movk_i32 s3, 0x430
	v_lshrrev_b32_e32 v2, 2, v14
	v_and_b32_e32 v10, 15, v27
	v_mad_u32_u24 v31, v26, s3, v18
	s_movk_i32 s3, 0x10c
	v_and_b32_e32 v2, 0x7ffc, v2
	v_mad_u32_u24 v32, v10, s3, v2
	v_and_b32_e32 v2, 48, v27
	v_lshlrev_b32_e32 v2, 2, v2
	v_mad_u32_u24 v33, v10, s3, v2
	v_or_b32_e32 v2, 60, v18
	v_mad_u32_u24 v34, v10, s3, v2
	s_mul_i32 s3, s25, 12
	s_mul_hi_u32 s14, s24, 12
	s_add_i32 s15, s14, s3
	s_mul_i32 s3, s25, 0x48
	s_mul_hi_u32 s18, s24, 0x48
	s_add_i32 s19, s18, s3
	;; [unrolled: 3-line block ×8, first 2 shown]
	s_mul_i32 s3, s25, 0xc0
	s_mul_hi_u32 s33, s24, 0xc0
	v_mov_b32_e32 v0, 0x10c0
	s_add_i32 s41, s33, s3
	s_mul_i32 s3, s25, 0x84
	s_mul_hi_u32 s33, s24, 0x84
	v_cndmask_b32_e32 v25, v1, v3, vcc
	v_lshl_add_u32 v29, v26, 4, v0
	v_mul_u32_u24_e32 v0, 0x10c, v10
	v_and_b32_e32 v1, 0x1fff0, v14
	s_add_i32 s43, s33, s3
	s_mul_i32 s3, s25, 0x44
	s_mul_hi_u32 s33, s24, 0x44
	v_add_u32_e32 v19, 0x10c0, v18
	v_add_u32_e32 v30, 0x11c0, v18
	v_cmp_gt_u32_e64 s[4:5], 64, v14
	s_lshl_b64 s[8:9], s[24:25], 2
	s_lshl_b64 s[10:11], s[24:25], 8
	;; [unrolled: 1-line block ×3, first 2 shown]
	s_mul_i32 s14, s24, 12
	s_mul_i32 s18, s24, 0x48
	;; [unrolled: 1-line block ×10, first 2 shown]
	s_add_i32 s45, s33, s3
	s_mul_i32 s44, s24, 0x44
	s_lshl_b64 s[24:25], s[24:25], 6
	s_mov_b32 s3, 0
	v_add_u32_e32 v35, v0, v1
	s_branch .LBB81_72
.LBB81_71:                              ;   in Loop: Header=BB81_72 Depth=1
	s_or_b64 exec, exec, s[46:47]
	v_fmac_f32_e32 v28, v39, v0
	v_fmac_f32_e32 v28, v38, v1
	;; [unrolled: 1-line block ×15, first 2 shown]
	s_add_i32 s3, s3, 64
	s_add_i32 s2, s2, -1
	v_fmac_f32_e32 v28, v50, v15
	s_cmp_eq_u32 s2, 0
	v_lshl_add_u64 v[24:25], v[24:25], 0, s[10:11]
	s_barrier
	s_cbranch_scc1 .LBB81_76
.LBB81_72:                              ; =>This Inner Loop Header: Depth=1
	s_and_saveexec_b64 s[46:47], s[16:17]
	s_cbranch_execz .LBB81_74
; %bb.73:                               ;   in Loop: Header=BB81_72 Depth=1
	s_mul_i32 s33, s37, s3
	s_mul_hi_u32 s48, s36, s3
	s_add_i32 s49, s48, s33
	s_mul_i32 s48, s36, s3
	v_lshl_add_u64 v[0:1], s[48:49], 2, v[20:21]
	global_load_dword v0, v[0:1], off
	s_waitcnt vmcnt(0)
	ds_write_b32 v19, v0
.LBB81_74:                              ;   in Loop: Header=BB81_72 Depth=1
	s_or_b64 exec, exec, s[46:47]
	s_waitcnt lgkmcnt(0)
	s_barrier
	v_lshl_add_u64 v[0:1], v[24:25], 0, s[8:9]
	v_lshl_add_u64 v[2:3], v[24:25], 0, s[12:13]
	;; [unrolled: 1-line block ×3, first 2 shown]
	global_load_dword v39, v[24:25], off
	global_load_dword v38, v[0:1], off
	;; [unrolled: 1-line block ×4, first 2 shown]
	ds_read_b32 v12, v30
	ds_read_b128 v[0:3], v29
	v_lshl_add_u64 v[4:5], v[24:25], 0, s[24:25]
	v_lshl_add_u64 v[6:7], v[24:25], 0, s[44:45]
	;; [unrolled: 1-line block ×9, first 2 shown]
	s_waitcnt vmcnt(3) lgkmcnt(1)
	v_mul_f32_e32 v13, v39, v12
	s_waitcnt vmcnt(2)
	v_mul_f32_e32 v14, v38, v12
	s_waitcnt vmcnt(1)
	;; [unrolled: 2-line block ×3, first 2 shown]
	v_mul_f32_e32 v12, v36, v12
	ds_write2_b32 v31, v13, v14 offset1:67
	ds_write2_b32 v31, v15, v12 offset0:134 offset1:201
	s_waitcnt lgkmcnt(0)
	s_barrier
	ds_read2_b32 v[12:13], v35 offset1:1
	ds_read2_b32 v[14:15], v35 offset0:2 offset1:3
	s_waitcnt lgkmcnt(0)
	s_barrier
	global_load_dword v43, v[4:5], off
	global_load_dword v42, v[6:7], off
	;; [unrolled: 1-line block ×4, first 2 shown]
	ds_read_b32 v22, v30
	ds_read_b128 v[4:7], v29 offset:64
	v_lshl_add_u64 v[8:9], v[24:25], 0, s[20:21]
	v_lshl_add_u64 v[10:11], v[24:25], 0, s[42:43]
	v_add_f32_e32 v12, 0, v12
	v_add_f32_e32 v12, v12, v13
	;; [unrolled: 1-line block ×3, first 2 shown]
	s_waitcnt vmcnt(3) lgkmcnt(1)
	v_mul_f32_e32 v44, v43, v22
	s_waitcnt vmcnt(2)
	v_mul_f32_e32 v45, v42, v22
	s_waitcnt vmcnt(1)
	;; [unrolled: 2-line block ×3, first 2 shown]
	v_mul_f32_e32 v22, v40, v22
	ds_write2_b32 v31, v44, v45 offset1:67
	ds_write2_b32 v31, v46, v22 offset0:134 offset1:201
	s_waitcnt lgkmcnt(0)
	s_barrier
	ds_read2_b32 v[52:53], v35 offset1:1
	ds_read2_b32 v[54:55], v35 offset0:2 offset1:3
	s_waitcnt lgkmcnt(0)
	s_barrier
	global_load_dword v47, v[8:9], off
	global_load_dword v46, v[10:11], off
	;; [unrolled: 1-line block ×4, first 2 shown]
	ds_read_b32 v22, v30
	ds_read_b128 v[8:11], v29 offset:128
	v_lshl_add_u64 v[48:49], v[24:25], 0, s[40:41]
	s_waitcnt vmcnt(3) lgkmcnt(1)
	v_mul_f32_e32 v50, v47, v22
	s_waitcnt vmcnt(2)
	v_mul_f32_e32 v51, v46, v22
	s_waitcnt vmcnt(1)
	;; [unrolled: 2-line block ×3, first 2 shown]
	v_mul_f32_e32 v22, v44, v22
	ds_write2_b32 v31, v50, v51 offset1:67
	ds_write2_b32 v31, v62, v22 offset0:134 offset1:201
	s_waitcnt lgkmcnt(0)
	s_barrier
	ds_read2_b32 v[62:63], v35 offset1:1
	ds_read2_b32 v[64:65], v35 offset0:2 offset1:3
	s_waitcnt lgkmcnt(0)
	s_barrier
	global_load_dword v51, v[48:49], off
	s_nop 0
	global_load_dword v49, v[56:57], off
	global_load_dword v48, v[58:59], off
                                        ; kill: killed $vgpr56_vgpr57
                                        ; kill: killed $vgpr58_vgpr59
	global_load_dword v50, v[60:61], off
	v_add_f32_e32 v22, v12, v15
	v_add_f32_e32 v12, 0, v52
	;; [unrolled: 1-line block ×5, first 2 shown]
	ds_read_b32 v52, v30
	ds_read_b128 v[12:15], v29 offset:192
	v_add_f32_e32 v53, 0, v62
	v_add_f32_e32 v53, v53, v63
	;; [unrolled: 1-line block ×4, first 2 shown]
	s_waitcnt vmcnt(3) lgkmcnt(1)
	v_mul_f32_e32 v53, v51, v52
	s_waitcnt vmcnt(2)
	v_mul_f32_e32 v54, v49, v52
	s_waitcnt vmcnt(1)
	;; [unrolled: 2-line block ×3, first 2 shown]
	v_mul_f32_e32 v52, v50, v52
	ds_write2_b32 v31, v53, v54 offset1:67
	ds_write2_b32 v31, v55, v52 offset0:134 offset1:201
	s_waitcnt lgkmcnt(0)
	s_barrier
	ds_read2_b32 v[52:53], v35 offset1:1
	ds_read2_b32 v[54:55], v35 offset0:2 offset1:3
	s_waitcnt lgkmcnt(0)
	s_barrier
	ds_write2_b32 v32, v22, v56 offset1:16
	v_add_f32_e32 v22, 0, v52
	v_add_f32_e32 v22, v22, v53
	;; [unrolled: 1-line block ×4, first 2 shown]
	ds_write2_b32 v32, v57, v22 offset0:32 offset1:48
	s_waitcnt lgkmcnt(0)
	s_barrier
	s_and_saveexec_b64 s[46:47], s[4:5]
	s_cbranch_execz .LBB81_71
; %bb.75:                               ;   in Loop: Header=BB81_72 Depth=1
	ds_read2_b32 v[52:53], v33 offset1:1
	ds_read2_b32 v[54:55], v33 offset0:2 offset1:3
	ds_read2_b32 v[56:57], v33 offset0:4 offset1:5
	;; [unrolled: 1-line block ×4, first 2 shown]
	s_waitcnt lgkmcnt(4)
	v_add_f32_e32 v22, v52, v53
	s_waitcnt lgkmcnt(3)
	v_add_f32_e32 v22, v22, v54
	v_add_f32_e32 v22, v22, v55
	s_waitcnt lgkmcnt(2)
	v_add_f32_e32 v22, v22, v56
	;; [unrolled: 3-line block ×3, first 2 shown]
	v_add_f32_e32 v22, v22, v59
	ds_read2_b32 v[52:53], v33 offset0:10 offset1:11
	ds_read2_b32 v[54:55], v33 offset0:12 offset1:13
	ds_read_b32 v56, v33 offset:56
	s_waitcnt lgkmcnt(3)
	v_add_f32_e32 v22, v22, v60
	v_add_f32_e32 v22, v22, v61
	s_waitcnt lgkmcnt(2)
	v_add_f32_e32 v22, v22, v52
	ds_read_b32 v52, v34
	v_add_f32_e32 v22, v22, v53
	s_waitcnt lgkmcnt(2)
	v_add_f32_e32 v22, v22, v54
	v_add_f32_e32 v22, v22, v55
	s_waitcnt lgkmcnt(1)
	v_add_f32_e32 v22, v22, v56
	s_waitcnt lgkmcnt(0)
	v_add_f32_e32 v54, v22, v52
	v_add_u32_e32 v22, s3, v27
	v_lshl_add_u64 v[52:53], v[22:23], 2, s[6:7]
	global_store_dword v[52:53], v54, off
	s_branch .LBB81_71
.LBB81_76:
	s_movk_i32 s2, 0x10c
	v_mad_u32_u24 v0, v26, s2, v18
	s_nor_b64 s[0:1], s[0:1], vcc
	ds_write_b32 v0, v28
	s_waitcnt lgkmcnt(0)
	s_barrier
	s_and_saveexec_b64 s[2:3], s[0:1]
	s_cbranch_execz .LBB81_78
; %bb.77:
	ds_read2_b32 v[0:1], v18 offset1:67
	ds_read2_b32 v[2:3], v18 offset0:134 offset1:201
	s_waitcnt lgkmcnt(1)
	v_add_f32_e32 v0, v0, v1
	s_waitcnt lgkmcnt(0)
	v_add_f32_e32 v0, v0, v2
	v_add_f32_e32 v2, v0, v3
	v_lshl_add_u64 v[0:1], v[16:17], 2, s[6:7]
	global_store_dword v[0:1], v2, off
.LBB81_78:
	s_endpgm
	.section	.rodata,"a",@progbits
	.p2align	6, 0x0
	.amdhsa_kernel _ZL26rocblas_hemvn_kernel_lowerILb0ELi64ELi4ELi33ELi32ELi16ElPKfS1_PfEviT6_lT7_lT5_lS4_lS5_lS3_lT8_i
		.amdhsa_group_segment_fixed_size 4800
		.amdhsa_private_segment_fixed_size 0
		.amdhsa_kernarg_size 376
		.amdhsa_user_sgpr_count 2
		.amdhsa_user_sgpr_dispatch_ptr 0
		.amdhsa_user_sgpr_queue_ptr 0
		.amdhsa_user_sgpr_kernarg_segment_ptr 1
		.amdhsa_user_sgpr_dispatch_id 0
		.amdhsa_user_sgpr_kernarg_preload_length 0
		.amdhsa_user_sgpr_kernarg_preload_offset 0
		.amdhsa_user_sgpr_private_segment_size 0
		.amdhsa_uses_dynamic_stack 0
		.amdhsa_enable_private_segment 0
		.amdhsa_system_sgpr_workgroup_id_x 1
		.amdhsa_system_sgpr_workgroup_id_y 0
		.amdhsa_system_sgpr_workgroup_id_z 1
		.amdhsa_system_sgpr_workgroup_info 0
		.amdhsa_system_vgpr_workitem_id 1
		.amdhsa_next_free_vgpr 66
		.amdhsa_next_free_sgpr 50
		.amdhsa_accum_offset 68
		.amdhsa_reserve_vcc 1
		.amdhsa_float_round_mode_32 0
		.amdhsa_float_round_mode_16_64 0
		.amdhsa_float_denorm_mode_32 3
		.amdhsa_float_denorm_mode_16_64 3
		.amdhsa_dx10_clamp 1
		.amdhsa_ieee_mode 1
		.amdhsa_fp16_overflow 0
		.amdhsa_tg_split 0
		.amdhsa_exception_fp_ieee_invalid_op 0
		.amdhsa_exception_fp_denorm_src 0
		.amdhsa_exception_fp_ieee_div_zero 0
		.amdhsa_exception_fp_ieee_overflow 0
		.amdhsa_exception_fp_ieee_underflow 0
		.amdhsa_exception_fp_ieee_inexact 0
		.amdhsa_exception_int_div_zero 0
	.end_amdhsa_kernel
	.section	.text._ZL26rocblas_hemvn_kernel_lowerILb0ELi64ELi4ELi33ELi32ELi16ElPKfS1_PfEviT6_lT7_lT5_lS4_lS5_lS3_lT8_i,"axG",@progbits,_ZL26rocblas_hemvn_kernel_lowerILb0ELi64ELi4ELi33ELi32ELi16ElPKfS1_PfEviT6_lT7_lT5_lS4_lS5_lS3_lT8_i,comdat
.Lfunc_end81:
	.size	_ZL26rocblas_hemvn_kernel_lowerILb0ELi64ELi4ELi33ELi32ELi16ElPKfS1_PfEviT6_lT7_lT5_lS4_lS5_lS3_lT8_i, .Lfunc_end81-_ZL26rocblas_hemvn_kernel_lowerILb0ELi64ELi4ELi33ELi32ELi16ElPKfS1_PfEviT6_lT7_lT5_lS4_lS5_lS3_lT8_i
                                        ; -- End function
	.set _ZL26rocblas_hemvn_kernel_lowerILb0ELi64ELi4ELi33ELi32ELi16ElPKfS1_PfEviT6_lT7_lT5_lS4_lS5_lS3_lT8_i.num_vgpr, 66
	.set _ZL26rocblas_hemvn_kernel_lowerILb0ELi64ELi4ELi33ELi32ELi16ElPKfS1_PfEviT6_lT7_lT5_lS4_lS5_lS3_lT8_i.num_agpr, 0
	.set _ZL26rocblas_hemvn_kernel_lowerILb0ELi64ELi4ELi33ELi32ELi16ElPKfS1_PfEviT6_lT7_lT5_lS4_lS5_lS3_lT8_i.numbered_sgpr, 50
	.set _ZL26rocblas_hemvn_kernel_lowerILb0ELi64ELi4ELi33ELi32ELi16ElPKfS1_PfEviT6_lT7_lT5_lS4_lS5_lS3_lT8_i.num_named_barrier, 0
	.set _ZL26rocblas_hemvn_kernel_lowerILb0ELi64ELi4ELi33ELi32ELi16ElPKfS1_PfEviT6_lT7_lT5_lS4_lS5_lS3_lT8_i.private_seg_size, 0
	.set _ZL26rocblas_hemvn_kernel_lowerILb0ELi64ELi4ELi33ELi32ELi16ElPKfS1_PfEviT6_lT7_lT5_lS4_lS5_lS3_lT8_i.uses_vcc, 1
	.set _ZL26rocblas_hemvn_kernel_lowerILb0ELi64ELi4ELi33ELi32ELi16ElPKfS1_PfEviT6_lT7_lT5_lS4_lS5_lS3_lT8_i.uses_flat_scratch, 0
	.set _ZL26rocblas_hemvn_kernel_lowerILb0ELi64ELi4ELi33ELi32ELi16ElPKfS1_PfEviT6_lT7_lT5_lS4_lS5_lS3_lT8_i.has_dyn_sized_stack, 0
	.set _ZL26rocblas_hemvn_kernel_lowerILb0ELi64ELi4ELi33ELi32ELi16ElPKfS1_PfEviT6_lT7_lT5_lS4_lS5_lS3_lT8_i.has_recursion, 0
	.set _ZL26rocblas_hemvn_kernel_lowerILb0ELi64ELi4ELi33ELi32ELi16ElPKfS1_PfEviT6_lT7_lT5_lS4_lS5_lS3_lT8_i.has_indirect_call, 0
	.section	.AMDGPU.csdata,"",@progbits
; Kernel info:
; codeLenInByte = 5744
; TotalNumSgprs: 56
; NumVgprs: 66
; NumAgprs: 0
; TotalNumVgprs: 66
; ScratchSize: 0
; MemoryBound: 0
; FloatMode: 240
; IeeeMode: 1
; LDSByteSize: 4800 bytes/workgroup (compile time only)
; SGPRBlocks: 6
; VGPRBlocks: 8
; NumSGPRsForWavesPerEU: 56
; NumVGPRsForWavesPerEU: 66
; AccumOffset: 68
; Occupancy: 7
; WaveLimiterHint : 0
; COMPUTE_PGM_RSRC2:SCRATCH_EN: 0
; COMPUTE_PGM_RSRC2:USER_SGPR: 2
; COMPUTE_PGM_RSRC2:TRAP_HANDLER: 0
; COMPUTE_PGM_RSRC2:TGID_X_EN: 1
; COMPUTE_PGM_RSRC2:TGID_Y_EN: 0
; COMPUTE_PGM_RSRC2:TGID_Z_EN: 1
; COMPUTE_PGM_RSRC2:TIDIG_COMP_CNT: 1
; COMPUTE_PGM_RSRC3_GFX90A:ACCUM_OFFSET: 16
; COMPUTE_PGM_RSRC3_GFX90A:TG_SPLIT: 0
	.section	.text._ZL36rocblas_hemvn_kernel_lower_block_sumILi64ElPKfPffEviT1_lS3_lT2_lT0_lPT3_i,"axG",@progbits,_ZL36rocblas_hemvn_kernel_lower_block_sumILi64ElPKfPffEviT1_lS3_lT2_lT0_lPT3_i,comdat
	.globl	_ZL36rocblas_hemvn_kernel_lower_block_sumILi64ElPKfPffEviT1_lS3_lT2_lT0_lPT3_i ; -- Begin function _ZL36rocblas_hemvn_kernel_lower_block_sumILi64ElPKfPffEviT1_lS3_lT2_lT0_lPT3_i
	.p2align	8
	.type	_ZL36rocblas_hemvn_kernel_lower_block_sumILi64ElPKfPffEviT1_lS3_lT2_lT0_lPT3_i,@function
_ZL36rocblas_hemvn_kernel_lower_block_sumILi64ElPKfPffEviT1_lS3_lT2_lT0_lPT3_i: ; @_ZL36rocblas_hemvn_kernel_lower_block_sumILi64ElPKfPffEviT1_lS3_lT2_lT0_lPT3_i
; %bb.0:
	s_load_dwordx8 s[8:15], s[0:1], 0x8
	s_waitcnt lgkmcnt(0)
	s_mul_i32 s4, s11, s3
	s_mul_hi_u32 s5, s10, s3
	s_add_i32 s5, s5, s4
	s_mul_i32 s4, s10, s3
	s_lshl_b64 s[4:5], s[4:5], 2
	s_add_u32 s4, s8, s4
	s_addc_u32 s5, s9, s5
	s_load_dword s8, s[4:5], 0x0
	s_mul_i32 s4, s15, s3
	s_mul_hi_u32 s5, s14, s3
	s_add_i32 s5, s5, s4
	s_mul_i32 s4, s14, s3
	s_lshl_b64 s[4:5], s[4:5], 2
	s_add_u32 s4, s12, s4
	s_addc_u32 s5, s13, s5
	s_load_dword s9, s[4:5], 0x0
	s_waitcnt lgkmcnt(0)
	v_cmp_eq_f32_e64 s[4:5], s8, 0
	v_cmp_eq_f32_e64 s[6:7], s9, 1.0
	s_and_b64 s[4:5], s[4:5], s[6:7]
	s_and_b64 vcc, exec, s[4:5]
	s_cbranch_vccnz .LBB82_19
; %bb.1:
	s_load_dwordx2 s[10:11], s[0:1], 0x40
	s_load_dwordx4 s[4:7], s[0:1], 0x30
	s_load_dwordx2 s[12:13], s[0:1], 0x28
	s_load_dword s14, s[0:1], 0x0
	v_lshl_or_b32 v3, s2, 6, v0
	s_waitcnt lgkmcnt(0)
	s_mul_i32 s11, s11, s3
	s_mul_hi_u32 s15, s10, s3
	s_add_i32 s11, s15, s11
	s_mul_i32 s10, s10, s3
	s_lshl_b64 s[10:11], s[10:11], 2
	s_add_u32 s10, s12, s10
	s_addc_u32 s11, s13, s11
	s_lshl_b64 s[4:5], s[4:5], 2
	s_add_u32 s10, s10, s4
	s_addc_u32 s11, s11, s5
	v_cmp_neq_f32_e64 s[4:5], s8, 0
	s_and_b64 vcc, exec, s[4:5]
	v_cmp_gt_i32_e64 s[4:5], s14, v3
	s_cbranch_vccnz .LBB82_6
; %bb.2:
	s_mov_b64 s[16:17], 0
	s_mov_b64 s[12:13], 0
                                        ; implicit-def: $vgpr4
                                        ; implicit-def: $vgpr0_vgpr1
	s_and_saveexec_b64 s[18:19], s[4:5]
	s_cbranch_execz .LBB82_7
; %bb.3:
	v_ashrrev_i32_e32 v0, 31, v3
	v_cmp_eq_f32_e64 s[4:5], s9, 0
	v_mul_lo_u32 v2, s7, v3
	v_mul_lo_u32 v5, s6, v0
	v_mad_u64_u32 v[0:1], s[12:13], s6, v3, 0
	v_mov_b32_e32 v4, 0
	v_add3_u32 v1, v1, v5, v2
	s_and_b64 vcc, exec, s[4:5]
	s_cbranch_vccnz .LBB82_5
; %bb.4:
	v_lshl_add_u64 v[4:5], v[0:1], 2, s[10:11]
	global_load_dword v2, v[4:5], off
	s_waitcnt vmcnt(0)
	v_mul_f32_e32 v4, s9, v2
.LBB82_5:
	s_mov_b64 s[12:13], exec
	s_or_b64 exec, exec, s[18:19]
	s_and_b64 vcc, exec, s[16:17]
	s_cbranch_vccnz .LBB82_8
	s_branch .LBB82_17
.LBB82_6:
	s_mov_b64 s[12:13], 0
                                        ; implicit-def: $vgpr4
                                        ; implicit-def: $vgpr0_vgpr1
	s_cbranch_execnz .LBB82_8
	s_branch .LBB82_17
.LBB82_7:
	s_or_b64 exec, exec, s[18:19]
	s_and_b64 vcc, exec, s[16:17]
	s_cbranch_vccz .LBB82_17
.LBB82_8:
	v_cmp_gt_i32_e32 vcc, s14, v3
                                        ; implicit-def: $vgpr4
                                        ; implicit-def: $vgpr0_vgpr1
	s_and_saveexec_b64 s[4:5], vcc
	s_cbranch_execz .LBB82_16
; %bb.9:
	s_load_dword s16, s[0:1], 0x58
	v_mov_b32_e32 v2, 0
	s_waitcnt lgkmcnt(0)
	s_cmp_ge_i32 s2, s16
	s_cbranch_scc1 .LBB82_12
; %bb.10:
	s_ashr_i32 s15, s14, 31
	s_mul_i32 s17, s14, s2
	s_load_dwordx2 s[0:1], s[0:1], 0x48
	v_add_u32_e32 v0, s17, v3
	s_mul_hi_u32 s17, s14, s3
	s_mul_i32 s18, s15, s3
	s_add_i32 s17, s17, s18
	s_mul_i32 s3, s14, s3
	s_mul_i32 s17, s17, s16
	s_mul_hi_u32 s18, s3, s16
	s_add_i32 s19, s18, s17
	s_mul_i32 s18, s3, s16
	s_lshl_b64 s[18:19], s[18:19], 2
	s_waitcnt lgkmcnt(0)
	s_add_u32 s0, s0, s18
	v_ashrrev_i32_e32 v1, 31, v0
	s_addc_u32 s1, s1, s19
	v_lshl_add_u64 v[0:1], v[0:1], 2, s[0:1]
	s_lshl_b64 s[0:1], s[14:15], 2
	v_mov_b32_e32 v2, 0
.LBB82_11:                              ; =>This Inner Loop Header: Depth=1
	global_load_dword v4, v[0:1], off
	s_add_i32 s2, s2, 1
	v_lshl_add_u64 v[0:1], v[0:1], 0, s[0:1]
	s_cmp_ge_i32 s2, s16
	s_waitcnt vmcnt(0)
	v_add_f32_e32 v2, v2, v4
	s_cbranch_scc0 .LBB82_11
.LBB82_12:
	v_cmp_eq_f32_e64 s[0:1], s9, 0
	v_ashrrev_i32_e32 v0, 31, v3
	s_and_b64 vcc, exec, s[0:1]
	v_mul_lo_u32 v5, s7, v3
	v_mul_lo_u32 v6, s6, v0
	s_cbranch_vccz .LBB82_20
; %bb.13:
	v_mad_u64_u32 v[0:1], s[0:1], s6, v3, 0
	v_mul_f32_e32 v4, s8, v2
	v_add3_u32 v1, v1, v6, v5
	s_cbranch_execnz .LBB82_15
.LBB82_14:
	v_mad_u64_u32 v[0:1], s[0:1], s6, v3, 0
	v_add3_u32 v1, v1, v6, v5
	v_lshl_add_u64 v[4:5], v[0:1], 2, s[10:11]
	global_load_dword v3, v[4:5], off
	s_waitcnt vmcnt(0)
	v_pk_mul_f32 v[2:3], s[8:9], v[2:3]
	s_nop 0
	v_add_f32_e32 v4, v2, v3
.LBB82_15:
	s_or_b64 s[12:13], s[12:13], exec
.LBB82_16:
	s_or_b64 exec, exec, s[4:5]
.LBB82_17:
	s_and_saveexec_b64 s[0:1], s[12:13]
	s_cbranch_execz .LBB82_19
; %bb.18:
	v_lshl_add_u64 v[0:1], v[0:1], 2, s[10:11]
	global_store_dword v[0:1], v4, off
.LBB82_19:
	s_endpgm
.LBB82_20:
                                        ; implicit-def: $vgpr4
                                        ; implicit-def: $vgpr0_vgpr1
	s_branch .LBB82_14
	.section	.rodata,"a",@progbits
	.p2align	6, 0x0
	.amdhsa_kernel _ZL36rocblas_hemvn_kernel_lower_block_sumILi64ElPKfPffEviT1_lS3_lT2_lT0_lPT3_i
		.amdhsa_group_segment_fixed_size 0
		.amdhsa_private_segment_fixed_size 0
		.amdhsa_kernarg_size 344
		.amdhsa_user_sgpr_count 2
		.amdhsa_user_sgpr_dispatch_ptr 0
		.amdhsa_user_sgpr_queue_ptr 0
		.amdhsa_user_sgpr_kernarg_segment_ptr 1
		.amdhsa_user_sgpr_dispatch_id 0
		.amdhsa_user_sgpr_kernarg_preload_length 0
		.amdhsa_user_sgpr_kernarg_preload_offset 0
		.amdhsa_user_sgpr_private_segment_size 0
		.amdhsa_uses_dynamic_stack 0
		.amdhsa_enable_private_segment 0
		.amdhsa_system_sgpr_workgroup_id_x 1
		.amdhsa_system_sgpr_workgroup_id_y 0
		.amdhsa_system_sgpr_workgroup_id_z 1
		.amdhsa_system_sgpr_workgroup_info 0
		.amdhsa_system_vgpr_workitem_id 0
		.amdhsa_next_free_vgpr 7
		.amdhsa_next_free_sgpr 20
		.amdhsa_accum_offset 8
		.amdhsa_reserve_vcc 1
		.amdhsa_float_round_mode_32 0
		.amdhsa_float_round_mode_16_64 0
		.amdhsa_float_denorm_mode_32 3
		.amdhsa_float_denorm_mode_16_64 3
		.amdhsa_dx10_clamp 1
		.amdhsa_ieee_mode 1
		.amdhsa_fp16_overflow 0
		.amdhsa_tg_split 0
		.amdhsa_exception_fp_ieee_invalid_op 0
		.amdhsa_exception_fp_denorm_src 0
		.amdhsa_exception_fp_ieee_div_zero 0
		.amdhsa_exception_fp_ieee_overflow 0
		.amdhsa_exception_fp_ieee_underflow 0
		.amdhsa_exception_fp_ieee_inexact 0
		.amdhsa_exception_int_div_zero 0
	.end_amdhsa_kernel
	.section	.text._ZL36rocblas_hemvn_kernel_lower_block_sumILi64ElPKfPffEviT1_lS3_lT2_lT0_lPT3_i,"axG",@progbits,_ZL36rocblas_hemvn_kernel_lower_block_sumILi64ElPKfPffEviT1_lS3_lT2_lT0_lPT3_i,comdat
.Lfunc_end82:
	.size	_ZL36rocblas_hemvn_kernel_lower_block_sumILi64ElPKfPffEviT1_lS3_lT2_lT0_lPT3_i, .Lfunc_end82-_ZL36rocblas_hemvn_kernel_lower_block_sumILi64ElPKfPffEviT1_lS3_lT2_lT0_lPT3_i
                                        ; -- End function
	.set _ZL36rocblas_hemvn_kernel_lower_block_sumILi64ElPKfPffEviT1_lS3_lT2_lT0_lPT3_i.num_vgpr, 7
	.set _ZL36rocblas_hemvn_kernel_lower_block_sumILi64ElPKfPffEviT1_lS3_lT2_lT0_lPT3_i.num_agpr, 0
	.set _ZL36rocblas_hemvn_kernel_lower_block_sumILi64ElPKfPffEviT1_lS3_lT2_lT0_lPT3_i.numbered_sgpr, 20
	.set _ZL36rocblas_hemvn_kernel_lower_block_sumILi64ElPKfPffEviT1_lS3_lT2_lT0_lPT3_i.num_named_barrier, 0
	.set _ZL36rocblas_hemvn_kernel_lower_block_sumILi64ElPKfPffEviT1_lS3_lT2_lT0_lPT3_i.private_seg_size, 0
	.set _ZL36rocblas_hemvn_kernel_lower_block_sumILi64ElPKfPffEviT1_lS3_lT2_lT0_lPT3_i.uses_vcc, 1
	.set _ZL36rocblas_hemvn_kernel_lower_block_sumILi64ElPKfPffEviT1_lS3_lT2_lT0_lPT3_i.uses_flat_scratch, 0
	.set _ZL36rocblas_hemvn_kernel_lower_block_sumILi64ElPKfPffEviT1_lS3_lT2_lT0_lPT3_i.has_dyn_sized_stack, 0
	.set _ZL36rocblas_hemvn_kernel_lower_block_sumILi64ElPKfPffEviT1_lS3_lT2_lT0_lPT3_i.has_recursion, 0
	.set _ZL36rocblas_hemvn_kernel_lower_block_sumILi64ElPKfPffEviT1_lS3_lT2_lT0_lPT3_i.has_indirect_call, 0
	.section	.AMDGPU.csdata,"",@progbits
; Kernel info:
; codeLenInByte = 676
; TotalNumSgprs: 26
; NumVgprs: 7
; NumAgprs: 0
; TotalNumVgprs: 7
; ScratchSize: 0
; MemoryBound: 0
; FloatMode: 240
; IeeeMode: 1
; LDSByteSize: 0 bytes/workgroup (compile time only)
; SGPRBlocks: 3
; VGPRBlocks: 0
; NumSGPRsForWavesPerEU: 26
; NumVGPRsForWavesPerEU: 7
; AccumOffset: 8
; Occupancy: 8
; WaveLimiterHint : 0
; COMPUTE_PGM_RSRC2:SCRATCH_EN: 0
; COMPUTE_PGM_RSRC2:USER_SGPR: 2
; COMPUTE_PGM_RSRC2:TRAP_HANDLER: 0
; COMPUTE_PGM_RSRC2:TGID_X_EN: 1
; COMPUTE_PGM_RSRC2:TGID_Y_EN: 0
; COMPUTE_PGM_RSRC2:TGID_Z_EN: 1
; COMPUTE_PGM_RSRC2:TIDIG_COMP_CNT: 0
; COMPUTE_PGM_RSRC3_GFX90A:ACCUM_OFFSET: 1
; COMPUTE_PGM_RSRC3_GFX90A:TG_SPLIT: 0
	.section	.text._ZL26rocblas_hemvn_kernel_lowerILb0ELi64ELi4ELi33ELi32ELi16EiPKfS1_PfEviT6_lT7_lT5_lS4_lS5_lS3_lT8_i,"axG",@progbits,_ZL26rocblas_hemvn_kernel_lowerILb0ELi64ELi4ELi33ELi32ELi16EiPKfS1_PfEviT6_lT7_lT5_lS4_lS5_lS3_lT8_i,comdat
	.globl	_ZL26rocblas_hemvn_kernel_lowerILb0ELi64ELi4ELi33ELi32ELi16EiPKfS1_PfEviT6_lT7_lT5_lS4_lS5_lS3_lT8_i ; -- Begin function _ZL26rocblas_hemvn_kernel_lowerILb0ELi64ELi4ELi33ELi32ELi16EiPKfS1_PfEviT6_lT7_lT5_lS4_lS5_lS3_lT8_i
	.p2align	8
	.type	_ZL26rocblas_hemvn_kernel_lowerILb0ELi64ELi4ELi33ELi32ELi16EiPKfS1_PfEviT6_lT7_lT5_lS4_lS5_lS3_lT8_i,@function
_ZL26rocblas_hemvn_kernel_lowerILb0ELi64ELi4ELi33ELi32ELi16EiPKfS1_PfEviT6_lT7_lT5_lS4_lS5_lS3_lT8_i: ; @_ZL26rocblas_hemvn_kernel_lowerILb0ELi64ELi4ELi33ELi32ELi16EiPKfS1_PfEviT6_lT7_lT5_lS4_lS5_lS3_lT8_i
; %bb.0:
	s_load_dwordx2 s[4:5], s[0:1], 0x84
	s_add_u32 s12, s0, 0x78
	s_addc_u32 s13, s1, 0
	s_waitcnt lgkmcnt(0)
	s_lshr_b32 s6, s4, 16
	s_and_b32 s4, s4, 0xffff
	s_and_b32 s5, s5, 0xffff
	s_mul_i32 s4, s6, s4
	s_mul_i32 s4, s4, s5
	s_cmpk_lg_i32 s4, 0x100
	s_cbranch_scc1 .LBB83_78
; %bb.1:
	s_load_dwordx8 s[4:11], s[0:1], 0x8
	s_load_dwordx8 s[16:23], s[0:1], 0x50
	s_waitcnt lgkmcnt(0)
	s_mul_i32 s7, s7, s3
	s_mul_hi_u32 s14, s6, s3
	s_mul_i32 s6, s6, s3
	s_add_i32 s7, s14, s7
	s_lshl_b64 s[6:7], s[6:7], 2
	s_add_u32 s4, s4, s6
	s_addc_u32 s5, s5, s7
	s_mul_i32 s15, s21, s3
	s_load_dword s6, s[4:5], 0x0
	s_mul_hi_u32 s4, s20, s3
	s_add_i32 s5, s4, s15
	s_mul_i32 s4, s20, s3
	s_lshl_b64 s[4:5], s[4:5], 2
	s_add_u32 s4, s18, s4
	s_addc_u32 s5, s19, s5
	s_load_dword s7, s[4:5], 0x0
	s_waitcnt lgkmcnt(0)
	v_cmp_eq_f32_e64 s[4:5], s6, 0
	v_cmp_eq_f32_e64 s[6:7], s7, 1.0
	s_and_b64 s[6:7], s[4:5], s[6:7]
	s_and_b64 vcc, exec, s[6:7]
	s_cbranch_vccnz .LBB83_78
; %bb.2:
	s_and_b64 vcc, exec, s[4:5]
	s_cbranch_vccnz .LBB83_78
; %bb.3:
	s_load_dword s39, s[12:13], 0x0
	s_load_dword s38, s[0:1], 0x0
	s_load_dwordx4 s[4:7], s[0:1], 0x30
	s_load_dwordx2 s[14:15], s[0:1], 0x40
	s_load_dword s33, s[0:1], 0x48
	s_mul_i32 s12, s17, s3
	s_mul_hi_u32 s13, s16, s3
	s_add_i32 s13, s13, s12
	s_mul_i32 s12, s16, s3
	s_lshl_b64 s[12:13], s[12:13], 2
	s_waitcnt lgkmcnt(0)
	s_add_u32 s12, s6, s12
	s_addc_u32 s13, s7, s13
	s_lshl_b64 s[6:7], s[14:15], 2
	s_add_u32 s6, s12, s6
	s_addc_u32 s7, s13, s7
	s_ashr_i32 s40, s38, 31
	s_lshr_b32 s13, s40, 26
	v_and_b32_e32 v18, 0x3ff, v0
	s_lshl_b32 s26, s2, 6
	s_add_i32 s13, s38, s13
	s_andn2_b32 s13, s13, 63
	v_add_u32_e32 v16, s26, v18
	v_bfe_u32 v17, v0, 10, 10
	s_add_i32 s12, s39, -1
	s_sub_i32 s13, s38, s13
	v_mul_lo_u32 v0, s33, v16
	s_cmp_eq_u32 s2, s12
	v_ashrrev_i32_e32 v1, 31, v0
	s_cselect_b32 s24, s13, 0
	v_lshl_add_u64 v[4:5], v[0:1], 2, s[6:7]
	v_cmp_ne_u32_e64 s[16:17], 0, v17
	v_cmp_eq_u32_e64 s[18:19], 0, v17
	s_and_saveexec_b64 s[6:7], s[18:19]
	s_cbranch_execz .LBB83_7
; %bb.4:
	s_cmp_eq_u32 s24, 0
	s_cselect_b64 s[12:13], -1, 0
	v_cmp_gt_i32_e32 vcc, s24, v18
	s_or_b64 s[14:15], s[12:13], vcc
	v_mov_b32_e32 v0, 0
	s_and_saveexec_b64 s[12:13], s[14:15]
	s_cbranch_execz .LBB83_6
; %bb.5:
	global_load_dword v0, v[4:5], off
.LBB83_6:
	s_or_b64 exec, exec, s[12:13]
	v_lshlrev_b32_e32 v1, 2, v18
	s_waitcnt vmcnt(0)
	ds_write_b32 v1, v0 offset:4544
.LBB83_7:
	s_or_b64 exec, exec, s[6:7]
	s_mul_i32 s5, s5, s3
	s_mul_hi_u32 s6, s4, s3
	s_add_i32 s5, s6, s5
	s_mul_i32 s4, s4, s3
	s_lshl_b64 s[4:5], s[4:5], 2
	s_add_u32 s6, s8, s4
	s_load_dword s20, s[0:1], 0x28
	s_addc_u32 s7, s9, s5
	s_lshl_b64 s[4:5], s[10:11], 2
	s_add_u32 s4, s6, s4
	s_addc_u32 s5, s7, s5
	s_ashr_i32 s27, s26, 31
	v_lshl_add_u32 v14, v17, 6, v18
	s_lshl_b64 s[0:1], s[26:27], 2
	v_and_b32_e32 v2, 31, v18
	v_lshrrev_b32_e32 v12, 5, v14
	s_add_u32 s0, s4, s0
	s_waitcnt lgkmcnt(0)
	s_mul_i32 s28, s20, s26
	s_addc_u32 s1, s5, s1
	v_mad_u64_u32 v[6:7], s[4:5], s20, v12, v[2:3]
	s_ashr_i32 s29, s28, 31
	v_ashrrev_i32_e32 v7, 31, v6
	s_cmp_lg_u32 s24, 0
	v_lshl_add_u64 v[0:1], v[6:7], 2, s[0:1]
	s_cselect_b64 s[30:31], -1, 0
	s_cmp_eq_u32 s24, 0
	v_lshl_add_u64 v[8:9], s[28:29], 2, v[0:1]
	s_cselect_b64 s[34:35], -1, 0
	s_mov_b64 s[0:1], -1
	s_and_b64 vcc, exec, s[30:31]
	s_cbranch_vccnz .LBB83_9
; %bb.8:
	s_lshl_b32 s0, s20, 3
	s_ashr_i32 s1, s0, 31
	s_ashr_i32 s21, s20, 31
	v_lshl_add_u64 v[0:1], s[0:1], 2, v[8:9]
	s_lshl_b64 s[0:1], s[20:21], 5
	v_lshl_add_u64 v[10:11], v[0:1], 0, s[0:1]
	v_lshl_add_u64 v[20:21], v[10:11], 0, s[0:1]
	global_load_dword v3, v[8:9], off
	global_load_dword v13, v[0:1], off
	;; [unrolled: 1-line block ×4, first 2 shown]
	v_mul_u32_u24_e32 v0, 0x84, v12
	v_lshl_add_u32 v0, v2, 2, v0
	s_mov_b64 s[0:1], 0
	s_waitcnt vmcnt(3)
	ds_write_b32 v0, v3
	s_waitcnt vmcnt(2)
	ds_write_b32 v0, v13 offset:1056
	s_waitcnt vmcnt(1)
	ds_write_b32 v0, v15 offset:2112
	;; [unrolled: 2-line block ×3, first 2 shown]
.LBB83_9:
	s_andn2_b64 vcc, exec, s[0:1]
	v_lshlrev_b32_e32 v0, 2, v2
	s_cbranch_vccnz .LBB83_19
; %bb.10:
	v_sub_co_u32_e32 v10, vcc, v8, v0
	s_ashr_i32 s25, s24, 31
	s_nop 0
	v_subbrev_co_u32_e32 v11, vcc, 0, v9, vcc
	v_lshl_add_u64 v[10:11], s[24:25], 2, v[10:11]
	v_lshl_add_u64 v[10:11], v[10:11], 0, -4
	v_cmp_gt_i32_e32 vcc, s24, v2
	v_mov_b32_e32 v3, 0
	v_cmp_gt_i32_e64 s[0:1], s24, v12
	v_cndmask_b32_e32 v11, v11, v9, vcc
	v_cndmask_b32_e32 v10, v10, v8, vcc
	v_mov_b32_e32 v13, 0
	s_and_saveexec_b64 s[4:5], s[0:1]
	s_cbranch_execz .LBB83_12
; %bb.11:
	global_load_dword v13, v[10:11], off
.LBB83_12:
	s_or_b64 exec, exec, s[4:5]
	s_movk_i32 s0, 0x84
	v_mad_u32_u24 v15, v12, s0, v0
	s_waitcnt vmcnt(0)
	ds_write_b32 v15, v13
	v_add_u32_e32 v13, 8, v12
	v_mul_u32_u24_e32 v1, 0x84, v12
	v_cmp_gt_i32_e64 s[0:1], s24, v13
	s_and_saveexec_b64 s[4:5], s[0:1]
	s_cbranch_execz .LBB83_14
; %bb.13:
	s_lshl_b32 s0, s20, 3
	s_ashr_i32 s1, s0, 31
	v_lshl_add_u64 v[20:21], s[0:1], 2, v[10:11]
	global_load_dword v3, v[20:21], off
.LBB83_14:
	s_or_b64 exec, exec, s[4:5]
	v_add_u32_e32 v1, v1, v0
	s_waitcnt vmcnt(0)
	ds_write_b32 v1, v3 offset:1056
	v_add_u32_e32 v3, 16, v12
	v_cmp_gt_i32_e64 s[0:1], s24, v3
	v_mov_b32_e32 v3, 0
	v_mov_b32_e32 v13, 0
	s_and_saveexec_b64 s[4:5], s[0:1]
	s_cbranch_execz .LBB83_16
; %bb.15:
	s_lshl_b32 s0, s20, 4
	s_ashr_i32 s1, s0, 31
	v_lshl_add_u64 v[20:21], s[0:1], 2, v[10:11]
	global_load_dword v13, v[20:21], off
.LBB83_16:
	s_or_b64 exec, exec, s[4:5]
	s_waitcnt vmcnt(0)
	ds_write_b32 v1, v13 offset:2112
	v_add_u32_e32 v13, 24, v12
	v_cmp_gt_i32_e64 s[0:1], s24, v13
	s_and_saveexec_b64 s[4:5], s[0:1]
	s_cbranch_execz .LBB83_18
; %bb.17:
	s_mul_i32 s0, s20, 24
	s_ashr_i32 s1, s0, 31
	v_lshl_add_u64 v[20:21], s[0:1], 2, v[10:11]
	global_load_dword v3, v[20:21], off
.LBB83_18:
	s_or_b64 exec, exec, s[4:5]
	s_waitcnt vmcnt(0)
	ds_write_b32 v1, v3 offset:3168
	v_mov_b32_e32 v1, 0
	v_lshl_add_u64 v[10:11], v[10:11], 0, v[0:1]
	s_lshl_b64 s[0:1], s[24:25], 2
	v_mov_b32_e32 v1, s1
	v_subrev_co_u32_e64 v10, s[0:1], s0, v10
	s_nop 1
	v_subb_co_u32_e64 v11, s[0:1], v11, v1, s[0:1]
	v_lshl_add_u64 v[10:11], v[10:11], 0, 4
	v_cndmask_b32_e32 v9, v11, v9, vcc
	v_cndmask_b32_e32 v8, v10, v8, vcc
.LBB83_19:
	v_lshlrev_b32_e32 v13, 2, v12
	v_lshl_or_b32 v1, v2, 7, v0
	v_cmp_lt_u32_e64 s[6:7], v13, v2
	s_waitcnt lgkmcnt(0)
	s_barrier
	s_and_saveexec_b64 s[0:1], s[6:7]
	s_cbranch_execz .LBB83_21
; %bb.20:
	s_movk_i32 s4, 0x210
	v_mad_u32_u24 v3, v12, s4, v0
	ds_read_b32 v3, v3
	v_lshl_add_u32 v10, v13, 2, v1
	s_waitcnt lgkmcnt(0)
	ds_write_b32 v10, v3
.LBB83_21:
	s_or_b64 exec, exec, s[0:1]
	v_or_b32_e32 v3, 1, v13
	v_cmp_lt_u32_e64 s[8:9], v3, v2
	s_and_saveexec_b64 s[0:1], s[8:9]
	s_cbranch_execz .LBB83_23
; %bb.22:
	s_movk_i32 s4, 0x84
	v_mad_u32_u24 v10, v3, s4, v0
	ds_read_b32 v10, v10
	v_lshl_add_u32 v11, v13, 2, v1
	s_waitcnt lgkmcnt(0)
	ds_write_b32 v11, v10 offset:4
.LBB83_23:
	s_or_b64 exec, exec, s[0:1]
	v_or_b32_e32 v10, 2, v13
	v_cmp_lt_u32_e64 s[10:11], v10, v2
	s_and_saveexec_b64 s[0:1], s[10:11]
	s_cbranch_execz .LBB83_25
; %bb.24:
	s_movk_i32 s4, 0x84
	v_mad_u32_u24 v10, v10, s4, v0
	ds_read_b32 v10, v10
	v_lshl_add_u32 v11, v13, 2, v1
	s_waitcnt lgkmcnt(0)
	ds_write_b32 v11, v10 offset:8
.LBB83_25:
	s_or_b64 exec, exec, s[0:1]
	v_or_b32_e32 v11, 3, v13
	v_cmp_lt_u32_e64 s[12:13], v11, v2
	v_cmp_ge_u32_e32 vcc, v11, v2
                                        ; implicit-def: $vgpr10
	s_and_saveexec_b64 s[0:1], vcc
	s_xor_b64 s[0:1], exec, s[0:1]
; %bb.26:
	v_mul_u32_u24_e32 v10, 0x84, v11
                                        ; implicit-def: $vgpr1
                                        ; implicit-def: $vgpr11
; %bb.27:
	s_andn2_saveexec_b64 s[0:1], s[0:1]
	s_cbranch_execz .LBB83_29
; %bb.28:
	s_movk_i32 s4, 0x84
	v_mad_u32_u24 v10, v11, s4, v0
	ds_read_b32 v15, v10
	v_lshl_add_u32 v1, v13, 2, v1
	v_mul_u32_u24_e32 v10, 0x84, v11
	s_waitcnt lgkmcnt(0)
	ds_write_b32 v1, v15 offset:12
.LBB83_29:
	s_or_b64 exec, exec, s[0:1]
	s_movk_i32 s0, 0x210
	v_mad_u32_u24 v1, v12, s0, v0
	s_movk_i32 s0, 0x84
	v_mad_u32_u24 v11, v3, s0, v0
	s_waitcnt lgkmcnt(0)
	s_barrier
	ds_read2_b32 v[28:29], v11 offset1:33
	v_lshlrev_b32_e32 v20, 2, v13
	ds_read_b32 v22, v1
	ds_read_b128 v[24:27], v20 offset:4544
	v_add_u32_e32 v21, v0, v10
	ds_read_b32 v11, v21
	s_waitcnt lgkmcnt(3)
	v_mov_b32_e32 v23, v28
	v_mov_b32_e32 v10, v29
	s_waitcnt lgkmcnt(1)
	v_pk_mul_f32 v[22:23], v[22:23], v[24:25]
	v_mov_b32_e32 v24, 0
	v_add_f32_e32 v1, 0, v22
	v_add_f32_e32 v1, v1, v23
	s_waitcnt lgkmcnt(0)
	v_pk_mul_f32 v[10:11], v[10:11], v[26:27]
	v_cmp_gt_u32_e64 s[4:5], 32, v14
	v_add_f32_e32 v1, v1, v10
	v_mul_u32_u24_e32 v10, 33, v2
	v_lshlrev_b32_e32 v15, 2, v10
	v_add_f32_e32 v1, v1, v11
	v_lshl_add_u32 v19, v12, 2, v15
	s_barrier
	ds_write_b32 v19, v1
	s_waitcnt lgkmcnt(0)
	s_barrier
	s_and_saveexec_b64 s[0:1], s[4:5]
	s_cbranch_execz .LBB83_31
; %bb.30:
	ds_read2_b32 v[10:11], v15 offset1:1
	ds_read2_b32 v[22:23], v15 offset0:2 offset1:3
	ds_read2_b32 v[24:25], v15 offset0:4 offset1:5
	;; [unrolled: 1-line block ×3, first 2 shown]
	s_waitcnt lgkmcnt(3)
	v_add_f32_e32 v1, v10, v11
	s_waitcnt lgkmcnt(2)
	v_add_f32_e32 v1, v1, v22
	v_add_f32_e32 v1, v1, v23
	s_waitcnt lgkmcnt(1)
	v_add_f32_e32 v1, v1, v24
	;; [unrolled: 3-line block ×3, first 2 shown]
	v_add_f32_e32 v24, v1, v27
.LBB83_31:
	s_or_b64 exec, exec, s[0:1]
	s_lshl_b32 s36, s20, 5
	s_ashr_i32 s37, s36, 31
	v_cndmask_b32_e64 v1, 0, 1, s[34:35]
	v_lshl_add_u64 v[10:11], s[36:37], 2, v[8:9]
	s_mov_b64 s[0:1], 0x80
	v_cmp_ne_u32_e64 s[14:15], 1, v1
	s_andn2_b64 vcc, exec, s[34:35]
	s_mov_b64 s[34:35], -1
	s_barrier
	s_cbranch_vccnz .LBB83_33
; %bb.32:
	s_lshl_b32 s34, s20, 3
	s_ashr_i32 s35, s34, 31
	s_ashr_i32 s21, s20, 31
	v_lshl_add_u64 v[8:9], s[34:35], 2, v[10:11]
	s_lshl_b64 s[34:35], s[20:21], 5
	v_lshl_add_u64 v[22:23], v[8:9], 0, s[34:35]
	v_lshl_add_u64 v[26:27], v[22:23], 0, s[34:35]
	global_load_dword v1, v[10:11], off offset:128
	global_load_dword v25, v[8:9], off offset:128
	;; [unrolled: 1-line block ×4, first 2 shown]
	s_movk_i32 s21, 0x84
	v_mad_u32_u24 v8, v12, s21, v0
	s_mov_b64 s[34:35], 0
	s_waitcnt vmcnt(3)
	ds_write_b32 v8, v1
	s_waitcnt vmcnt(2)
	ds_write_b32 v8, v25 offset:1056
	s_waitcnt vmcnt(1)
	ds_write_b32 v8, v28 offset:2112
	;; [unrolled: 2-line block ×3, first 2 shown]
.LBB83_33:
	s_andn2_b64 vcc, exec, s[34:35]
	v_lshl_add_u64 v[8:9], v[10:11], 0, s[0:1]
	s_cbranch_vccnz .LBB83_43
; %bb.34:
	v_sub_co_u32_e32 v10, vcc, v10, v0
	s_ashr_i32 s25, s24, 31
	s_nop 0
	v_subbrev_co_u32_e32 v11, vcc, 0, v11, vcc
	v_or_b32_e32 v1, 32, v2
	v_lshl_add_u64 v[10:11], s[24:25], 2, v[10:11]
	v_lshl_add_u64 v[10:11], v[10:11], 0, -4
	v_cmp_gt_i32_e32 vcc, s24, v1
	s_sub_i32 s21, s24, 32
	v_mov_b32_e32 v22, 0
	v_cndmask_b32_e32 v11, v11, v9, vcc
	v_cndmask_b32_e32 v10, v10, v8, vcc
	v_cmp_gt_i32_e64 s[0:1], s21, v12
	v_mov_b32_e32 v23, 0
	s_and_saveexec_b64 s[34:35], s[0:1]
	s_cbranch_execz .LBB83_36
; %bb.35:
	global_load_dword v23, v[10:11], off
.LBB83_36:
	s_or_b64 exec, exec, s[34:35]
	s_movk_i32 s0, 0x84
	v_mad_u32_u24 v25, v12, s0, v0
	s_waitcnt vmcnt(0)
	ds_write_b32 v25, v23
	v_add_u32_e32 v23, 8, v12
	v_mul_u32_u24_e32 v1, 0x84, v12
	v_cmp_gt_i32_e64 s[0:1], s21, v23
	s_and_saveexec_b64 s[34:35], s[0:1]
	s_cbranch_execz .LBB83_38
; %bb.37:
	s_lshl_b32 s0, s20, 3
	s_ashr_i32 s1, s0, 31
	v_lshl_add_u64 v[22:23], s[0:1], 2, v[10:11]
	global_load_dword v22, v[22:23], off
.LBB83_38:
	s_or_b64 exec, exec, s[34:35]
	v_add_u32_e32 v1, v1, v0
	s_waitcnt vmcnt(0)
	ds_write_b32 v1, v22 offset:1056
	v_add_u32_e32 v22, 16, v12
	v_cmp_gt_i32_e64 s[0:1], s21, v22
	v_mov_b32_e32 v22, 0
	v_mov_b32_e32 v23, 0
	s_and_saveexec_b64 s[34:35], s[0:1]
	s_cbranch_execz .LBB83_40
; %bb.39:
	s_lshl_b32 s0, s20, 4
	s_ashr_i32 s1, s0, 31
	v_lshl_add_u64 v[26:27], s[0:1], 2, v[10:11]
	global_load_dword v23, v[26:27], off
.LBB83_40:
	s_or_b64 exec, exec, s[34:35]
	s_waitcnt vmcnt(0)
	ds_write_b32 v1, v23 offset:2112
	v_add_u32_e32 v23, 24, v12
	v_cmp_gt_i32_e64 s[0:1], s21, v23
	s_and_saveexec_b64 s[34:35], s[0:1]
	s_cbranch_execz .LBB83_42
; %bb.41:
	s_mul_i32 s0, s20, 24
	s_ashr_i32 s1, s0, 31
	v_lshl_add_u64 v[22:23], s[0:1], 2, v[10:11]
	global_load_dword v22, v[22:23], off
.LBB83_42:
	s_or_b64 exec, exec, s[34:35]
	s_waitcnt vmcnt(0)
	ds_write_b32 v1, v22 offset:3168
	v_mov_b32_e32 v1, 0
	v_lshl_add_u64 v[10:11], v[10:11], 0, v[0:1]
	s_lshl_b64 s[0:1], s[24:25], 2
	v_mov_b32_e32 v1, s1
	v_subrev_co_u32_e64 v10, s[0:1], s0, v10
	s_nop 1
	v_subb_co_u32_e64 v11, s[0:1], v11, v1, s[0:1]
	s_mov_b64 s[0:1], 0x84
	s_nop 0
	v_lshl_add_u64 v[10:11], v[10:11], 0, s[0:1]
	v_cndmask_b32_e32 v9, v11, v9, vcc
	v_cndmask_b32_e32 v8, v10, v8, vcc
.LBB83_43:
	v_mul_u32_u24_e32 v1, 0x210, v12
	v_add_u32_e32 v20, 0x11c0, v20
	v_mul_u32_u24_e32 v3, 0x84, v3
	v_add_u32_e32 v1, v0, v1
	s_waitcnt lgkmcnt(0)
	s_barrier
	s_and_saveexec_b64 s[0:1], s[6:7]
	s_cbranch_execnz .LBB83_52
; %bb.44:
	s_or_b64 exec, exec, s[0:1]
	v_add_u32_e32 v3, v0, v3
	s_and_saveexec_b64 s[0:1], s[8:9]
	s_cbranch_execnz .LBB83_53
.LBB83_45:
	s_or_b64 exec, exec, s[0:1]
	s_and_saveexec_b64 s[0:1], s[10:11]
	s_cbranch_execnz .LBB83_54
.LBB83_46:
	s_or_b64 exec, exec, s[0:1]
	s_and_saveexec_b64 s[0:1], s[12:13]
	s_cbranch_execz .LBB83_48
.LBB83_47:
	ds_read_b32 v10, v21
	v_lshl_add_u32 v11, v13, 2, v15
	s_waitcnt lgkmcnt(0)
	ds_write_b32 v11, v10 offset:12
.LBB83_48:
	s_or_b64 exec, exec, s[0:1]
	s_waitcnt lgkmcnt(0)
	s_barrier
	ds_read2_b32 v[30:31], v3 offset1:33
	ds_read_b32 v10, v1
	ds_read_b128 v[26:29], v20 offset:128
	ds_read_b32 v23, v21
	v_cmp_eq_u32_e64 s[6:7], 1, v12
	s_waitcnt lgkmcnt(3)
	v_mov_b32_e32 v11, v30
	v_mov_b32_e32 v22, v31
	s_waitcnt lgkmcnt(1)
	v_pk_mul_f32 v[10:11], v[10:11], v[26:27]
	s_waitcnt lgkmcnt(0)
	v_add_f32_e32 v1, 0, v10
	v_add_f32_e32 v1, v1, v11
	v_pk_mul_f32 v[10:11], v[22:23], v[28:29]
	s_barrier
	v_add_f32_e32 v1, v1, v10
	v_add_f32_e32 v1, v1, v11
	ds_write_b32 v19, v1
	s_waitcnt lgkmcnt(0)
	s_barrier
	s_and_saveexec_b64 s[0:1], s[6:7]
	s_cbranch_execz .LBB83_50
; %bb.49:
	ds_read2_b32 v[10:11], v15 offset1:1
	ds_read2_b32 v[22:23], v15 offset0:2 offset1:3
	ds_read2_b32 v[24:25], v15 offset0:4 offset1:5
	;; [unrolled: 1-line block ×3, first 2 shown]
	s_waitcnt lgkmcnt(3)
	v_add_f32_e32 v1, v10, v11
	s_waitcnt lgkmcnt(2)
	v_add_f32_e32 v1, v1, v22
	v_add_f32_e32 v1, v1, v23
	s_waitcnt lgkmcnt(1)
	v_add_f32_e32 v1, v1, v24
	;; [unrolled: 3-line block ×3, first 2 shown]
	v_add_f32_e32 v24, v1, v27
.LBB83_50:
	s_or_b64 exec, exec, s[0:1]
	s_lshl_b64 s[0:1], s[36:37], 2
	v_mov_b32_e32 v1, s1
	v_subrev_co_u32_e64 v8, s[0:1], s0, v8
	s_and_b64 vcc, exec, s[14:15]
	s_nop 0
	v_subb_co_u32_e64 v9, s[0:1], v9, v1, s[0:1]
	s_barrier
	s_cbranch_vccnz .LBB83_55
; %bb.51:
	s_lshl_b32 s0, s20, 3
	s_ashr_i32 s1, s0, 31
	s_ashr_i32 s21, s20, 31
	v_lshl_add_u64 v[10:11], s[0:1], 2, v[8:9]
	s_lshl_b64 s[0:1], s[20:21], 5
	v_lshl_add_u64 v[22:23], v[10:11], 0, s[0:1]
	v_lshl_add_u64 v[26:27], v[22:23], 0, s[0:1]
	global_load_dword v1, v[8:9], off
	global_load_dword v3, v[10:11], off
	global_load_dword v28, v[22:23], off
	global_load_dword v29, v[26:27], off
	s_movk_i32 s0, 0x84
	v_mov_b32_e32 v22, 0x420
	v_mov_b32_e32 v25, 0x840
	;; [unrolled: 1-line block ×3, first 2 shown]
	v_mul_u32_u24_e32 v11, 0x84, v12
	v_add_u32_e32 v10, 8, v12
	v_add_u32_e32 v21, 16, v12
	;; [unrolled: 1-line block ×3, first 2 shown]
	v_mad_u32_u24 v27, v12, s0, v0
	v_mad_u32_u24 v22, v12, s0, v22
	;; [unrolled: 1-line block ×4, first 2 shown]
	v_add_u32_e32 v30, v0, v22
	v_add_u32_e32 v31, v0, v25
	;; [unrolled: 1-line block ×3, first 2 shown]
	s_waitcnt vmcnt(3)
	ds_write_b32 v27, v1
	s_waitcnt vmcnt(2)
	ds_write_b32 v30, v3
	;; [unrolled: 2-line block ×4, first 2 shown]
	s_cbranch_execz .LBB83_56
	s_branch .LBB83_65
.LBB83_52:
	ds_read_b32 v10, v1
	v_lshl_add_u32 v11, v13, 2, v15
	s_waitcnt lgkmcnt(0)
	ds_write_b32 v11, v10
	s_or_b64 exec, exec, s[0:1]
	v_add_u32_e32 v3, v0, v3
	s_and_saveexec_b64 s[0:1], s[8:9]
	s_cbranch_execz .LBB83_45
.LBB83_53:
	ds_read_b32 v10, v3
	v_lshl_add_u32 v11, v13, 2, v15
	s_waitcnt lgkmcnt(0)
	ds_write_b32 v11, v10 offset:4
	s_or_b64 exec, exec, s[0:1]
	s_and_saveexec_b64 s[0:1], s[10:11]
	s_cbranch_execz .LBB83_46
.LBB83_54:
	ds_read_b32 v10, v3 offset:132
	v_lshl_add_u32 v11, v13, 2, v15
	s_waitcnt lgkmcnt(0)
	ds_write_b32 v11, v10 offset:8
	s_or_b64 exec, exec, s[0:1]
	s_and_saveexec_b64 s[0:1], s[12:13]
	s_cbranch_execnz .LBB83_47
	s_branch .LBB83_48
.LBB83_55:
                                        ; implicit-def: $vgpr11
                                        ; implicit-def: $vgpr10
                                        ; implicit-def: $vgpr22
                                        ; implicit-def: $vgpr21
                                        ; implicit-def: $vgpr25
                                        ; implicit-def: $vgpr23
                                        ; implicit-def: $vgpr26
.LBB83_56:
	v_or_b32_e32 v10, 32, v2
	v_sub_co_u32_e32 v2, vcc, v8, v0
	s_ashr_i32 s25, s24, 31
	s_nop 0
	v_subbrev_co_u32_e32 v3, vcc, 0, v9, vcc
	s_movk_i32 s0, 0xff7c
	v_lshl_add_u64 v[2:3], s[24:25], 2, v[2:3]
	s_mov_b32 s1, -1
	v_lshl_add_u64 v[2:3], v[2:3], 0, s[0:1]
	v_cmp_gt_i32_e32 vcc, s24, v10
	v_mov_b32_e32 v1, 0
	v_cmp_gt_i32_e64 s[0:1], s24, v12
	v_cndmask_b32_e32 v3, v3, v9, vcc
	v_cndmask_b32_e32 v2, v2, v8, vcc
	v_mov_b32_e32 v10, 0
	s_and_saveexec_b64 s[8:9], s[0:1]
	s_cbranch_execz .LBB83_58
; %bb.57:
	global_load_dword v10, v[2:3], off
.LBB83_58:
	s_or_b64 exec, exec, s[8:9]
	s_movk_i32 s0, 0x84
	v_mad_u32_u24 v21, v12, s0, v0
	s_waitcnt vmcnt(0)
	ds_write_b32 v21, v10
	v_add_u32_e32 v10, 8, v12
	v_mul_u32_u24_e32 v11, 0x84, v12
	v_cmp_gt_i32_e64 s[0:1], s24, v10
	s_and_saveexec_b64 s[8:9], s[0:1]
	s_cbranch_execz .LBB83_60
; %bb.59:
	s_lshl_b32 s0, s20, 3
	s_ashr_i32 s1, s0, 31
	v_lshl_add_u64 v[22:23], s[0:1], 2, v[2:3]
	global_load_dword v1, v[22:23], off
.LBB83_60:
	s_or_b64 exec, exec, s[8:9]
	v_add_u32_e32 v22, 0x420, v11
	v_add_u32_e32 v21, v0, v22
	s_waitcnt vmcnt(0)
	ds_write_b32 v21, v1
	v_add_u32_e32 v21, 16, v12
	v_cmp_gt_i32_e64 s[0:1], s24, v21
	v_mov_b32_e32 v1, 0
	v_mov_b32_e32 v23, 0
	s_and_saveexec_b64 s[8:9], s[0:1]
	s_cbranch_execz .LBB83_62
; %bb.61:
	s_lshl_b32 s0, s20, 4
	s_ashr_i32 s1, s0, 31
	v_lshl_add_u64 v[26:27], s[0:1], 2, v[2:3]
	global_load_dword v23, v[26:27], off
.LBB83_62:
	s_or_b64 exec, exec, s[8:9]
	v_add_u32_e32 v25, 0x420, v22
	v_add_u32_e32 v26, v0, v25
	s_waitcnt vmcnt(0)
	ds_write_b32 v26, v23
	v_add_u32_e32 v23, 24, v12
	v_cmp_gt_i32_e64 s[0:1], s24, v23
	s_and_saveexec_b64 s[8:9], s[0:1]
	s_cbranch_execz .LBB83_64
; %bb.63:
	s_mul_i32 s0, s20, 24
	s_ashr_i32 s1, s0, 31
	v_lshl_add_u64 v[26:27], s[0:1], 2, v[2:3]
	global_load_dword v1, v[26:27], off
.LBB83_64:
	s_or_b64 exec, exec, s[8:9]
	v_add_u32_e32 v26, 0x420, v25
	v_add_u32_e32 v12, v0, v26
	s_waitcnt vmcnt(0)
	ds_write_b32 v12, v1
	v_mov_b32_e32 v1, 0
	v_lshl_add_u64 v[2:3], v[2:3], 0, v[0:1]
	s_lshl_b64 s[0:1], s[24:25], 2
	v_mov_b32_e32 v1, s1
	v_subrev_co_u32_e64 v2, s[0:1], s0, v2
	s_nop 1
	v_subb_co_u32_e64 v3, s[0:1], v3, v1, s[0:1]
	s_mov_b64 s[0:1], 0x84
	s_nop 0
	v_lshl_add_u64 v[2:3], v[2:3], 0, s[0:1]
	v_cndmask_b32_e32 v9, v3, v9, vcc
	v_cndmask_b32_e32 v8, v2, v8, vcc
.LBB83_65:
	v_add_u32_e32 v1, v0, v11
	s_waitcnt lgkmcnt(0)
	s_barrier
	v_add_u32_e32 v2, v0, v22
	ds_read_b32 v28, v1
	ds_read_b32 v22, v13 offset:4544
	ds_read_b32 v29, v2
	v_lshlrev_b32_e32 v1, 2, v10
	v_add_u32_e32 v2, v0, v25
	v_lshlrev_b32_e32 v3, 2, v21
	v_add_u32_e32 v0, v0, v26
	v_lshlrev_b32_e32 v10, 2, v23
	ds_read_b32 v23, v1 offset:4544
	ds_read_b32 v26, v2
	ds_read_b32 v30, v3 offset:4544
	ds_read_b32 v27, v0
	ds_read_b32 v31, v10 offset:4544
	v_lshl_add_u32 v12, v13, 2, v15
	ds_read2_b32 v[10:11], v12 offset1:1
	ds_read_b128 v[0:3], v20 offset:128
	s_waitcnt lgkmcnt(6)
	v_pk_mul_f32 v[20:21], v[28:29], v[22:23]
	ds_read2_b32 v[12:13], v12 offset0:2 offset1:3
	v_add_f32_e32 v20, 0, v20
	s_waitcnt lgkmcnt(3)
	v_pk_mul_f32 v[22:23], v[26:27], v[30:31]
	v_add_f32_e32 v20, v20, v21
	v_add_f32_e32 v20, v20, v22
	;; [unrolled: 1-line block ×3, first 2 shown]
	s_waitcnt lgkmcnt(0)
	s_barrier
	ds_write_b32 v19, v20
	s_waitcnt lgkmcnt(0)
	s_barrier
	s_and_saveexec_b64 s[0:1], s[6:7]
	s_cbranch_execz .LBB83_67
; %bb.66:
	ds_read2_b32 v[20:21], v15 offset1:1
	ds_read2_b32 v[22:23], v15 offset0:2 offset1:3
	ds_read2_b32 v[26:27], v15 offset0:4 offset1:5
	;; [unrolled: 1-line block ×3, first 2 shown]
	s_waitcnt lgkmcnt(3)
	v_add_f32_e32 v20, v24, v20
	v_add_f32_e32 v20, v20, v21
	s_waitcnt lgkmcnt(2)
	v_add_f32_e32 v20, v20, v22
	v_add_f32_e32 v20, v20, v23
	;; [unrolled: 3-line block ×4, first 2 shown]
.LBB83_67:
	s_or_b64 exec, exec, s[0:1]
	v_fma_f32 v0, v10, v0, 0
	v_fmac_f32_e32 v0, v11, v1
	v_fmac_f32_e32 v0, v12, v2
	;; [unrolled: 1-line block ×3, first 2 shown]
	s_barrier
	ds_write_b32 v19, v0
	s_waitcnt lgkmcnt(0)
	s_barrier
	s_and_saveexec_b64 s[0:1], s[4:5]
	s_cbranch_execz .LBB83_69
; %bb.68:
	ds_read2_b32 v[0:1], v15 offset1:1
	ds_read2_b32 v[2:3], v15 offset0:2 offset1:3
	ds_read2_b32 v[10:11], v15 offset0:4 offset1:5
	;; [unrolled: 1-line block ×3, first 2 shown]
	s_waitcnt lgkmcnt(3)
	v_add_f32_e32 v0, v24, v0
	v_add_f32_e32 v0, v0, v1
	s_waitcnt lgkmcnt(2)
	v_add_f32_e32 v0, v0, v2
	v_add_f32_e32 v0, v0, v3
	;; [unrolled: 3-line block ×4, first 2 shown]
.LBB83_69:
	s_or_b64 exec, exec, s[0:1]
	s_mul_hi_u32 s0, s38, s3
	s_mul_i32 s40, s40, s3
	s_add_i32 s0, s0, s40
	s_mul_i32 s3, s38, s3
	s_mul_i32 s0, s0, s39
	s_mul_hi_u32 s1, s3, s39
	s_add_i32 s1, s1, s0
	s_mul_i32 s0, s3, s39
	s_lshl_b64 s[0:1], s[0:1], 2
	s_add_u32 s3, s22, s0
	s_mul_i32 s0, s38, s2
	s_addc_u32 s4, s23, s1
	s_ashr_i32 s1, s0, 31
	s_lshl_b64 s[0:1], s[0:1], 2
	s_add_u32 s6, s3, s0
	v_cmp_le_i32_e32 vcc, s24, v18
	s_addc_u32 s7, s4, s1
	s_and_b64 vcc, s[30:31], vcc
	s_cmp_lt_i32 s2, 1
	v_lshlrev_b32_e32 v25, 2, v18
	s_barrier
	s_cbranch_scc1 .LBB83_76
; %bb.70:
	s_mul_i32 s0, s33, s26
	s_ashr_i32 s1, s0, 31
	s_lshl_b64 s[0:1], s[0:1], 2
	v_mov_b32_e32 v0, s1
	v_subrev_co_u32_e64 v20, s[0:1], s0, v4
	s_ashr_i32 s25, s24, 31
	s_nop 0
	v_subb_co_u32_e64 v21, s[0:1], v5, v0, s[0:1]
	s_lshl_b64 s[0:1], s[28:29], 2
	s_nop 0
	v_mov_b32_e32 v0, s1
	v_subrev_co_u32_e64 v2, s[0:1], s0, v8
	v_and_b32_e32 v4, 15, v18
	s_nop 0
	v_subb_co_u32_e64 v3, s[0:1], v9, v0, s[0:1]
	v_lshlrev_b64 v[0:1], 2, v[6:7]
	v_sub_co_u32_e64 v0, s[0:1], v2, v0
	v_mul_lo_u32 v2, v17, s20
	s_nop 0
	v_subb_co_u32_e64 v1, s[0:1], v3, v1, s[0:1]
	v_lshl_add_u32 v2, v2, 2, v18
	v_ashrrev_i32_e32 v3, 31, v2
	s_movk_i32 s0, 0xff80
	v_lshl_add_u64 v[0:1], v[2:3], 2, v[0:1]
	s_mov_b32 s1, -1
	v_lshl_add_u64 v[2:3], v[0:1], 0, s[0:1]
	v_sub_co_u32_e64 v0, s[0:1], v0, v25
	s_ashr_i32 s21, s20, 31
	s_nop 0
	v_subbrev_co_u32_e64 v1, s[0:1], 0, v1, s[0:1]
	s_movk_i32 s0, 0xff7c
	v_lshl_add_u64 v[0:1], s[24:25], 2, v[0:1]
	s_mov_b32 s1, -1
	v_lshl_add_u64 v[0:1], v[0:1], 0, s[0:1]
	v_cndmask_b32_e32 v22, v2, v0, vcc
	s_movk_i32 s0, 0x430
	v_lshrrev_b32_e32 v2, 2, v14
	v_mad_u32_u24 v29, v17, s0, v25
	s_movk_i32 s0, 0x10c
	v_and_b32_e32 v2, 0x7ffc, v2
	v_mad_u32_u24 v30, v4, s0, v2
	v_and_b32_e32 v2, 48, v18
	v_mov_b32_e32 v0, 0x10c0
	v_lshlrev_b32_e32 v2, 2, v2
	v_cndmask_b32_e32 v23, v3, v1, vcc
	v_lshl_add_u32 v27, v17, 4, v0
	v_mul_u32_u24_e32 v0, 0x10c, v4
	v_and_b32_e32 v1, 0x1fff0, v14
	v_mad_u32_u24 v31, v4, s0, v2
	v_or_b32_e32 v2, 60, v25
	v_mov_b32_e32 v19, 0
	s_lshl_b32 s3, s33, 6
	v_add_u32_e32 v26, 0x10c0, v25
	v_add_u32_e32 v28, 0x11c0, v25
	v_cmp_gt_u32_e64 s[4:5], 64, v14
	v_mad_u32_u24 v32, v4, s0, v2
	s_lshl_b64 s[0:1], s[20:21], 2
	s_lshl_b64 s[8:9], s[20:21], 8
	;; [unrolled: 1-line block ×3, first 2 shown]
	s_mul_hi_i32 s13, s20, 12
	s_mul_i32 s12, s20, 12
	s_mul_hi_i32 s15, s20, 0x48
	s_mul_i32 s14, s20, 0x48
	;; [unrolled: 2-line block ×10, first 2 shown]
	s_lshl_b64 s[40:41], s[20:21], 7
	s_mul_hi_i32 s43, s20, 0x44
	s_mul_i32 s42, s20, 0x44
	s_lshl_b64 s[20:21], s[20:21], 6
	s_mov_b32 s44, 0
	v_add_u32_e32 v33, v0, v1
	s_branch .LBB83_72
.LBB83_71:                              ;   in Loop: Header=BB83_72 Depth=1
	s_or_b64 exec, exec, s[46:47]
	v_fmac_f32_e32 v24, v37, v0
	v_fmac_f32_e32 v24, v36, v1
	;; [unrolled: 1-line block ×15, first 2 shown]
	s_add_i32 s2, s2, -1
	s_add_i32 s44, s44, s3
	v_fmac_f32_e32 v24, v46, v15
	v_lshl_add_u64 v[22:23], v[22:23], 0, s[8:9]
	s_cmp_eq_u32 s2, 0
	v_add_u32_e32 v18, 64, v18
	s_barrier
	s_cbranch_scc1 .LBB83_76
.LBB83_72:                              ; =>This Inner Loop Header: Depth=1
	s_and_saveexec_b64 s[46:47], s[18:19]
	s_cbranch_execz .LBB83_74
; %bb.73:                               ;   in Loop: Header=BB83_72 Depth=1
	s_ashr_i32 s45, s44, 31
	v_lshl_add_u64 v[0:1], s[44:45], 2, v[20:21]
	global_load_dword v0, v[0:1], off
	s_waitcnt vmcnt(0)
	ds_write_b32 v26, v0
.LBB83_74:                              ;   in Loop: Header=BB83_72 Depth=1
	s_or_b64 exec, exec, s[46:47]
	s_waitcnt lgkmcnt(0)
	s_barrier
	v_lshl_add_u64 v[0:1], v[22:23], 0, s[0:1]
	v_lshl_add_u64 v[2:3], v[22:23], 0, s[10:11]
	;; [unrolled: 1-line block ×3, first 2 shown]
	global_load_dword v37, v[22:23], off
	global_load_dword v36, v[0:1], off
	;; [unrolled: 1-line block ×4, first 2 shown]
	ds_read_b32 v12, v28
	ds_read_b128 v[0:3], v27
	v_lshl_add_u64 v[4:5], v[22:23], 0, s[20:21]
	v_lshl_add_u64 v[6:7], v[22:23], 0, s[42:43]
	;; [unrolled: 1-line block ×10, first 2 shown]
	s_waitcnt vmcnt(3) lgkmcnt(1)
	v_mul_f32_e32 v13, v37, v12
	s_waitcnt vmcnt(2)
	v_mul_f32_e32 v14, v36, v12
	s_waitcnt vmcnt(1)
	;; [unrolled: 2-line block ×3, first 2 shown]
	v_mul_f32_e32 v12, v34, v12
	ds_write2_b32 v29, v13, v14 offset1:67
	ds_write2_b32 v29, v15, v12 offset0:134 offset1:201
	s_waitcnt lgkmcnt(0)
	s_barrier
	ds_read2_b32 v[12:13], v33 offset1:1
	ds_read2_b32 v[14:15], v33 offset0:2 offset1:3
	s_waitcnt lgkmcnt(0)
	s_barrier
	global_load_dword v41, v[4:5], off
	global_load_dword v40, v[6:7], off
	;; [unrolled: 1-line block ×4, first 2 shown]
	ds_read_b32 v42, v28
	ds_read_b128 v[4:7], v27 offset:64
	v_lshl_add_u64 v[8:9], v[22:23], 0, s[40:41]
	v_lshl_add_u64 v[10:11], v[22:23], 0, s[38:39]
	v_add_f32_e32 v12, 0, v12
	v_add_f32_e32 v12, v12, v13
	;; [unrolled: 1-line block ×3, first 2 shown]
	s_waitcnt vmcnt(3) lgkmcnt(1)
	v_mul_f32_e32 v43, v41, v42
	s_waitcnt vmcnt(2)
	v_mul_f32_e32 v44, v40, v42
	s_waitcnt vmcnt(1)
	;; [unrolled: 2-line block ×3, first 2 shown]
	v_mul_f32_e32 v42, v38, v42
	ds_write2_b32 v29, v43, v44 offset1:67
	ds_write2_b32 v29, v45, v42 offset0:134 offset1:201
	s_waitcnt lgkmcnt(0)
	s_barrier
	ds_read2_b32 v[50:51], v33 offset1:1
	ds_read2_b32 v[52:53], v33 offset0:2 offset1:3
	s_waitcnt lgkmcnt(0)
	s_barrier
	global_load_dword v45, v[8:9], off
	global_load_dword v44, v[10:11], off
	;; [unrolled: 1-line block ×4, first 2 shown]
	ds_read_b32 v46, v28
	ds_read_b128 v[8:11], v27 offset:128
	s_waitcnt vmcnt(3) lgkmcnt(1)
	v_mul_f32_e32 v47, v45, v46
	s_waitcnt vmcnt(2)
	v_mul_f32_e32 v48, v44, v46
	s_waitcnt vmcnt(1)
	;; [unrolled: 2-line block ×3, first 2 shown]
	v_mul_f32_e32 v46, v42, v46
	ds_write2_b32 v29, v47, v48 offset1:67
	ds_write2_b32 v29, v49, v46 offset0:134 offset1:201
	s_waitcnt lgkmcnt(0)
	s_barrier
	ds_read2_b32 v[62:63], v33 offset1:1
	ds_read2_b32 v[64:65], v33 offset0:2 offset1:3
	s_waitcnt lgkmcnt(0)
	s_barrier
	global_load_dword v49, v[54:55], off
	global_load_dword v48, v[56:57], off
	;; [unrolled: 1-line block ×4, first 2 shown]
	v_add_f32_e32 v54, v12, v15
	v_add_f32_e32 v12, 0, v50
	v_add_f32_e32 v12, v12, v51
	v_add_f32_e32 v12, v12, v52
	v_add_f32_e32 v55, v12, v53
	ds_read_b32 v50, v28
	ds_read_b128 v[12:15], v27 offset:192
	v_add_f32_e32 v51, 0, v62
	v_add_f32_e32 v51, v51, v63
	;; [unrolled: 1-line block ×4, first 2 shown]
	s_waitcnt vmcnt(3) lgkmcnt(1)
	v_mul_f32_e32 v51, v49, v50
	s_waitcnt vmcnt(2)
	v_mul_f32_e32 v52, v48, v50
	s_waitcnt vmcnt(1)
	;; [unrolled: 2-line block ×3, first 2 shown]
	v_mul_f32_e32 v50, v46, v50
	ds_write2_b32 v29, v51, v52 offset1:67
	ds_write2_b32 v29, v53, v50 offset0:134 offset1:201
	s_waitcnt lgkmcnt(0)
	s_barrier
	ds_read2_b32 v[50:51], v33 offset1:1
	ds_read2_b32 v[52:53], v33 offset0:2 offset1:3
	s_waitcnt lgkmcnt(0)
	s_barrier
	v_add_f32_e32 v50, 0, v50
	v_add_f32_e32 v50, v50, v51
	;; [unrolled: 1-line block ×4, first 2 shown]
	ds_write2_b32 v30, v54, v55 offset1:16
	ds_write2_b32 v30, v56, v50 offset0:32 offset1:48
	s_waitcnt lgkmcnt(0)
	s_barrier
	s_and_saveexec_b64 s[46:47], s[4:5]
	s_cbranch_execz .LBB83_71
; %bb.75:                               ;   in Loop: Header=BB83_72 Depth=1
	ds_read2_b32 v[50:51], v31 offset1:1
	ds_read2_b32 v[52:53], v31 offset0:2 offset1:3
	ds_read2_b32 v[54:55], v31 offset0:4 offset1:5
	;; [unrolled: 1-line block ×4, first 2 shown]
	s_waitcnt lgkmcnt(4)
	v_add_f32_e32 v50, v50, v51
	s_waitcnt lgkmcnt(3)
	v_add_f32_e32 v50, v50, v52
	v_add_f32_e32 v50, v50, v53
	s_waitcnt lgkmcnt(2)
	v_add_f32_e32 v50, v50, v54
	;; [unrolled: 3-line block ×3, first 2 shown]
	v_add_f32_e32 v54, v50, v57
	ds_read2_b32 v[50:51], v31 offset0:10 offset1:11
	ds_read2_b32 v[52:53], v31 offset0:12 offset1:13
	ds_read_b32 v55, v31 offset:56
	s_waitcnt lgkmcnt(3)
	v_add_f32_e32 v54, v54, v58
	v_add_f32_e32 v54, v54, v59
	s_waitcnt lgkmcnt(2)
	v_add_f32_e32 v50, v54, v50
	ds_read_b32 v54, v32
	v_add_f32_e32 v50, v50, v51
	s_waitcnt lgkmcnt(2)
	v_add_f32_e32 v50, v50, v52
	v_add_f32_e32 v50, v50, v53
	s_waitcnt lgkmcnt(1)
	v_add_f32_e32 v50, v50, v55
	s_waitcnt lgkmcnt(0)
	v_add_f32_e32 v52, v50, v54
	v_lshl_add_u64 v[50:51], v[18:19], 2, s[6:7]
	global_store_dword v[50:51], v52, off
	s_branch .LBB83_71
.LBB83_76:
	s_movk_i32 s0, 0x10c
	v_mad_u32_u24 v0, v17, s0, v25
	s_nor_b64 s[0:1], s[16:17], vcc
	ds_write_b32 v0, v24
	s_waitcnt lgkmcnt(0)
	s_barrier
	s_and_saveexec_b64 s[2:3], s[0:1]
	s_cbranch_execz .LBB83_78
; %bb.77:
	ds_read2_b32 v[0:1], v25 offset1:67
	ds_read2_b32 v[2:3], v25 offset0:134 offset1:201
	v_ashrrev_i32_e32 v17, 31, v16
	s_waitcnt lgkmcnt(1)
	v_add_f32_e32 v0, v0, v1
	s_waitcnt lgkmcnt(0)
	v_add_f32_e32 v0, v0, v2
	v_add_f32_e32 v2, v0, v3
	v_lshl_add_u64 v[0:1], v[16:17], 2, s[6:7]
	global_store_dword v[0:1], v2, off
.LBB83_78:
	s_endpgm
	.section	.rodata,"a",@progbits
	.p2align	6, 0x0
	.amdhsa_kernel _ZL26rocblas_hemvn_kernel_lowerILb0ELi64ELi4ELi33ELi32ELi16EiPKfS1_PfEviT6_lT7_lT5_lS4_lS5_lS3_lT8_i
		.amdhsa_group_segment_fixed_size 4800
		.amdhsa_private_segment_fixed_size 0
		.amdhsa_kernarg_size 376
		.amdhsa_user_sgpr_count 2
		.amdhsa_user_sgpr_dispatch_ptr 0
		.amdhsa_user_sgpr_queue_ptr 0
		.amdhsa_user_sgpr_kernarg_segment_ptr 1
		.amdhsa_user_sgpr_dispatch_id 0
		.amdhsa_user_sgpr_kernarg_preload_length 0
		.amdhsa_user_sgpr_kernarg_preload_offset 0
		.amdhsa_user_sgpr_private_segment_size 0
		.amdhsa_uses_dynamic_stack 0
		.amdhsa_enable_private_segment 0
		.amdhsa_system_sgpr_workgroup_id_x 1
		.amdhsa_system_sgpr_workgroup_id_y 0
		.amdhsa_system_sgpr_workgroup_id_z 1
		.amdhsa_system_sgpr_workgroup_info 0
		.amdhsa_system_vgpr_workitem_id 1
		.amdhsa_next_free_vgpr 66
		.amdhsa_next_free_sgpr 48
		.amdhsa_accum_offset 68
		.amdhsa_reserve_vcc 1
		.amdhsa_float_round_mode_32 0
		.amdhsa_float_round_mode_16_64 0
		.amdhsa_float_denorm_mode_32 3
		.amdhsa_float_denorm_mode_16_64 3
		.amdhsa_dx10_clamp 1
		.amdhsa_ieee_mode 1
		.amdhsa_fp16_overflow 0
		.amdhsa_tg_split 0
		.amdhsa_exception_fp_ieee_invalid_op 0
		.amdhsa_exception_fp_denorm_src 0
		.amdhsa_exception_fp_ieee_div_zero 0
		.amdhsa_exception_fp_ieee_overflow 0
		.amdhsa_exception_fp_ieee_underflow 0
		.amdhsa_exception_fp_ieee_inexact 0
		.amdhsa_exception_int_div_zero 0
	.end_amdhsa_kernel
	.section	.text._ZL26rocblas_hemvn_kernel_lowerILb0ELi64ELi4ELi33ELi32ELi16EiPKfS1_PfEviT6_lT7_lT5_lS4_lS5_lS3_lT8_i,"axG",@progbits,_ZL26rocblas_hemvn_kernel_lowerILb0ELi64ELi4ELi33ELi32ELi16EiPKfS1_PfEviT6_lT7_lT5_lS4_lS5_lS3_lT8_i,comdat
.Lfunc_end83:
	.size	_ZL26rocblas_hemvn_kernel_lowerILb0ELi64ELi4ELi33ELi32ELi16EiPKfS1_PfEviT6_lT7_lT5_lS4_lS5_lS3_lT8_i, .Lfunc_end83-_ZL26rocblas_hemvn_kernel_lowerILb0ELi64ELi4ELi33ELi32ELi16EiPKfS1_PfEviT6_lT7_lT5_lS4_lS5_lS3_lT8_i
                                        ; -- End function
	.set _ZL26rocblas_hemvn_kernel_lowerILb0ELi64ELi4ELi33ELi32ELi16EiPKfS1_PfEviT6_lT7_lT5_lS4_lS5_lS3_lT8_i.num_vgpr, 66
	.set _ZL26rocblas_hemvn_kernel_lowerILb0ELi64ELi4ELi33ELi32ELi16EiPKfS1_PfEviT6_lT7_lT5_lS4_lS5_lS3_lT8_i.num_agpr, 0
	.set _ZL26rocblas_hemvn_kernel_lowerILb0ELi64ELi4ELi33ELi32ELi16EiPKfS1_PfEviT6_lT7_lT5_lS4_lS5_lS3_lT8_i.numbered_sgpr, 48
	.set _ZL26rocblas_hemvn_kernel_lowerILb0ELi64ELi4ELi33ELi32ELi16EiPKfS1_PfEviT6_lT7_lT5_lS4_lS5_lS3_lT8_i.num_named_barrier, 0
	.set _ZL26rocblas_hemvn_kernel_lowerILb0ELi64ELi4ELi33ELi32ELi16EiPKfS1_PfEviT6_lT7_lT5_lS4_lS5_lS3_lT8_i.private_seg_size, 0
	.set _ZL26rocblas_hemvn_kernel_lowerILb0ELi64ELi4ELi33ELi32ELi16EiPKfS1_PfEviT6_lT7_lT5_lS4_lS5_lS3_lT8_i.uses_vcc, 1
	.set _ZL26rocblas_hemvn_kernel_lowerILb0ELi64ELi4ELi33ELi32ELi16EiPKfS1_PfEviT6_lT7_lT5_lS4_lS5_lS3_lT8_i.uses_flat_scratch, 0
	.set _ZL26rocblas_hemvn_kernel_lowerILb0ELi64ELi4ELi33ELi32ELi16EiPKfS1_PfEviT6_lT7_lT5_lS4_lS5_lS3_lT8_i.has_dyn_sized_stack, 0
	.set _ZL26rocblas_hemvn_kernel_lowerILb0ELi64ELi4ELi33ELi32ELi16EiPKfS1_PfEviT6_lT7_lT5_lS4_lS5_lS3_lT8_i.has_recursion, 0
	.set _ZL26rocblas_hemvn_kernel_lowerILb0ELi64ELi4ELi33ELi32ELi16EiPKfS1_PfEviT6_lT7_lT5_lS4_lS5_lS3_lT8_i.has_indirect_call, 0
	.section	.AMDGPU.csdata,"",@progbits
; Kernel info:
; codeLenInByte = 5580
; TotalNumSgprs: 54
; NumVgprs: 66
; NumAgprs: 0
; TotalNumVgprs: 66
; ScratchSize: 0
; MemoryBound: 0
; FloatMode: 240
; IeeeMode: 1
; LDSByteSize: 4800 bytes/workgroup (compile time only)
; SGPRBlocks: 6
; VGPRBlocks: 8
; NumSGPRsForWavesPerEU: 54
; NumVGPRsForWavesPerEU: 66
; AccumOffset: 68
; Occupancy: 7
; WaveLimiterHint : 1
; COMPUTE_PGM_RSRC2:SCRATCH_EN: 0
; COMPUTE_PGM_RSRC2:USER_SGPR: 2
; COMPUTE_PGM_RSRC2:TRAP_HANDLER: 0
; COMPUTE_PGM_RSRC2:TGID_X_EN: 1
; COMPUTE_PGM_RSRC2:TGID_Y_EN: 0
; COMPUTE_PGM_RSRC2:TGID_Z_EN: 1
; COMPUTE_PGM_RSRC2:TIDIG_COMP_CNT: 1
; COMPUTE_PGM_RSRC3_GFX90A:ACCUM_OFFSET: 16
; COMPUTE_PGM_RSRC3_GFX90A:TG_SPLIT: 0
	.section	.text._ZL36rocblas_hemvn_kernel_lower_block_sumILi64EiPKfPffEviT1_lS3_lT2_lT0_lPT3_i,"axG",@progbits,_ZL36rocblas_hemvn_kernel_lower_block_sumILi64EiPKfPffEviT1_lS3_lT2_lT0_lPT3_i,comdat
	.globl	_ZL36rocblas_hemvn_kernel_lower_block_sumILi64EiPKfPffEviT1_lS3_lT2_lT0_lPT3_i ; -- Begin function _ZL36rocblas_hemvn_kernel_lower_block_sumILi64EiPKfPffEviT1_lS3_lT2_lT0_lPT3_i
	.p2align	8
	.type	_ZL36rocblas_hemvn_kernel_lower_block_sumILi64EiPKfPffEviT1_lS3_lT2_lT0_lPT3_i,@function
_ZL36rocblas_hemvn_kernel_lower_block_sumILi64EiPKfPffEviT1_lS3_lT2_lT0_lPT3_i: ; @_ZL36rocblas_hemvn_kernel_lower_block_sumILi64EiPKfPffEviT1_lS3_lT2_lT0_lPT3_i
; %bb.0:
	s_load_dwordx8 s[4:11], s[0:1], 0x8
	s_waitcnt lgkmcnt(0)
	s_mul_i32 s7, s7, s3
	s_mul_hi_u32 s12, s6, s3
	s_add_i32 s7, s12, s7
	s_mul_i32 s6, s6, s3
	s_lshl_b64 s[6:7], s[6:7], 2
	s_add_u32 s4, s4, s6
	s_addc_u32 s5, s5, s7
	s_load_dword s6, s[4:5], 0x0
	s_mul_i32 s4, s11, s3
	s_mul_hi_u32 s5, s10, s3
	s_add_i32 s5, s5, s4
	s_mul_i32 s4, s10, s3
	s_lshl_b64 s[4:5], s[4:5], 2
	s_add_u32 s4, s8, s4
	s_addc_u32 s5, s9, s5
	s_load_dword s7, s[4:5], 0x0
	s_waitcnt lgkmcnt(0)
	v_cmp_eq_f32_e64 s[4:5], s6, 0
	v_cmp_eq_f32_e64 s[8:9], s7, 1.0
	s_and_b64 s[4:5], s[4:5], s[8:9]
	s_and_b64 vcc, exec, s[4:5]
	s_cbranch_vccnz .LBB84_19
; %bb.1:
	s_load_dwordx2 s[4:5], s[0:1], 0x40
	s_load_dwordx4 s[8:11], s[0:1], 0x28
	s_load_dword s18, s[0:1], 0x38
	s_load_dword s12, s[0:1], 0x0
	v_lshl_or_b32 v3, s2, 6, v0
	s_waitcnt lgkmcnt(0)
	s_mul_i32 s5, s5, s3
	s_mul_hi_u32 s13, s4, s3
	s_add_i32 s5, s13, s5
	s_mul_i32 s4, s4, s3
	s_lshl_b64 s[4:5], s[4:5], 2
	s_add_u32 s8, s8, s4
	s_addc_u32 s9, s9, s5
	s_lshl_b64 s[4:5], s[10:11], 2
	s_add_u32 s8, s8, s4
	s_addc_u32 s9, s9, s5
	v_cmp_neq_f32_e64 s[4:5], s6, 0
	s_and_b64 vcc, exec, s[4:5]
	v_cmp_gt_i32_e64 s[4:5], s12, v3
	s_cbranch_vccnz .LBB84_6
; %bb.2:
	s_mov_b64 s[14:15], 0
	s_mov_b64 s[10:11], 0
                                        ; implicit-def: $vgpr4
                                        ; implicit-def: $vgpr0_vgpr1
	s_and_saveexec_b64 s[16:17], s[4:5]
	s_cbranch_execz .LBB84_7
; %bb.3:
	v_cmp_eq_f32_e64 s[4:5], s7, 0
	v_mul_lo_u32 v0, s18, v3
	v_mov_b32_e32 v4, 0
	v_ashrrev_i32_e32 v1, 31, v0
	s_and_b64 vcc, exec, s[4:5]
	s_cbranch_vccnz .LBB84_5
; %bb.4:
	v_lshl_add_u64 v[4:5], v[0:1], 2, s[8:9]
	global_load_dword v2, v[4:5], off
	s_waitcnt vmcnt(0)
	v_mul_f32_e32 v4, s7, v2
.LBB84_5:
	s_mov_b64 s[10:11], exec
	s_or_b64 exec, exec, s[16:17]
	s_and_b64 vcc, exec, s[14:15]
	s_cbranch_vccnz .LBB84_8
	s_branch .LBB84_17
.LBB84_6:
	s_mov_b64 s[10:11], 0
                                        ; implicit-def: $vgpr4
                                        ; implicit-def: $vgpr0_vgpr1
	s_cbranch_execnz .LBB84_8
	s_branch .LBB84_17
.LBB84_7:
	s_or_b64 exec, exec, s[16:17]
	s_and_b64 vcc, exec, s[14:15]
	s_cbranch_vccz .LBB84_17
.LBB84_8:
	v_cmp_gt_i32_e32 vcc, s12, v3
                                        ; implicit-def: $vgpr4
                                        ; implicit-def: $vgpr0_vgpr1
	s_and_saveexec_b64 s[4:5], vcc
	s_cbranch_execz .LBB84_16
; %bb.9:
	s_load_dword s14, s[0:1], 0x58
	v_mov_b32_e32 v2, 0
	s_waitcnt lgkmcnt(0)
	s_cmp_ge_i32 s2, s14
	s_cbranch_scc1 .LBB84_12
; %bb.10:
	s_ashr_i32 s13, s12, 31
	s_mul_i32 s15, s12, s2
	s_load_dwordx2 s[0:1], s[0:1], 0x48
	v_add_u32_e32 v0, s15, v3
	s_mul_hi_u32 s15, s12, s3
	s_mul_i32 s16, s13, s3
	s_add_i32 s15, s15, s16
	s_mul_i32 s3, s12, s3
	s_mul_i32 s15, s15, s14
	s_mul_hi_u32 s16, s3, s14
	s_add_i32 s17, s16, s15
	s_mul_i32 s16, s3, s14
	s_lshl_b64 s[16:17], s[16:17], 2
	s_waitcnt lgkmcnt(0)
	s_add_u32 s0, s0, s16
	v_ashrrev_i32_e32 v1, 31, v0
	s_addc_u32 s1, s1, s17
	v_lshl_add_u64 v[0:1], v[0:1], 2, s[0:1]
	s_lshl_b64 s[0:1], s[12:13], 2
	v_mov_b32_e32 v2, 0
.LBB84_11:                              ; =>This Inner Loop Header: Depth=1
	global_load_dword v4, v[0:1], off
	s_add_i32 s2, s2, 1
	v_lshl_add_u64 v[0:1], v[0:1], 0, s[0:1]
	s_cmp_ge_i32 s2, s14
	s_waitcnt vmcnt(0)
	v_add_f32_e32 v2, v2, v4
	s_cbranch_scc0 .LBB84_11
.LBB84_12:
	v_cmp_eq_f32_e64 s[0:1], s7, 0
	v_mul_lo_u32 v0, s18, v3
	s_and_b64 vcc, exec, s[0:1]
	v_ashrrev_i32_e32 v1, 31, v0
	s_cbranch_vccz .LBB84_20
; %bb.13:
	v_mul_f32_e32 v4, s6, v2
	s_cbranch_execnz .LBB84_15
.LBB84_14:
	v_lshl_add_u64 v[4:5], v[0:1], 2, s[8:9]
	global_load_dword v3, v[4:5], off
	s_waitcnt vmcnt(0)
	v_pk_mul_f32 v[2:3], s[6:7], v[2:3]
	s_nop 0
	v_add_f32_e32 v4, v2, v3
.LBB84_15:
	s_or_b64 s[10:11], s[10:11], exec
.LBB84_16:
	s_or_b64 exec, exec, s[4:5]
.LBB84_17:
	s_and_saveexec_b64 s[0:1], s[10:11]
	s_cbranch_execz .LBB84_19
; %bb.18:
	v_lshl_add_u64 v[0:1], v[0:1], 2, s[8:9]
	global_store_dword v[0:1], v4, off
.LBB84_19:
	s_endpgm
.LBB84_20:
                                        ; implicit-def: $vgpr4
	s_branch .LBB84_14
	.section	.rodata,"a",@progbits
	.p2align	6, 0x0
	.amdhsa_kernel _ZL36rocblas_hemvn_kernel_lower_block_sumILi64EiPKfPffEviT1_lS3_lT2_lT0_lPT3_i
		.amdhsa_group_segment_fixed_size 0
		.amdhsa_private_segment_fixed_size 0
		.amdhsa_kernarg_size 344
		.amdhsa_user_sgpr_count 2
		.amdhsa_user_sgpr_dispatch_ptr 0
		.amdhsa_user_sgpr_queue_ptr 0
		.amdhsa_user_sgpr_kernarg_segment_ptr 1
		.amdhsa_user_sgpr_dispatch_id 0
		.amdhsa_user_sgpr_kernarg_preload_length 0
		.amdhsa_user_sgpr_kernarg_preload_offset 0
		.amdhsa_user_sgpr_private_segment_size 0
		.amdhsa_uses_dynamic_stack 0
		.amdhsa_enable_private_segment 0
		.amdhsa_system_sgpr_workgroup_id_x 1
		.amdhsa_system_sgpr_workgroup_id_y 0
		.amdhsa_system_sgpr_workgroup_id_z 1
		.amdhsa_system_sgpr_workgroup_info 0
		.amdhsa_system_vgpr_workitem_id 0
		.amdhsa_next_free_vgpr 6
		.amdhsa_next_free_sgpr 19
		.amdhsa_accum_offset 8
		.amdhsa_reserve_vcc 1
		.amdhsa_float_round_mode_32 0
		.amdhsa_float_round_mode_16_64 0
		.amdhsa_float_denorm_mode_32 3
		.amdhsa_float_denorm_mode_16_64 3
		.amdhsa_dx10_clamp 1
		.amdhsa_ieee_mode 1
		.amdhsa_fp16_overflow 0
		.amdhsa_tg_split 0
		.amdhsa_exception_fp_ieee_invalid_op 0
		.amdhsa_exception_fp_denorm_src 0
		.amdhsa_exception_fp_ieee_div_zero 0
		.amdhsa_exception_fp_ieee_overflow 0
		.amdhsa_exception_fp_ieee_underflow 0
		.amdhsa_exception_fp_ieee_inexact 0
		.amdhsa_exception_int_div_zero 0
	.end_amdhsa_kernel
	.section	.text._ZL36rocblas_hemvn_kernel_lower_block_sumILi64EiPKfPffEviT1_lS3_lT2_lT0_lPT3_i,"axG",@progbits,_ZL36rocblas_hemvn_kernel_lower_block_sumILi64EiPKfPffEviT1_lS3_lT2_lT0_lPT3_i,comdat
.Lfunc_end84:
	.size	_ZL36rocblas_hemvn_kernel_lower_block_sumILi64EiPKfPffEviT1_lS3_lT2_lT0_lPT3_i, .Lfunc_end84-_ZL36rocblas_hemvn_kernel_lower_block_sumILi64EiPKfPffEviT1_lS3_lT2_lT0_lPT3_i
                                        ; -- End function
	.set _ZL36rocblas_hemvn_kernel_lower_block_sumILi64EiPKfPffEviT1_lS3_lT2_lT0_lPT3_i.num_vgpr, 6
	.set _ZL36rocblas_hemvn_kernel_lower_block_sumILi64EiPKfPffEviT1_lS3_lT2_lT0_lPT3_i.num_agpr, 0
	.set _ZL36rocblas_hemvn_kernel_lower_block_sumILi64EiPKfPffEviT1_lS3_lT2_lT0_lPT3_i.numbered_sgpr, 19
	.set _ZL36rocblas_hemvn_kernel_lower_block_sumILi64EiPKfPffEviT1_lS3_lT2_lT0_lPT3_i.num_named_barrier, 0
	.set _ZL36rocblas_hemvn_kernel_lower_block_sumILi64EiPKfPffEviT1_lS3_lT2_lT0_lPT3_i.private_seg_size, 0
	.set _ZL36rocblas_hemvn_kernel_lower_block_sumILi64EiPKfPffEviT1_lS3_lT2_lT0_lPT3_i.uses_vcc, 1
	.set _ZL36rocblas_hemvn_kernel_lower_block_sumILi64EiPKfPffEviT1_lS3_lT2_lT0_lPT3_i.uses_flat_scratch, 0
	.set _ZL36rocblas_hemvn_kernel_lower_block_sumILi64EiPKfPffEviT1_lS3_lT2_lT0_lPT3_i.has_dyn_sized_stack, 0
	.set _ZL36rocblas_hemvn_kernel_lower_block_sumILi64EiPKfPffEviT1_lS3_lT2_lT0_lPT3_i.has_recursion, 0
	.set _ZL36rocblas_hemvn_kernel_lower_block_sumILi64EiPKfPffEviT1_lS3_lT2_lT0_lPT3_i.has_indirect_call, 0
	.section	.AMDGPU.csdata,"",@progbits
; Kernel info:
; codeLenInByte = 612
; TotalNumSgprs: 25
; NumVgprs: 6
; NumAgprs: 0
; TotalNumVgprs: 6
; ScratchSize: 0
; MemoryBound: 0
; FloatMode: 240
; IeeeMode: 1
; LDSByteSize: 0 bytes/workgroup (compile time only)
; SGPRBlocks: 3
; VGPRBlocks: 0
; NumSGPRsForWavesPerEU: 25
; NumVGPRsForWavesPerEU: 6
; AccumOffset: 8
; Occupancy: 8
; WaveLimiterHint : 0
; COMPUTE_PGM_RSRC2:SCRATCH_EN: 0
; COMPUTE_PGM_RSRC2:USER_SGPR: 2
; COMPUTE_PGM_RSRC2:TRAP_HANDLER: 0
; COMPUTE_PGM_RSRC2:TGID_X_EN: 1
; COMPUTE_PGM_RSRC2:TGID_Y_EN: 0
; COMPUTE_PGM_RSRC2:TGID_Z_EN: 1
; COMPUTE_PGM_RSRC2:TIDIG_COMP_CNT: 0
; COMPUTE_PGM_RSRC3_GFX90A:ACCUM_OFFSET: 1
; COMPUTE_PGM_RSRC3_GFX90A:TG_SPLIT: 0
	.section	.text._ZL26rocblas_hemvn_kernel_lowerILb0ELi64ELi4ELi33ELi32ELi16ElfPKfPfEviT6_lT7_lT5_lS4_lS5_lS3_lT8_i,"axG",@progbits,_ZL26rocblas_hemvn_kernel_lowerILb0ELi64ELi4ELi33ELi32ELi16ElfPKfPfEviT6_lT7_lT5_lS4_lS5_lS3_lT8_i,comdat
	.globl	_ZL26rocblas_hemvn_kernel_lowerILb0ELi64ELi4ELi33ELi32ELi16ElfPKfPfEviT6_lT7_lT5_lS4_lS5_lS3_lT8_i ; -- Begin function _ZL26rocblas_hemvn_kernel_lowerILb0ELi64ELi4ELi33ELi32ELi16ElfPKfPfEviT6_lT7_lT5_lS4_lS5_lS3_lT8_i
	.p2align	8
	.type	_ZL26rocblas_hemvn_kernel_lowerILb0ELi64ELi4ELi33ELi32ELi16ElfPKfPfEviT6_lT7_lT5_lS4_lS5_lS3_lT8_i,@function
_ZL26rocblas_hemvn_kernel_lowerILb0ELi64ELi4ELi33ELi32ELi16ElfPKfPfEviT6_lT7_lT5_lS4_lS5_lS3_lT8_i: ; @_ZL26rocblas_hemvn_kernel_lowerILb0ELi64ELi4ELi33ELi32ELi16ElfPKfPfEviT6_lT7_lT5_lS4_lS5_lS3_lT8_i
; %bb.0:
	s_load_dwordx2 s[6:7], s[0:1], 0x7c
	s_add_u32 s4, s0, 0x70
	s_addc_u32 s5, s1, 0
	s_waitcnt lgkmcnt(0)
	s_lshr_b32 s8, s6, 16
	s_and_b32 s6, s6, 0xffff
	s_and_b32 s7, s7, 0xffff
	s_mul_i32 s6, s8, s6
	s_mul_i32 s6, s6, s7
	s_cmpk_lg_i32 s6, 0x100
	s_cbranch_scc1 .LBB85_78
; %bb.1:
	s_load_dwordx2 s[26:27], s[0:1], 0x0
	s_load_dword s8, s[0:1], 0x50
	s_waitcnt lgkmcnt(0)
	v_cmp_eq_f32_e64 s[6:7], s27, 0
	v_cmp_eq_f32_e64 s[8:9], s8, 1.0
	s_and_b64 s[8:9], s[6:7], s[8:9]
	s_and_b64 vcc, exec, s[8:9]
	s_cbranch_vccnz .LBB85_78
; %bb.2:
	s_and_b64 vcc, exec, s[6:7]
	s_cbranch_vccnz .LBB85_78
; %bb.3:
	s_load_dwordx16 s[36:51], s[0:1], 0x10
	s_load_dword s27, s[4:5], 0x0
	v_and_b32_e32 v27, 0x3ff, v0
	v_bfe_u32 v26, v0, 10, 10
	v_cmp_eq_u32_e64 s[18:19], 0, v26
	s_waitcnt lgkmcnt(0)
	s_mul_i32 s5, s51, s3
	s_mul_hi_u32 s6, s50, s3
	s_mul_i32 s4, s50, s3
	s_add_i32 s5, s6, s5
	s_lshl_b64 s[4:5], s[4:5], 2
	s_add_u32 s6, s44, s4
	s_addc_u32 s7, s45, s5
	s_lshl_b64 s[4:5], s[46:47], 2
	s_add_u32 s4, s6, s4
	s_addc_u32 s5, s7, s5
	s_ashr_i32 s33, s26, 31
	s_lshr_b32 s7, s33, 26
	s_add_i32 s7, s26, s7
	s_lshl_b32 s28, s2, 6
	s_andn2_b32 s7, s7, 63
	s_add_i32 s6, s27, -1
	s_sub_i32 s7, s26, s7
	v_add_u32_e32 v16, s28, v27
	s_cmp_eq_u32 s2, s6
	v_ashrrev_i32_e32 v17, 31, v16
	s_cselect_b32 s24, s7, 0
	v_mul_lo_u32 v2, s48, v17
	v_mul_lo_u32 v3, s49, v16
	v_mad_u64_u32 v[0:1], s[6:7], s48, v16, 0
	v_add3_u32 v1, v1, v2, v3
	v_lshl_add_u64 v[4:5], v[0:1], 2, s[4:5]
	v_cmp_ne_u32_e64 s[4:5], 0, v26
	s_and_saveexec_b64 s[6:7], s[18:19]
	s_cbranch_execz .LBB85_7
; %bb.4:
	s_cmp_eq_u32 s24, 0
	s_cselect_b64 s[8:9], -1, 0
	v_cmp_gt_i32_e32 vcc, s24, v27
	s_or_b64 s[10:11], s[8:9], vcc
	v_mov_b32_e32 v0, 0
	s_and_saveexec_b64 s[8:9], s[10:11]
	s_cbranch_execz .LBB85_6
; %bb.5:
	global_load_dword v0, v[4:5], off
.LBB85_6:
	s_or_b64 exec, exec, s[8:9]
	v_lshlrev_b32_e32 v1, 2, v27
	s_waitcnt vmcnt(0)
	ds_write_b32 v1, v0 offset:4544
.LBB85_7:
	s_or_b64 exec, exec, s[6:7]
	s_mul_i32 s6, s43, s3
	s_mul_hi_u32 s7, s42, s3
	s_add_i32 s7, s7, s6
	s_mul_i32 s6, s42, s3
	s_lshl_b64 s[6:7], s[6:7], 2
	s_add_u32 s8, s36, s6
	s_addc_u32 s9, s37, s7
	s_lshl_b64 s[6:7], s[38:39], 2
	s_add_u32 s8, s8, s6
	s_addc_u32 s9, s9, s7
	s_ashr_i32 s29, s28, 31
	v_lshl_add_u32 v14, v26, 6, v27
	s_lshl_b64 s[6:7], s[28:29], 2
	v_and_b32_e32 v0, 31, v27
	v_lshrrev_b32_e32 v12, 5, v14
	s_add_u32 s6, s8, s6
	v_mov_b32_e32 v1, 0
	s_addc_u32 s7, s9, s7
	v_mad_u64_u32 v[6:7], s[8:9], s40, v12, v[0:1]
	v_mov_b32_e32 v2, v7
	v_mad_u64_u32 v[2:3], s[8:9], s41, v12, v[2:3]
	v_mov_b32_e32 v7, v2
	v_lshl_add_u64 v[2:3], v[6:7], 2, s[6:7]
	s_mul_hi_u32 s6, s40, s28
	s_mul_i32 s7, s40, s29
	s_add_i32 s6, s6, s7
	s_mul_i32 s7, s41, s28
	s_add_i32 s31, s6, s7
	s_cmp_lg_u32 s24, 0
	s_mul_i32 s30, s40, s28
	s_cselect_b64 s[34:35], -1, 0
	s_cmp_eq_u32 s24, 0
	v_lshl_add_u64 v[2:3], s[30:31], 2, v[2:3]
	s_cselect_b64 s[20:21], -1, 0
	s_mov_b64 s[6:7], -1
	s_and_b64 vcc, exec, s[34:35]
	s_cbranch_vccnz .LBB85_9
; %bb.8:
	s_lshl_b64 s[6:7], s[40:41], 5
	v_lshl_add_u64 v[8:9], v[2:3], 0, s[6:7]
	v_lshl_add_u64 v[10:11], v[8:9], 0, s[6:7]
	;; [unrolled: 1-line block ×3, first 2 shown]
	global_load_dword v1, v[2:3], off
	global_load_dword v13, v[8:9], off
	;; [unrolled: 1-line block ×4, first 2 shown]
	v_mul_u32_u24_e32 v8, 0x84, v12
	v_lshl_add_u32 v8, v0, 2, v8
	s_mov_b64 s[6:7], 0
	s_waitcnt vmcnt(3)
	ds_write_b32 v8, v1
	s_waitcnt vmcnt(2)
	ds_write_b32 v8, v13 offset:1056
	s_waitcnt vmcnt(1)
	ds_write_b32 v8, v15 offset:2112
	;; [unrolled: 2-line block ×3, first 2 shown]
.LBB85_9:
	s_andn2_b64 vcc, exec, s[6:7]
	s_cbranch_vccnz .LBB85_19
; %bb.10:
	v_lshlrev_b32_e32 v8, 2, v0
	v_sub_co_u32_e32 v10, vcc, v2, v8
	s_ashr_i32 s25, s24, 31
	s_nop 0
	v_subbrev_co_u32_e32 v11, vcc, 0, v3, vcc
	v_lshl_add_u64 v[10:11], s[24:25], 2, v[10:11]
	v_lshl_add_u64 v[10:11], v[10:11], 0, -4
	v_cmp_gt_i32_e32 vcc, s24, v0
	v_mov_b32_e32 v13, 0
	v_cmp_gt_i32_e64 s[6:7], s24, v12
	v_cndmask_b32_e32 v11, v11, v3, vcc
	v_cndmask_b32_e32 v10, v10, v2, vcc
	v_mov_b32_e32 v15, 0
	s_and_saveexec_b64 s[8:9], s[6:7]
	s_cbranch_execz .LBB85_12
; %bb.11:
	global_load_dword v15, v[10:11], off
.LBB85_12:
	s_or_b64 exec, exec, s[8:9]
	v_lshlrev_b32_e32 v1, 2, v0
	s_movk_i32 s6, 0x84
	v_mad_u32_u24 v18, v12, s6, v1
	s_waitcnt vmcnt(0)
	ds_write_b32 v18, v15
	v_add_u32_e32 v15, 8, v12
	v_mul_u32_u24_e32 v9, 0x84, v12
	v_cmp_gt_i32_e64 s[6:7], s24, v15
	s_and_saveexec_b64 s[8:9], s[6:7]
	s_cbranch_execz .LBB85_14
; %bb.13:
	s_lshl_b64 s[6:7], s[40:41], 5
	v_lshl_add_u64 v[18:19], v[10:11], 0, s[6:7]
	global_load_dword v13, v[18:19], off
.LBB85_14:
	s_or_b64 exec, exec, s[8:9]
	v_add_u32_e32 v1, v9, v1
	v_add_u32_e32 v9, 16, v12
	s_waitcnt vmcnt(0)
	ds_write_b32 v1, v13 offset:1056
	v_cmp_gt_i32_e64 s[6:7], s24, v9
	v_mov_b32_e32 v9, 0
	v_mov_b32_e32 v13, 0
	s_and_saveexec_b64 s[8:9], s[6:7]
	s_cbranch_execz .LBB85_16
; %bb.15:
	s_lshl_b64 s[6:7], s[40:41], 6
	v_lshl_add_u64 v[18:19], v[10:11], 0, s[6:7]
	global_load_dword v13, v[18:19], off
.LBB85_16:
	s_or_b64 exec, exec, s[8:9]
	s_waitcnt vmcnt(0)
	ds_write_b32 v1, v13 offset:2112
	v_add_u32_e32 v13, 24, v12
	v_cmp_gt_i32_e64 s[6:7], s24, v13
	s_and_saveexec_b64 s[8:9], s[6:7]
	s_cbranch_execz .LBB85_18
; %bb.17:
	v_mov_b32_e32 v9, 0x60
	v_mad_u64_u32 v[18:19], s[6:7], s40, v9, v[10:11]
	s_mul_i32 s6, s41, 0x60
	s_nop 0
	v_add_u32_e32 v19, s6, v19
	global_load_dword v9, v[18:19], off
.LBB85_18:
	s_or_b64 exec, exec, s[8:9]
	s_waitcnt vmcnt(0)
	ds_write_b32 v1, v9 offset:3168
	v_mov_b32_e32 v9, 0
	v_lshl_add_u64 v[8:9], v[10:11], 0, v[8:9]
	s_lshl_b64 s[6:7], s[24:25], 2
	v_mov_b32_e32 v1, s7
	v_subrev_co_u32_e64 v8, s[6:7], s6, v8
	s_nop 1
	v_subb_co_u32_e64 v9, s[6:7], v9, v1, s[6:7]
	v_lshl_add_u64 v[8:9], v[8:9], 0, 4
	v_cndmask_b32_e32 v3, v9, v3, vcc
	v_cndmask_b32_e32 v2, v8, v2, vcc
.LBB85_19:
	v_lshlrev_b32_e32 v13, 2, v12
	v_lshlrev_b32_e32 v15, 2, v0
	v_lshl_or_b32 v8, v0, 7, v15
	v_cmp_lt_u32_e64 s[8:9], v13, v0
	s_waitcnt lgkmcnt(0)
	s_barrier
	s_and_saveexec_b64 s[6:7], s[8:9]
	s_cbranch_execz .LBB85_21
; %bb.20:
	s_movk_i32 s10, 0x210
	v_mad_u32_u24 v1, v12, s10, v15
	ds_read_b32 v1, v1
	v_lshl_add_u32 v9, v13, 2, v8
	s_waitcnt lgkmcnt(0)
	ds_write_b32 v9, v1
.LBB85_21:
	s_or_b64 exec, exec, s[6:7]
	v_or_b32_e32 v1, 1, v13
	v_cmp_lt_u32_e64 s[10:11], v1, v0
	s_and_saveexec_b64 s[6:7], s[10:11]
	s_cbranch_execz .LBB85_23
; %bb.22:
	s_movk_i32 s12, 0x84
	v_mad_u32_u24 v9, v1, s12, v15
	ds_read_b32 v9, v9
	v_lshl_add_u32 v10, v13, 2, v8
	s_waitcnt lgkmcnt(0)
	ds_write_b32 v10, v9 offset:4
.LBB85_23:
	s_or_b64 exec, exec, s[6:7]
	v_or_b32_e32 v9, 2, v13
	v_cmp_lt_u32_e64 s[12:13], v9, v0
	s_and_saveexec_b64 s[6:7], s[12:13]
	s_cbranch_execz .LBB85_25
; %bb.24:
	s_movk_i32 s14, 0x84
	v_mad_u32_u24 v9, v9, s14, v15
	ds_read_b32 v9, v9
	v_lshl_add_u32 v10, v13, 2, v8
	s_waitcnt lgkmcnt(0)
	ds_write_b32 v10, v9 offset:8
.LBB85_25:
	s_or_b64 exec, exec, s[6:7]
	v_or_b32_e32 v10, 3, v13
	v_cmp_lt_u32_e64 s[14:15], v10, v0
	v_cmp_ge_u32_e32 vcc, v10, v0
                                        ; implicit-def: $vgpr9
	s_and_saveexec_b64 s[6:7], vcc
	s_xor_b64 s[6:7], exec, s[6:7]
; %bb.26:
	v_mul_u32_u24_e32 v9, 0x84, v10
                                        ; implicit-def: $vgpr8
                                        ; implicit-def: $vgpr10
; %bb.27:
	s_andn2_saveexec_b64 s[6:7], s[6:7]
	s_cbranch_execz .LBB85_29
; %bb.28:
	s_movk_i32 s16, 0x84
	v_mad_u32_u24 v9, v10, s16, v15
	ds_read_b32 v11, v9
	v_lshl_add_u32 v8, v13, 2, v8
	v_mul_u32_u24_e32 v9, 0x84, v10
	s_waitcnt lgkmcnt(0)
	ds_write_b32 v8, v11 offset:12
.LBB85_29:
	s_or_b64 exec, exec, s[6:7]
	s_movk_i32 s6, 0x210
	v_mad_u32_u24 v8, v12, s6, v15
	s_movk_i32 s6, 0x84
	v_mad_u32_u24 v10, v1, s6, v15
	s_waitcnt lgkmcnt(0)
	s_barrier
	ds_read2_b32 v[18:19], v10 offset1:33
	v_lshlrev_b32_e32 v20, 2, v13
	ds_read_b32 v10, v8
	ds_read_b128 v[22:25], v20 offset:4544
	v_add_u32_e32 v21, v15, v9
	ds_read_b32 v9, v21
	s_waitcnt lgkmcnt(3)
	v_mov_b32_e32 v11, v18
	v_mov_b32_e32 v28, 0
	s_waitcnt lgkmcnt(1)
	v_pk_mul_f32 v[10:11], v[10:11], v[22:23]
	v_cmp_gt_u32_e64 s[6:7], 32, v14
	v_add_f32_e32 v8, 0, v10
	v_add_f32_e32 v10, v8, v11
	v_mov_b32_e32 v8, v19
	s_waitcnt lgkmcnt(0)
	v_pk_mul_f32 v[8:9], v[8:9], v[24:25]
	s_nop 0
	v_add_f32_e32 v8, v10, v8
	v_add_f32_e32 v8, v8, v9
	v_mul_u32_u24_e32 v9, 33, v0
	v_lshlrev_b32_e32 v18, 2, v9
	v_lshl_add_u32 v19, v12, 2, v18
	s_barrier
	ds_write_b32 v19, v8
	s_waitcnt lgkmcnt(0)
	s_barrier
	s_and_saveexec_b64 s[16:17], s[6:7]
	s_cbranch_execz .LBB85_31
; %bb.30:
	ds_read2_b32 v[8:9], v18 offset1:1
	ds_read2_b32 v[10:11], v18 offset0:2 offset1:3
	ds_read2_b32 v[22:23], v18 offset0:4 offset1:5
	;; [unrolled: 1-line block ×3, first 2 shown]
	s_waitcnt lgkmcnt(3)
	v_add_f32_e32 v8, v8, v9
	s_waitcnt lgkmcnt(2)
	v_add_f32_e32 v8, v8, v10
	v_add_f32_e32 v8, v8, v11
	s_waitcnt lgkmcnt(1)
	v_add_f32_e32 v8, v8, v22
	;; [unrolled: 3-line block ×3, first 2 shown]
	v_add_f32_e32 v28, v8, v25
.LBB85_31:
	s_or_b64 exec, exec, s[16:17]
	s_lshl_b64 s[22:23], s[40:41], 7
	v_lshl_add_u64 v[10:11], v[2:3], 0, s[22:23]
	v_cndmask_b32_e64 v2, 0, 1, s[20:21]
	s_lshl_b64 s[36:37], s[40:41], 5
	s_mov_b64 s[38:39], 0x80
	v_cmp_ne_u32_e64 s[16:17], 1, v2
	s_andn2_b64 vcc, exec, s[20:21]
	s_mov_b64 s[20:21], -1
	s_barrier
	s_cbranch_vccnz .LBB85_33
; %bb.32:
	v_lshl_add_u64 v[2:3], v[10:11], 0, s[36:37]
	v_lshl_add_u64 v[8:9], v[2:3], 0, s[36:37]
	;; [unrolled: 1-line block ×3, first 2 shown]
	global_load_dword v24, v[10:11], off offset:128
	global_load_dword v25, v[2:3], off offset:128
	;; [unrolled: 1-line block ×4, first 2 shown]
	s_movk_i32 s20, 0x84
	v_mad_u32_u24 v2, v12, s20, v15
	s_mov_b64 s[20:21], 0
	s_waitcnt vmcnt(3)
	ds_write_b32 v2, v24
	s_waitcnt vmcnt(2)
	ds_write_b32 v2, v25 offset:1056
	s_waitcnt vmcnt(1)
	ds_write_b32 v2, v29 offset:2112
	;; [unrolled: 2-line block ×3, first 2 shown]
.LBB85_33:
	s_andn2_b64 vcc, exec, s[20:21]
	v_lshl_add_u64 v[2:3], v[10:11], 0, s[38:39]
	s_cbranch_vccnz .LBB85_43
; %bb.34:
	v_lshlrev_b32_e32 v8, 2, v0
	v_sub_co_u32_e32 v10, vcc, v10, v8
	s_ashr_i32 s25, s24, 31
	s_nop 0
	v_subbrev_co_u32_e32 v11, vcc, 0, v11, vcc
	v_or_b32_e32 v9, 32, v0
	v_lshl_add_u64 v[10:11], s[24:25], 2, v[10:11]
	v_lshl_add_u64 v[10:11], v[10:11], 0, -4
	v_cmp_gt_i32_e32 vcc, s24, v9
	s_sub_i32 s42, s24, 32
	v_mov_b32_e32 v22, 0
	v_cndmask_b32_e32 v11, v11, v3, vcc
	v_cndmask_b32_e32 v10, v10, v2, vcc
	v_cmp_gt_i32_e64 s[20:21], s42, v12
	v_mov_b32_e32 v23, 0
	s_and_saveexec_b64 s[38:39], s[20:21]
	s_cbranch_execz .LBB85_36
; %bb.35:
	global_load_dword v23, v[10:11], off
.LBB85_36:
	s_or_b64 exec, exec, s[38:39]
	s_movk_i32 s20, 0x84
	v_mad_u32_u24 v24, v12, s20, v15
	s_waitcnt vmcnt(0)
	ds_write_b32 v24, v23
	v_add_u32_e32 v23, 8, v12
	v_mul_u32_u24_e32 v9, 0x84, v12
	v_cmp_gt_i32_e64 s[20:21], s42, v23
	s_and_saveexec_b64 s[38:39], s[20:21]
	s_cbranch_execz .LBB85_38
; %bb.37:
	v_lshl_add_u64 v[22:23], v[10:11], 0, s[36:37]
	global_load_dword v22, v[22:23], off
.LBB85_38:
	s_or_b64 exec, exec, s[38:39]
	v_add_u32_e32 v9, v9, v15
	s_waitcnt vmcnt(0)
	ds_write_b32 v9, v22 offset:1056
	v_add_u32_e32 v22, 16, v12
	v_cmp_gt_i32_e64 s[20:21], s42, v22
	v_mov_b32_e32 v22, 0
	v_mov_b32_e32 v23, 0
	s_and_saveexec_b64 s[38:39], s[20:21]
	s_cbranch_execz .LBB85_40
; %bb.39:
	s_lshl_b64 s[20:21], s[40:41], 6
	v_lshl_add_u64 v[24:25], v[10:11], 0, s[20:21]
	global_load_dword v23, v[24:25], off
.LBB85_40:
	s_or_b64 exec, exec, s[38:39]
	s_waitcnt vmcnt(0)
	ds_write_b32 v9, v23 offset:2112
	v_add_u32_e32 v23, 24, v12
	v_cmp_gt_i32_e64 s[20:21], s42, v23
	s_and_saveexec_b64 s[38:39], s[20:21]
	s_cbranch_execz .LBB85_42
; %bb.41:
	v_mov_b32_e32 v22, 0x60
	v_mad_u64_u32 v[22:23], s[20:21], s40, v22, v[10:11]
	s_mul_i32 s20, s41, 0x60
	s_nop 0
	v_add_u32_e32 v23, s20, v23
	global_load_dword v22, v[22:23], off
.LBB85_42:
	s_or_b64 exec, exec, s[38:39]
	s_waitcnt vmcnt(0)
	ds_write_b32 v9, v22 offset:3168
	v_mov_b32_e32 v9, 0
	v_lshl_add_u64 v[8:9], v[10:11], 0, v[8:9]
	s_lshl_b64 s[20:21], s[24:25], 2
	v_mov_b32_e32 v10, s21
	v_subrev_co_u32_e64 v8, s[20:21], s20, v8
	s_nop 1
	v_subb_co_u32_e64 v9, s[20:21], v9, v10, s[20:21]
	s_mov_b64 s[20:21], 0x84
	s_nop 0
	v_lshl_add_u64 v[8:9], v[8:9], 0, s[20:21]
	v_cndmask_b32_e32 v3, v9, v3, vcc
	v_cndmask_b32_e32 v2, v8, v2, vcc
.LBB85_43:
	v_mul_u32_u24_e32 v9, 0x210, v12
	v_add_u32_e32 v20, 0x11c0, v20
	v_mul_u32_u24_e32 v8, 0x84, v1
	v_add_u32_e32 v1, v15, v9
	s_waitcnt lgkmcnt(0)
	s_barrier
	s_and_saveexec_b64 s[20:21], s[8:9]
	s_cbranch_execnz .LBB85_52
; %bb.44:
	s_or_b64 exec, exec, s[20:21]
	v_add_u32_e32 v8, v15, v8
	s_and_saveexec_b64 s[8:9], s[10:11]
	s_cbranch_execnz .LBB85_53
.LBB85_45:
	s_or_b64 exec, exec, s[8:9]
	s_and_saveexec_b64 s[8:9], s[12:13]
	s_cbranch_execnz .LBB85_54
.LBB85_46:
	s_or_b64 exec, exec, s[8:9]
	s_and_saveexec_b64 s[8:9], s[14:15]
	s_cbranch_execz .LBB85_48
.LBB85_47:
	ds_read_b32 v9, v21
	v_lshl_add_u32 v10, v13, 2, v18
	s_waitcnt lgkmcnt(0)
	ds_write_b32 v10, v9 offset:12
.LBB85_48:
	s_or_b64 exec, exec, s[8:9]
	s_waitcnt lgkmcnt(0)
	s_barrier
	ds_read2_b32 v[30:31], v8 offset1:33
	ds_read_b32 v22, v1
	ds_read_b128 v[8:11], v20 offset:128
	ds_read_b32 v25, v21
	v_cmp_eq_u32_e64 s[8:9], 1, v12
	s_waitcnt lgkmcnt(3)
	v_mov_b32_e32 v23, v30
	v_mov_b32_e32 v24, v31
	s_waitcnt lgkmcnt(1)
	v_pk_mul_f32 v[8:9], v[22:23], v[8:9]
	s_waitcnt lgkmcnt(0)
	v_add_f32_e32 v1, 0, v8
	v_add_f32_e32 v1, v1, v9
	v_pk_mul_f32 v[8:9], v[24:25], v[10:11]
	s_barrier
	v_add_f32_e32 v1, v1, v8
	v_add_f32_e32 v1, v1, v9
	ds_write_b32 v19, v1
	s_waitcnt lgkmcnt(0)
	s_barrier
	s_and_saveexec_b64 s[10:11], s[8:9]
	s_cbranch_execz .LBB85_50
; %bb.49:
	ds_read2_b32 v[8:9], v18 offset1:1
	ds_read2_b32 v[10:11], v18 offset0:2 offset1:3
	ds_read2_b32 v[22:23], v18 offset0:4 offset1:5
	;; [unrolled: 1-line block ×3, first 2 shown]
	s_waitcnt lgkmcnt(3)
	v_add_f32_e32 v1, v8, v9
	s_waitcnt lgkmcnt(2)
	v_add_f32_e32 v1, v1, v10
	v_add_f32_e32 v1, v1, v11
	s_waitcnt lgkmcnt(1)
	v_add_f32_e32 v1, v1, v22
	;; [unrolled: 3-line block ×3, first 2 shown]
	v_add_f32_e32 v28, v1, v25
.LBB85_50:
	s_or_b64 exec, exec, s[10:11]
	s_lshl_b64 s[10:11], s[36:37], 2
	v_mov_b32_e32 v1, s11
	v_subrev_co_u32_e64 v8, s[10:11], s10, v2
	s_and_b64 vcc, exec, s[16:17]
	s_nop 0
	v_subb_co_u32_e64 v9, s[10:11], v3, v1, s[10:11]
	s_barrier
	s_cbranch_vccnz .LBB85_55
; %bb.51:
	v_lshl_add_u64 v[2:3], v[8:9], 0, s[36:37]
	v_lshl_add_u64 v[10:11], v[2:3], 0, s[36:37]
	;; [unrolled: 1-line block ×3, first 2 shown]
	global_load_dword v1, v[8:9], off
	global_load_dword v29, v[2:3], off
	;; [unrolled: 1-line block ×4, first 2 shown]
	s_movk_i32 s10, 0x84
	v_mov_b32_e32 v2, 0x420
	v_mov_b32_e32 v3, 0x840
	;; [unrolled: 1-line block ×3, first 2 shown]
	v_mul_u32_u24_e32 v11, 0x84, v12
	v_add_u32_e32 v10, 8, v12
	v_add_u32_e32 v21, 16, v12
	;; [unrolled: 1-line block ×3, first 2 shown]
	v_mad_u32_u24 v32, v12, s10, v15
	v_mad_u32_u24 v22, v12, s10, v2
	;; [unrolled: 1-line block ×4, first 2 shown]
	v_add_u32_e32 v2, v15, v22
	v_add_u32_e32 v3, v15, v24
	;; [unrolled: 1-line block ×3, first 2 shown]
	s_waitcnt vmcnt(3)
	ds_write_b32 v32, v1
	s_waitcnt vmcnt(2)
	ds_write_b32 v2, v29
	s_waitcnt vmcnt(1)
	ds_write_b32 v3, v30
	s_waitcnt vmcnt(0)
	ds_write_b32 v33, v31
	s_cbranch_execz .LBB85_56
	s_branch .LBB85_65
.LBB85_52:
	ds_read_b32 v9, v1
	v_lshl_add_u32 v10, v13, 2, v18
	s_waitcnt lgkmcnt(0)
	ds_write_b32 v10, v9
	s_or_b64 exec, exec, s[20:21]
	v_add_u32_e32 v8, v15, v8
	s_and_saveexec_b64 s[8:9], s[10:11]
	s_cbranch_execz .LBB85_45
.LBB85_53:
	ds_read_b32 v9, v8
	v_lshl_add_u32 v10, v13, 2, v18
	s_waitcnt lgkmcnt(0)
	ds_write_b32 v10, v9 offset:4
	s_or_b64 exec, exec, s[8:9]
	s_and_saveexec_b64 s[8:9], s[12:13]
	s_cbranch_execz .LBB85_46
.LBB85_54:
	ds_read_b32 v9, v8 offset:132
	v_lshl_add_u32 v10, v13, 2, v18
	s_waitcnt lgkmcnt(0)
	ds_write_b32 v10, v9 offset:8
	s_or_b64 exec, exec, s[8:9]
	s_and_saveexec_b64 s[8:9], s[14:15]
	s_cbranch_execnz .LBB85_47
	s_branch .LBB85_48
.LBB85_55:
                                        ; implicit-def: $vgpr11
                                        ; implicit-def: $vgpr10
                                        ; implicit-def: $vgpr22
                                        ; implicit-def: $vgpr21
                                        ; implicit-def: $vgpr24
                                        ; implicit-def: $vgpr23
                                        ; implicit-def: $vgpr25
.LBB85_56:
	v_or_b32_e32 v10, 32, v0
	v_lshlrev_b32_e32 v0, 2, v0
	v_sub_co_u32_e32 v2, vcc, v8, v0
	s_ashr_i32 s25, s24, 31
	s_nop 0
	v_subbrev_co_u32_e32 v3, vcc, 0, v9, vcc
	s_movk_i32 s10, 0xff7c
	v_lshl_add_u64 v[2:3], s[24:25], 2, v[2:3]
	s_mov_b32 s11, -1
	v_lshl_add_u64 v[2:3], v[2:3], 0, s[10:11]
	v_cmp_gt_i32_e32 vcc, s24, v10
	v_mov_b32_e32 v1, 0
	v_cmp_gt_i32_e64 s[10:11], s24, v12
	v_cndmask_b32_e32 v3, v3, v9, vcc
	v_cndmask_b32_e32 v2, v2, v8, vcc
	v_mov_b32_e32 v10, 0
	s_and_saveexec_b64 s[12:13], s[10:11]
	s_cbranch_execz .LBB85_58
; %bb.57:
	global_load_dword v10, v[2:3], off
.LBB85_58:
	s_or_b64 exec, exec, s[12:13]
	s_movk_i32 s10, 0x84
	v_mad_u32_u24 v21, v12, s10, v15
	s_waitcnt vmcnt(0)
	ds_write_b32 v21, v10
	v_add_u32_e32 v10, 8, v12
	v_mul_u32_u24_e32 v11, 0x84, v12
	v_cmp_gt_i32_e64 s[10:11], s24, v10
	s_and_saveexec_b64 s[12:13], s[10:11]
	s_cbranch_execz .LBB85_60
; %bb.59:
	v_lshl_add_u64 v[22:23], v[2:3], 0, s[36:37]
	global_load_dword v1, v[22:23], off
.LBB85_60:
	s_or_b64 exec, exec, s[12:13]
	v_add_u32_e32 v22, 0x420, v11
	v_add_u32_e32 v21, v15, v22
	s_waitcnt vmcnt(0)
	ds_write_b32 v21, v1
	v_add_u32_e32 v21, 16, v12
	v_cmp_gt_i32_e64 s[10:11], s24, v21
	v_mov_b32_e32 v1, 0
	v_mov_b32_e32 v23, 0
	s_and_saveexec_b64 s[12:13], s[10:11]
	s_cbranch_execz .LBB85_62
; %bb.61:
	s_lshl_b64 s[10:11], s[40:41], 6
	v_lshl_add_u64 v[24:25], v[2:3], 0, s[10:11]
	global_load_dword v23, v[24:25], off
.LBB85_62:
	s_or_b64 exec, exec, s[12:13]
	v_add_u32_e32 v24, 0x420, v22
	v_add_u32_e32 v25, v15, v24
	s_waitcnt vmcnt(0)
	ds_write_b32 v25, v23
	v_add_u32_e32 v23, 24, v12
	v_cmp_gt_i32_e64 s[10:11], s24, v23
	s_and_saveexec_b64 s[12:13], s[10:11]
	s_cbranch_execz .LBB85_64
; %bb.63:
	v_mov_b32_e32 v1, 0x60
	v_mad_u64_u32 v[30:31], s[10:11], s40, v1, v[2:3]
	s_mul_i32 s10, s41, 0x60
	s_nop 0
	v_add_u32_e32 v31, s10, v31
	global_load_dword v1, v[30:31], off
.LBB85_64:
	s_or_b64 exec, exec, s[12:13]
	v_add_u32_e32 v25, 0x420, v24
	v_add_u32_e32 v12, v15, v25
	s_waitcnt vmcnt(0)
	ds_write_b32 v12, v1
	v_mov_b32_e32 v1, 0
	v_lshl_add_u64 v[0:1], v[2:3], 0, v[0:1]
	s_lshl_b64 s[10:11], s[24:25], 2
	v_mov_b32_e32 v2, s11
	v_subrev_co_u32_e64 v0, s[10:11], s10, v0
	s_nop 1
	v_subb_co_u32_e64 v1, s[10:11], v1, v2, s[10:11]
	s_mov_b64 s[10:11], 0x84
	s_nop 0
	v_lshl_add_u64 v[0:1], v[0:1], 0, s[10:11]
	v_cndmask_b32_e32 v9, v1, v9, vcc
	v_cndmask_b32_e32 v8, v0, v8, vcc
.LBB85_65:
	v_add_u32_e32 v0, v15, v11
	s_waitcnt lgkmcnt(0)
	s_barrier
	v_add_u32_e32 v1, v15, v22
	ds_read_b32 v30, v0
	ds_read_b32 v22, v13 offset:4544
	ds_read_b32 v31, v1
	v_lshlrev_b32_e32 v0, 2, v10
	v_add_u32_e32 v1, v15, v24
	v_lshlrev_b32_e32 v2, 2, v21
	v_add_u32_e32 v3, v15, v25
	v_lshlrev_b32_e32 v10, 2, v23
	ds_read_b32 v23, v0 offset:4544
	ds_read_b32 v24, v1
	ds_read_b32 v32, v2 offset:4544
	ds_read_b32 v25, v3
	ds_read_b32 v33, v10 offset:4544
	v_lshl_add_u32 v12, v13, 2, v18
	ds_read2_b32 v[10:11], v12 offset1:1
	ds_read_b128 v[0:3], v20 offset:128
	s_waitcnt lgkmcnt(6)
	v_pk_mul_f32 v[20:21], v[30:31], v[22:23]
	ds_read2_b32 v[12:13], v12 offset0:2 offset1:3
	v_add_f32_e32 v15, 0, v20
	s_waitcnt lgkmcnt(3)
	v_pk_mul_f32 v[22:23], v[24:25], v[32:33]
	v_add_f32_e32 v15, v15, v21
	v_add_f32_e32 v15, v15, v22
	;; [unrolled: 1-line block ×3, first 2 shown]
	s_waitcnt lgkmcnt(0)
	s_barrier
	ds_write_b32 v19, v15
	s_waitcnt lgkmcnt(0)
	s_barrier
	s_and_saveexec_b64 s[10:11], s[8:9]
	s_cbranch_execz .LBB85_67
; %bb.66:
	ds_read2_b32 v[20:21], v18 offset1:1
	ds_read2_b32 v[22:23], v18 offset0:2 offset1:3
	ds_read2_b32 v[24:25], v18 offset0:4 offset1:5
	;; [unrolled: 1-line block ×3, first 2 shown]
	s_waitcnt lgkmcnt(3)
	v_add_f32_e32 v15, v28, v20
	v_add_f32_e32 v15, v15, v21
	s_waitcnt lgkmcnt(2)
	v_add_f32_e32 v15, v15, v22
	v_add_f32_e32 v15, v15, v23
	;; [unrolled: 3-line block ×4, first 2 shown]
.LBB85_67:
	s_or_b64 exec, exec, s[10:11]
	v_fma_f32 v0, v10, v0, 0
	v_fmac_f32_e32 v0, v11, v1
	v_fmac_f32_e32 v0, v12, v2
	;; [unrolled: 1-line block ×3, first 2 shown]
	s_barrier
	ds_write_b32 v19, v0
	s_waitcnt lgkmcnt(0)
	s_barrier
	s_and_saveexec_b64 s[8:9], s[6:7]
	s_cbranch_execz .LBB85_69
; %bb.68:
	ds_read2_b32 v[0:1], v18 offset1:1
	ds_read2_b32 v[2:3], v18 offset0:2 offset1:3
	ds_read2_b32 v[10:11], v18 offset0:4 offset1:5
	;; [unrolled: 1-line block ×3, first 2 shown]
	s_waitcnt lgkmcnt(3)
	v_add_f32_e32 v0, v28, v0
	v_add_f32_e32 v0, v0, v1
	s_waitcnt lgkmcnt(2)
	v_add_f32_e32 v0, v0, v2
	v_add_f32_e32 v0, v0, v3
	;; [unrolled: 3-line block ×4, first 2 shown]
.LBB85_69:
	s_or_b64 exec, exec, s[8:9]
	s_load_dwordx2 s[0:1], s[0:1], 0x60
	s_mul_hi_u32 s6, s26, s3
	s_mul_i32 s33, s33, s3
	s_add_i32 s6, s6, s33
	s_mul_i32 s3, s26, s3
	s_mul_i32 s6, s6, s27
	s_mul_hi_u32 s7, s3, s27
	s_add_i32 s7, s7, s6
	s_mul_i32 s6, s3, s27
	s_lshl_b64 s[6:7], s[6:7], 2
	s_waitcnt lgkmcnt(0)
	s_add_u32 s3, s0, s6
	s_mul_i32 s0, s26, s2
	s_addc_u32 s7, s1, s7
	s_ashr_i32 s1, s0, 31
	s_lshl_b64 s[0:1], s[0:1], 2
	s_add_u32 s6, s3, s0
	v_cmp_le_i32_e32 vcc, s24, v27
	s_addc_u32 s7, s7, s1
	s_and_b64 vcc, s[34:35], vcc
	s_cmp_lt_i32 s2, 1
	v_lshlrev_b32_e32 v18, 2, v27
	s_barrier
	s_cbranch_scc1 .LBB85_76
; %bb.70:
	s_mul_i32 s0, s48, s29
	s_mul_hi_u32 s1, s48, s28
	s_add_i32 s0, s1, s0
	s_mul_i32 s1, s49, s28
	s_add_i32 s1, s0, s1
	s_mul_i32 s0, s48, s28
	s_lshl_b64 s[0:1], s[0:1], 2
	v_mov_b32_e32 v0, s1
	v_subrev_co_u32_e64 v20, s[0:1], s0, v4
	s_ashr_i32 s25, s24, 31
	s_nop 0
	v_subb_co_u32_e64 v21, s[0:1], v5, v0, s[0:1]
	s_lshl_b64 s[0:1], s[30:31], 2
	s_nop 0
	v_mov_b32_e32 v0, s1
	v_subrev_co_u32_e64 v2, s[0:1], s0, v8
	v_lshlrev_b32_e32 v5, 2, v26
	s_nop 0
	v_subb_co_u32_e64 v3, s[0:1], v9, v0, s[0:1]
	v_lshlrev_b64 v[0:1], 2, v[6:7]
	v_sub_co_u32_e64 v0, s[0:1], v2, v0
	v_mov_b32_e32 v23, 0
	s_nop 0
	v_subb_co_u32_e64 v1, s[0:1], v3, v1, s[0:1]
	v_mad_u64_u32 v[2:3], s[0:1], s40, v5, 0
	v_mov_b32_e32 v4, v3
	v_mad_u64_u32 v[4:5], s[0:1], s41, v5, v[4:5]
	v_mov_b32_e32 v3, v4
	v_lshl_add_u64 v[0:1], v[2:3], 2, v[0:1]
	s_movk_i32 s0, 0xff7c
	v_lshl_add_u64 v[2:3], s[24:25], 2, v[0:1]
	s_mov_b32 s1, -1
	v_lshl_add_u64 v[2:3], v[2:3], 0, s[0:1]
	v_mov_b32_e32 v19, v23
	s_movk_i32 s0, 0xff80
	v_lshl_add_u64 v[0:1], v[0:1], 0, v[18:19]
	s_mov_b32 s1, -1
	v_lshl_add_u64 v[0:1], v[0:1], 0, s[0:1]
	v_cndmask_b32_e32 v24, v0, v2, vcc
	v_lshrrev_b32_e32 v2, 2, v14
	v_and_b32_e32 v10, 15, v27
	s_movk_i32 s3, 0x10c
	v_and_b32_e32 v2, 0x7ffc, v2
	v_mad_u32_u24 v32, v10, s3, v2
	v_and_b32_e32 v2, 48, v27
	v_lshlrev_b32_e32 v2, 2, v2
	v_mad_u32_u24 v33, v10, s3, v2
	v_or_b32_e32 v2, 60, v18
	v_mad_u32_u24 v34, v10, s3, v2
	s_mul_i32 s3, s41, 12
	s_mul_hi_u32 s14, s40, 12
	s_add_i32 s15, s14, s3
	s_mul_i32 s3, s41, 0x48
	s_mul_hi_u32 s16, s40, 0x48
	s_add_i32 s17, s16, s3
	;; [unrolled: 3-line block ×8, first 2 shown]
	s_mul_i32 s3, s41, 0xc0
	s_mul_hi_u32 s33, s40, 0xc0
	v_mov_b32_e32 v0, 0x10c0
	s_add_i32 s37, s33, s3
	s_mul_i32 s3, s41, 0x84
	s_mul_hi_u32 s33, s40, 0x84
	v_cndmask_b32_e32 v25, v1, v3, vcc
	v_lshl_add_u32 v29, v26, 4, v0
	s_movk_i32 s0, 0x430
	v_mul_u32_u24_e32 v0, 0x10c, v10
	v_and_b32_e32 v1, 0x1fff0, v14
	s_add_i32 s39, s33, s3
	s_mul_i32 s3, s41, 0x44
	s_mul_hi_u32 s33, s40, 0x44
	v_add_u32_e32 v19, 0x10c0, v18
	v_add_u32_e32 v30, 0x11c0, v18
	v_mad_u32_u24 v31, v26, s0, v18
	v_cmp_gt_u32_e64 s[0:1], 64, v14
	s_lshl_b64 s[8:9], s[40:41], 2
	s_lshl_b64 s[10:11], s[40:41], 8
	;; [unrolled: 1-line block ×3, first 2 shown]
	s_mul_i32 s14, s40, 12
	s_mul_i32 s16, s40, 0x48
	;; [unrolled: 1-line block ×10, first 2 shown]
	s_add_i32 s43, s33, s3
	s_mul_i32 s42, s40, 0x44
	s_lshl_b64 s[40:41], s[40:41], 6
	s_mov_b32 s3, 0
	v_add_u32_e32 v35, v0, v1
	s_branch .LBB85_72
.LBB85_71:                              ;   in Loop: Header=BB85_72 Depth=1
	s_or_b64 exec, exec, s[44:45]
	v_fmac_f32_e32 v28, v39, v0
	v_fmac_f32_e32 v28, v38, v1
	;; [unrolled: 1-line block ×15, first 2 shown]
	s_add_i32 s3, s3, 64
	s_add_i32 s2, s2, -1
	v_fmac_f32_e32 v28, v48, v15
	s_cmp_eq_u32 s2, 0
	v_lshl_add_u64 v[24:25], v[24:25], 0, s[10:11]
	s_barrier
	s_cbranch_scc1 .LBB85_76
.LBB85_72:                              ; =>This Inner Loop Header: Depth=1
	s_and_saveexec_b64 s[44:45], s[18:19]
	s_cbranch_execz .LBB85_74
; %bb.73:                               ;   in Loop: Header=BB85_72 Depth=1
	s_mul_i32 s33, s49, s3
	s_mul_hi_u32 s46, s48, s3
	s_add_i32 s47, s46, s33
	s_mul_i32 s46, s48, s3
	v_lshl_add_u64 v[0:1], s[46:47], 2, v[20:21]
	global_load_dword v0, v[0:1], off
	s_waitcnt vmcnt(0)
	ds_write_b32 v19, v0
.LBB85_74:                              ;   in Loop: Header=BB85_72 Depth=1
	s_or_b64 exec, exec, s[44:45]
	s_waitcnt lgkmcnt(0)
	s_barrier
	v_lshl_add_u64 v[0:1], v[24:25], 0, s[8:9]
	v_lshl_add_u64 v[2:3], v[24:25], 0, s[12:13]
	;; [unrolled: 1-line block ×3, first 2 shown]
	global_load_dword v39, v[24:25], off
	global_load_dword v38, v[0:1], off
	;; [unrolled: 1-line block ×4, first 2 shown]
	ds_read_b32 v12, v30
	ds_read_b128 v[0:3], v29
	v_lshl_add_u64 v[4:5], v[24:25], 0, s[40:41]
	v_lshl_add_u64 v[6:7], v[24:25], 0, s[42:43]
	;; [unrolled: 1-line block ×10, first 2 shown]
	s_waitcnt vmcnt(3) lgkmcnt(1)
	v_mul_f32_e32 v13, v39, v12
	s_waitcnt vmcnt(2)
	v_mul_f32_e32 v14, v38, v12
	s_waitcnt vmcnt(1)
	;; [unrolled: 2-line block ×3, first 2 shown]
	v_mul_f32_e32 v12, v36, v12
	ds_write2_b32 v31, v13, v14 offset1:67
	ds_write2_b32 v31, v15, v12 offset0:134 offset1:201
	s_waitcnt lgkmcnt(0)
	s_barrier
	ds_read2_b32 v[12:13], v35 offset1:1
	ds_read2_b32 v[14:15], v35 offset0:2 offset1:3
	s_waitcnt lgkmcnt(0)
	s_barrier
	global_load_dword v43, v[4:5], off
	global_load_dword v42, v[6:7], off
	;; [unrolled: 1-line block ×4, first 2 shown]
	ds_read_b32 v22, v30
	ds_read_b128 v[4:7], v29 offset:64
	v_lshl_add_u64 v[8:9], v[24:25], 0, s[22:23]
	v_lshl_add_u64 v[10:11], v[24:25], 0, s[38:39]
	v_add_f32_e32 v12, 0, v12
	v_add_f32_e32 v12, v12, v13
	;; [unrolled: 1-line block ×3, first 2 shown]
	s_waitcnt vmcnt(3) lgkmcnt(1)
	v_mul_f32_e32 v44, v43, v22
	s_waitcnt vmcnt(2)
	v_mul_f32_e32 v45, v42, v22
	s_waitcnt vmcnt(1)
	;; [unrolled: 2-line block ×3, first 2 shown]
	v_mul_f32_e32 v22, v40, v22
	ds_write2_b32 v31, v44, v45 offset1:67
	ds_write2_b32 v31, v46, v22 offset0:134 offset1:201
	s_waitcnt lgkmcnt(0)
	s_barrier
	ds_read2_b32 v[52:53], v35 offset1:1
	ds_read2_b32 v[54:55], v35 offset0:2 offset1:3
	s_waitcnt lgkmcnt(0)
	s_barrier
	global_load_dword v47, v[8:9], off
	global_load_dword v46, v[10:11], off
	;; [unrolled: 1-line block ×4, first 2 shown]
	ds_read_b32 v22, v30
	ds_read_b128 v[8:11], v29 offset:128
	s_waitcnt vmcnt(3) lgkmcnt(1)
	v_mul_f32_e32 v48, v47, v22
	s_waitcnt vmcnt(2)
	v_mul_f32_e32 v49, v46, v22
	s_waitcnt vmcnt(1)
	;; [unrolled: 2-line block ×3, first 2 shown]
	v_mul_f32_e32 v22, v44, v22
	ds_write2_b32 v31, v48, v49 offset1:67
	ds_write2_b32 v31, v50, v22 offset0:134 offset1:201
	s_waitcnt lgkmcnt(0)
	s_barrier
	ds_read2_b32 v[64:65], v35 offset1:1
	ds_read2_b32 v[66:67], v35 offset0:2 offset1:3
	s_waitcnt lgkmcnt(0)
	s_barrier
	global_load_dword v51, v[56:57], off
	global_load_dword v50, v[58:59], off
	;; [unrolled: 1-line block ×4, first 2 shown]
	v_add_f32_e32 v22, v12, v15
	v_add_f32_e32 v12, 0, v52
	;; [unrolled: 1-line block ×5, first 2 shown]
	ds_read_b32 v52, v30
	ds_read_b128 v[12:15], v29 offset:192
	v_add_f32_e32 v53, 0, v64
	v_add_f32_e32 v53, v53, v65
	;; [unrolled: 1-line block ×4, first 2 shown]
	s_waitcnt vmcnt(3) lgkmcnt(1)
	v_mul_f32_e32 v53, v51, v52
	s_waitcnt vmcnt(2)
	v_mul_f32_e32 v54, v50, v52
	s_waitcnt vmcnt(1)
	;; [unrolled: 2-line block ×3, first 2 shown]
	v_mul_f32_e32 v52, v48, v52
	ds_write2_b32 v31, v53, v54 offset1:67
	ds_write2_b32 v31, v55, v52 offset0:134 offset1:201
	s_waitcnt lgkmcnt(0)
	s_barrier
	ds_read2_b32 v[52:53], v35 offset1:1
	ds_read2_b32 v[54:55], v35 offset0:2 offset1:3
	s_waitcnt lgkmcnt(0)
	s_barrier
	ds_write2_b32 v32, v22, v56 offset1:16
	v_add_f32_e32 v22, 0, v52
	v_add_f32_e32 v22, v22, v53
	;; [unrolled: 1-line block ×4, first 2 shown]
	ds_write2_b32 v32, v57, v22 offset0:32 offset1:48
	s_waitcnt lgkmcnt(0)
	s_barrier
	s_and_saveexec_b64 s[44:45], s[0:1]
	s_cbranch_execz .LBB85_71
; %bb.75:                               ;   in Loop: Header=BB85_72 Depth=1
	ds_read2_b32 v[52:53], v33 offset1:1
	ds_read2_b32 v[54:55], v33 offset0:2 offset1:3
	ds_read2_b32 v[56:57], v33 offset0:4 offset1:5
	;; [unrolled: 1-line block ×4, first 2 shown]
	s_waitcnt lgkmcnt(4)
	v_add_f32_e32 v22, v52, v53
	s_waitcnt lgkmcnt(3)
	v_add_f32_e32 v22, v22, v54
	v_add_f32_e32 v22, v22, v55
	s_waitcnt lgkmcnt(2)
	v_add_f32_e32 v22, v22, v56
	;; [unrolled: 3-line block ×3, first 2 shown]
	v_add_f32_e32 v22, v22, v59
	ds_read2_b32 v[52:53], v33 offset0:10 offset1:11
	ds_read2_b32 v[54:55], v33 offset0:12 offset1:13
	ds_read_b32 v56, v33 offset:56
	s_waitcnt lgkmcnt(3)
	v_add_f32_e32 v22, v22, v60
	v_add_f32_e32 v22, v22, v61
	s_waitcnt lgkmcnt(2)
	v_add_f32_e32 v22, v22, v52
	ds_read_b32 v52, v34
	v_add_f32_e32 v22, v22, v53
	s_waitcnt lgkmcnt(2)
	v_add_f32_e32 v22, v22, v54
	v_add_f32_e32 v22, v22, v55
	s_waitcnt lgkmcnt(1)
	v_add_f32_e32 v22, v22, v56
	s_waitcnt lgkmcnt(0)
	v_add_f32_e32 v54, v22, v52
	v_add_u32_e32 v22, s3, v27
	v_lshl_add_u64 v[52:53], v[22:23], 2, s[6:7]
	global_store_dword v[52:53], v54, off
	s_branch .LBB85_71
.LBB85_76:
	s_movk_i32 s0, 0x10c
	v_mad_u32_u24 v0, v26, s0, v18
	s_nor_b64 s[0:1], s[4:5], vcc
	ds_write_b32 v0, v28
	s_waitcnt lgkmcnt(0)
	s_barrier
	s_and_saveexec_b64 s[2:3], s[0:1]
	s_cbranch_execz .LBB85_78
; %bb.77:
	ds_read2_b32 v[0:1], v18 offset1:67
	ds_read2_b32 v[2:3], v18 offset0:134 offset1:201
	s_waitcnt lgkmcnt(1)
	v_add_f32_e32 v0, v0, v1
	s_waitcnt lgkmcnt(0)
	v_add_f32_e32 v0, v0, v2
	v_add_f32_e32 v2, v0, v3
	v_lshl_add_u64 v[0:1], v[16:17], 2, s[6:7]
	global_store_dword v[0:1], v2, off
.LBB85_78:
	s_endpgm
	.section	.rodata,"a",@progbits
	.p2align	6, 0x0
	.amdhsa_kernel _ZL26rocblas_hemvn_kernel_lowerILb0ELi64ELi4ELi33ELi32ELi16ElfPKfPfEviT6_lT7_lT5_lS4_lS5_lS3_lT8_i
		.amdhsa_group_segment_fixed_size 4800
		.amdhsa_private_segment_fixed_size 0
		.amdhsa_kernarg_size 368
		.amdhsa_user_sgpr_count 2
		.amdhsa_user_sgpr_dispatch_ptr 0
		.amdhsa_user_sgpr_queue_ptr 0
		.amdhsa_user_sgpr_kernarg_segment_ptr 1
		.amdhsa_user_sgpr_dispatch_id 0
		.amdhsa_user_sgpr_kernarg_preload_length 0
		.amdhsa_user_sgpr_kernarg_preload_offset 0
		.amdhsa_user_sgpr_private_segment_size 0
		.amdhsa_uses_dynamic_stack 0
		.amdhsa_enable_private_segment 0
		.amdhsa_system_sgpr_workgroup_id_x 1
		.amdhsa_system_sgpr_workgroup_id_y 0
		.amdhsa_system_sgpr_workgroup_id_z 1
		.amdhsa_system_sgpr_workgroup_info 0
		.amdhsa_system_vgpr_workitem_id 1
		.amdhsa_next_free_vgpr 68
		.amdhsa_next_free_sgpr 52
		.amdhsa_accum_offset 68
		.amdhsa_reserve_vcc 1
		.amdhsa_float_round_mode_32 0
		.amdhsa_float_round_mode_16_64 0
		.amdhsa_float_denorm_mode_32 3
		.amdhsa_float_denorm_mode_16_64 3
		.amdhsa_dx10_clamp 1
		.amdhsa_ieee_mode 1
		.amdhsa_fp16_overflow 0
		.amdhsa_tg_split 0
		.amdhsa_exception_fp_ieee_invalid_op 0
		.amdhsa_exception_fp_denorm_src 0
		.amdhsa_exception_fp_ieee_div_zero 0
		.amdhsa_exception_fp_ieee_overflow 0
		.amdhsa_exception_fp_ieee_underflow 0
		.amdhsa_exception_fp_ieee_inexact 0
		.amdhsa_exception_int_div_zero 0
	.end_amdhsa_kernel
	.section	.text._ZL26rocblas_hemvn_kernel_lowerILb0ELi64ELi4ELi33ELi32ELi16ElfPKfPfEviT6_lT7_lT5_lS4_lS5_lS3_lT8_i,"axG",@progbits,_ZL26rocblas_hemvn_kernel_lowerILb0ELi64ELi4ELi33ELi32ELi16ElfPKfPfEviT6_lT7_lT5_lS4_lS5_lS3_lT8_i,comdat
.Lfunc_end85:
	.size	_ZL26rocblas_hemvn_kernel_lowerILb0ELi64ELi4ELi33ELi32ELi16ElfPKfPfEviT6_lT7_lT5_lS4_lS5_lS3_lT8_i, .Lfunc_end85-_ZL26rocblas_hemvn_kernel_lowerILb0ELi64ELi4ELi33ELi32ELi16ElfPKfPfEviT6_lT7_lT5_lS4_lS5_lS3_lT8_i
                                        ; -- End function
	.set _ZL26rocblas_hemvn_kernel_lowerILb0ELi64ELi4ELi33ELi32ELi16ElfPKfPfEviT6_lT7_lT5_lS4_lS5_lS3_lT8_i.num_vgpr, 68
	.set _ZL26rocblas_hemvn_kernel_lowerILb0ELi64ELi4ELi33ELi32ELi16ElfPKfPfEviT6_lT7_lT5_lS4_lS5_lS3_lT8_i.num_agpr, 0
	.set _ZL26rocblas_hemvn_kernel_lowerILb0ELi64ELi4ELi33ELi32ELi16ElfPKfPfEviT6_lT7_lT5_lS4_lS5_lS3_lT8_i.numbered_sgpr, 52
	.set _ZL26rocblas_hemvn_kernel_lowerILb0ELi64ELi4ELi33ELi32ELi16ElfPKfPfEviT6_lT7_lT5_lS4_lS5_lS3_lT8_i.num_named_barrier, 0
	.set _ZL26rocblas_hemvn_kernel_lowerILb0ELi64ELi4ELi33ELi32ELi16ElfPKfPfEviT6_lT7_lT5_lS4_lS5_lS3_lT8_i.private_seg_size, 0
	.set _ZL26rocblas_hemvn_kernel_lowerILb0ELi64ELi4ELi33ELi32ELi16ElfPKfPfEviT6_lT7_lT5_lS4_lS5_lS3_lT8_i.uses_vcc, 1
	.set _ZL26rocblas_hemvn_kernel_lowerILb0ELi64ELi4ELi33ELi32ELi16ElfPKfPfEviT6_lT7_lT5_lS4_lS5_lS3_lT8_i.uses_flat_scratch, 0
	.set _ZL26rocblas_hemvn_kernel_lowerILb0ELi64ELi4ELi33ELi32ELi16ElfPKfPfEviT6_lT7_lT5_lS4_lS5_lS3_lT8_i.has_dyn_sized_stack, 0
	.set _ZL26rocblas_hemvn_kernel_lowerILb0ELi64ELi4ELi33ELi32ELi16ElfPKfPfEviT6_lT7_lT5_lS4_lS5_lS3_lT8_i.has_recursion, 0
	.set _ZL26rocblas_hemvn_kernel_lowerILb0ELi64ELi4ELi33ELi32ELi16ElfPKfPfEviT6_lT7_lT5_lS4_lS5_lS3_lT8_i.has_indirect_call, 0
	.section	.AMDGPU.csdata,"",@progbits
; Kernel info:
; codeLenInByte = 5668
; TotalNumSgprs: 58
; NumVgprs: 68
; NumAgprs: 0
; TotalNumVgprs: 68
; ScratchSize: 0
; MemoryBound: 0
; FloatMode: 240
; IeeeMode: 1
; LDSByteSize: 4800 bytes/workgroup (compile time only)
; SGPRBlocks: 7
; VGPRBlocks: 8
; NumSGPRsForWavesPerEU: 58
; NumVGPRsForWavesPerEU: 68
; AccumOffset: 68
; Occupancy: 7
; WaveLimiterHint : 1
; COMPUTE_PGM_RSRC2:SCRATCH_EN: 0
; COMPUTE_PGM_RSRC2:USER_SGPR: 2
; COMPUTE_PGM_RSRC2:TRAP_HANDLER: 0
; COMPUTE_PGM_RSRC2:TGID_X_EN: 1
; COMPUTE_PGM_RSRC2:TGID_Y_EN: 0
; COMPUTE_PGM_RSRC2:TGID_Z_EN: 1
; COMPUTE_PGM_RSRC2:TIDIG_COMP_CNT: 1
; COMPUTE_PGM_RSRC3_GFX90A:ACCUM_OFFSET: 16
; COMPUTE_PGM_RSRC3_GFX90A:TG_SPLIT: 0
	.section	.text._ZL36rocblas_hemvn_kernel_lower_block_sumILi64ElfPffEviT1_lS1_lT2_lT0_lPT3_i,"axG",@progbits,_ZL36rocblas_hemvn_kernel_lower_block_sumILi64ElfPffEviT1_lS1_lT2_lT0_lPT3_i,comdat
	.globl	_ZL36rocblas_hemvn_kernel_lower_block_sumILi64ElfPffEviT1_lS1_lT2_lT0_lPT3_i ; -- Begin function _ZL36rocblas_hemvn_kernel_lower_block_sumILi64ElfPffEviT1_lS1_lT2_lT0_lPT3_i
	.p2align	8
	.type	_ZL36rocblas_hemvn_kernel_lower_block_sumILi64ElfPffEviT1_lS1_lT2_lT0_lPT3_i,@function
_ZL36rocblas_hemvn_kernel_lower_block_sumILi64ElfPffEviT1_lS1_lT2_lT0_lPT3_i: ; @_ZL36rocblas_hemvn_kernel_lower_block_sumILi64ElfPffEviT1_lS1_lT2_lT0_lPT3_i
; %bb.0:
	s_load_dwordx2 s[12:13], s[0:1], 0x0
	s_load_dword s11, s[0:1], 0x10
	s_waitcnt lgkmcnt(0)
	v_cmp_eq_f32_e64 s[4:5], s13, 0
	v_cmp_eq_f32_e64 s[6:7], s11, 1.0
	s_and_b64 s[4:5], s[4:5], s[6:7]
	s_and_b64 vcc, exec, s[4:5]
	s_cbranch_vccnz .LBB86_19
; %bb.1:
	s_load_dwordx2 s[8:9], s[0:1], 0x38
	s_load_dwordx2 s[14:15], s[0:1], 0x20
	s_load_dwordx4 s[4:7], s[0:1], 0x28
	v_lshl_or_b32 v3, s2, 6, v0
	s_waitcnt lgkmcnt(0)
	s_mul_i32 s9, s9, s3
	s_mul_hi_u32 s10, s8, s3
	s_mul_i32 s8, s8, s3
	s_add_i32 s9, s10, s9
	s_lshl_b64 s[8:9], s[8:9], 2
	s_add_u32 s8, s14, s8
	s_addc_u32 s9, s15, s9
	s_lshl_b64 s[4:5], s[4:5], 2
	s_add_u32 s8, s8, s4
	s_addc_u32 s9, s9, s5
	v_cmp_neq_f32_e64 s[4:5], s13, 0
	s_and_b64 vcc, exec, s[4:5]
	v_cmp_gt_i32_e64 s[4:5], s12, v3
	s_cbranch_vccnz .LBB86_6
; %bb.2:
	s_mov_b64 s[16:17], 0
	s_mov_b64 s[14:15], 0
                                        ; implicit-def: $vgpr4
                                        ; implicit-def: $vgpr0_vgpr1
	s_and_saveexec_b64 s[18:19], s[4:5]
	s_cbranch_execz .LBB86_7
; %bb.3:
	v_ashrrev_i32_e32 v0, 31, v3
	v_cmp_eq_f32_e64 s[4:5], s11, 0
	v_mul_lo_u32 v2, s7, v3
	v_mul_lo_u32 v5, s6, v0
	v_mad_u64_u32 v[0:1], s[14:15], s6, v3, 0
	v_mov_b32_e32 v4, 0
	v_add3_u32 v1, v1, v5, v2
	s_and_b64 vcc, exec, s[4:5]
	s_cbranch_vccnz .LBB86_5
; %bb.4:
	v_lshl_add_u64 v[4:5], v[0:1], 2, s[8:9]
	global_load_dword v2, v[4:5], off
	s_waitcnt vmcnt(0)
	v_mul_f32_e32 v4, s11, v2
.LBB86_5:
	s_mov_b64 s[14:15], exec
	s_or_b64 exec, exec, s[18:19]
	s_and_b64 vcc, exec, s[16:17]
	s_cbranch_vccnz .LBB86_8
	s_branch .LBB86_17
.LBB86_6:
	s_mov_b64 s[14:15], 0
                                        ; implicit-def: $vgpr4
                                        ; implicit-def: $vgpr0_vgpr1
	s_cbranch_execnz .LBB86_8
	s_branch .LBB86_17
.LBB86_7:
	s_or_b64 exec, exec, s[18:19]
	s_and_b64 vcc, exec, s[16:17]
	s_cbranch_vccz .LBB86_17
.LBB86_8:
	v_cmp_gt_i32_e32 vcc, s12, v3
                                        ; implicit-def: $vgpr4
                                        ; implicit-def: $vgpr0_vgpr1
	s_and_saveexec_b64 s[4:5], vcc
	s_cbranch_execz .LBB86_16
; %bb.9:
	s_load_dword s10, s[0:1], 0x50
	v_mov_b32_e32 v2, 0
	s_waitcnt lgkmcnt(0)
	s_cmp_ge_i32 s2, s10
	s_cbranch_scc1 .LBB86_12
; %bb.10:
	s_ashr_i32 s17, s12, 31
	s_mul_i32 s18, s12, s2
	s_load_dwordx2 s[0:1], s[0:1], 0x40
	v_add_u32_e32 v0, s18, v3
	s_mul_hi_u32 s18, s12, s3
	s_mul_i32 s19, s17, s3
	s_add_i32 s18, s18, s19
	s_mul_i32 s3, s12, s3
	s_mov_b32 s16, s12
	s_mul_i32 s18, s18, s10
	s_mul_hi_u32 s12, s3, s10
	s_add_i32 s19, s12, s18
	s_mul_i32 s18, s3, s10
	s_lshl_b64 s[18:19], s[18:19], 2
	s_waitcnt lgkmcnt(0)
	s_add_u32 s0, s0, s18
	v_ashrrev_i32_e32 v1, 31, v0
	s_addc_u32 s1, s1, s19
	v_lshl_add_u64 v[0:1], v[0:1], 2, s[0:1]
	s_lshl_b64 s[0:1], s[16:17], 2
	v_mov_b32_e32 v2, 0
.LBB86_11:                              ; =>This Inner Loop Header: Depth=1
	global_load_dword v4, v[0:1], off
	s_add_i32 s2, s2, 1
	v_lshl_add_u64 v[0:1], v[0:1], 0, s[0:1]
	s_cmp_ge_i32 s2, s10
	s_waitcnt vmcnt(0)
	v_add_f32_e32 v2, v2, v4
	s_cbranch_scc0 .LBB86_11
.LBB86_12:
	v_cmp_eq_f32_e64 s[0:1], s11, 0
	v_ashrrev_i32_e32 v0, 31, v3
	s_and_b64 vcc, exec, s[0:1]
	v_mul_lo_u32 v5, s7, v3
	v_mul_lo_u32 v6, s6, v0
	s_cbranch_vccz .LBB86_20
; %bb.13:
	v_mad_u64_u32 v[0:1], s[0:1], s6, v3, 0
	v_mul_f32_e32 v4, s13, v2
	v_add3_u32 v1, v1, v6, v5
	s_cbranch_execnz .LBB86_15
.LBB86_14:
	v_mad_u64_u32 v[0:1], s[0:1], s6, v3, 0
	v_add3_u32 v1, v1, v6, v5
	v_lshl_add_u64 v[4:5], v[0:1], 2, s[8:9]
	global_load_dword v3, v[4:5], off
	s_mov_b32 s10, s13
	s_waitcnt vmcnt(0)
	v_pk_mul_f32 v[2:3], s[10:11], v[2:3]
	s_nop 0
	v_add_f32_e32 v4, v2, v3
.LBB86_15:
	s_or_b64 s[14:15], s[14:15], exec
.LBB86_16:
	s_or_b64 exec, exec, s[4:5]
.LBB86_17:
	s_and_saveexec_b64 s[0:1], s[14:15]
	s_cbranch_execz .LBB86_19
; %bb.18:
	v_lshl_add_u64 v[0:1], v[0:1], 2, s[8:9]
	global_store_dword v[0:1], v4, off
.LBB86_19:
	s_endpgm
.LBB86_20:
                                        ; implicit-def: $vgpr4
                                        ; implicit-def: $vgpr0_vgpr1
	s_branch .LBB86_14
	.section	.rodata,"a",@progbits
	.p2align	6, 0x0
	.amdhsa_kernel _ZL36rocblas_hemvn_kernel_lower_block_sumILi64ElfPffEviT1_lS1_lT2_lT0_lPT3_i
		.amdhsa_group_segment_fixed_size 0
		.amdhsa_private_segment_fixed_size 0
		.amdhsa_kernarg_size 336
		.amdhsa_user_sgpr_count 2
		.amdhsa_user_sgpr_dispatch_ptr 0
		.amdhsa_user_sgpr_queue_ptr 0
		.amdhsa_user_sgpr_kernarg_segment_ptr 1
		.amdhsa_user_sgpr_dispatch_id 0
		.amdhsa_user_sgpr_kernarg_preload_length 0
		.amdhsa_user_sgpr_kernarg_preload_offset 0
		.amdhsa_user_sgpr_private_segment_size 0
		.amdhsa_uses_dynamic_stack 0
		.amdhsa_enable_private_segment 0
		.amdhsa_system_sgpr_workgroup_id_x 1
		.amdhsa_system_sgpr_workgroup_id_y 0
		.amdhsa_system_sgpr_workgroup_id_z 1
		.amdhsa_system_sgpr_workgroup_info 0
		.amdhsa_system_vgpr_workitem_id 0
		.amdhsa_next_free_vgpr 7
		.amdhsa_next_free_sgpr 20
		.amdhsa_accum_offset 8
		.amdhsa_reserve_vcc 1
		.amdhsa_float_round_mode_32 0
		.amdhsa_float_round_mode_16_64 0
		.amdhsa_float_denorm_mode_32 3
		.amdhsa_float_denorm_mode_16_64 3
		.amdhsa_dx10_clamp 1
		.amdhsa_ieee_mode 1
		.amdhsa_fp16_overflow 0
		.amdhsa_tg_split 0
		.amdhsa_exception_fp_ieee_invalid_op 0
		.amdhsa_exception_fp_denorm_src 0
		.amdhsa_exception_fp_ieee_div_zero 0
		.amdhsa_exception_fp_ieee_overflow 0
		.amdhsa_exception_fp_ieee_underflow 0
		.amdhsa_exception_fp_ieee_inexact 0
		.amdhsa_exception_int_div_zero 0
	.end_amdhsa_kernel
	.section	.text._ZL36rocblas_hemvn_kernel_lower_block_sumILi64ElfPffEviT1_lS1_lT2_lT0_lPT3_i,"axG",@progbits,_ZL36rocblas_hemvn_kernel_lower_block_sumILi64ElfPffEviT1_lS1_lT2_lT0_lPT3_i,comdat
.Lfunc_end86:
	.size	_ZL36rocblas_hemvn_kernel_lower_block_sumILi64ElfPffEviT1_lS1_lT2_lT0_lPT3_i, .Lfunc_end86-_ZL36rocblas_hemvn_kernel_lower_block_sumILi64ElfPffEviT1_lS1_lT2_lT0_lPT3_i
                                        ; -- End function
	.set _ZL36rocblas_hemvn_kernel_lower_block_sumILi64ElfPffEviT1_lS1_lT2_lT0_lPT3_i.num_vgpr, 7
	.set _ZL36rocblas_hemvn_kernel_lower_block_sumILi64ElfPffEviT1_lS1_lT2_lT0_lPT3_i.num_agpr, 0
	.set _ZL36rocblas_hemvn_kernel_lower_block_sumILi64ElfPffEviT1_lS1_lT2_lT0_lPT3_i.numbered_sgpr, 20
	.set _ZL36rocblas_hemvn_kernel_lower_block_sumILi64ElfPffEviT1_lS1_lT2_lT0_lPT3_i.num_named_barrier, 0
	.set _ZL36rocblas_hemvn_kernel_lower_block_sumILi64ElfPffEviT1_lS1_lT2_lT0_lPT3_i.private_seg_size, 0
	.set _ZL36rocblas_hemvn_kernel_lower_block_sumILi64ElfPffEviT1_lS1_lT2_lT0_lPT3_i.uses_vcc, 1
	.set _ZL36rocblas_hemvn_kernel_lower_block_sumILi64ElfPffEviT1_lS1_lT2_lT0_lPT3_i.uses_flat_scratch, 0
	.set _ZL36rocblas_hemvn_kernel_lower_block_sumILi64ElfPffEviT1_lS1_lT2_lT0_lPT3_i.has_dyn_sized_stack, 0
	.set _ZL36rocblas_hemvn_kernel_lower_block_sumILi64ElfPffEviT1_lS1_lT2_lT0_lPT3_i.has_recursion, 0
	.set _ZL36rocblas_hemvn_kernel_lower_block_sumILi64ElfPffEviT1_lS1_lT2_lT0_lPT3_i.has_indirect_call, 0
	.section	.AMDGPU.csdata,"",@progbits
; Kernel info:
; codeLenInByte = 608
; TotalNumSgprs: 26
; NumVgprs: 7
; NumAgprs: 0
; TotalNumVgprs: 7
; ScratchSize: 0
; MemoryBound: 0
; FloatMode: 240
; IeeeMode: 1
; LDSByteSize: 0 bytes/workgroup (compile time only)
; SGPRBlocks: 3
; VGPRBlocks: 0
; NumSGPRsForWavesPerEU: 26
; NumVGPRsForWavesPerEU: 7
; AccumOffset: 8
; Occupancy: 8
; WaveLimiterHint : 0
; COMPUTE_PGM_RSRC2:SCRATCH_EN: 0
; COMPUTE_PGM_RSRC2:USER_SGPR: 2
; COMPUTE_PGM_RSRC2:TRAP_HANDLER: 0
; COMPUTE_PGM_RSRC2:TGID_X_EN: 1
; COMPUTE_PGM_RSRC2:TGID_Y_EN: 0
; COMPUTE_PGM_RSRC2:TGID_Z_EN: 1
; COMPUTE_PGM_RSRC2:TIDIG_COMP_CNT: 0
; COMPUTE_PGM_RSRC3_GFX90A:ACCUM_OFFSET: 1
; COMPUTE_PGM_RSRC3_GFX90A:TG_SPLIT: 0
	.section	.text._ZL26rocblas_hemvn_kernel_lowerILb0ELi64ELi4ELi33ELi32ELi16EifPKfPfEviT6_lT7_lT5_lS4_lS5_lS3_lT8_i,"axG",@progbits,_ZL26rocblas_hemvn_kernel_lowerILb0ELi64ELi4ELi33ELi32ELi16EifPKfPfEviT6_lT7_lT5_lS4_lS5_lS3_lT8_i,comdat
	.globl	_ZL26rocblas_hemvn_kernel_lowerILb0ELi64ELi4ELi33ELi32ELi16EifPKfPfEviT6_lT7_lT5_lS4_lS5_lS3_lT8_i ; -- Begin function _ZL26rocblas_hemvn_kernel_lowerILb0ELi64ELi4ELi33ELi32ELi16EifPKfPfEviT6_lT7_lT5_lS4_lS5_lS3_lT8_i
	.p2align	8
	.type	_ZL26rocblas_hemvn_kernel_lowerILb0ELi64ELi4ELi33ELi32ELi16EifPKfPfEviT6_lT7_lT5_lS4_lS5_lS3_lT8_i,@function
_ZL26rocblas_hemvn_kernel_lowerILb0ELi64ELi4ELi33ELi32ELi16EifPKfPfEviT6_lT7_lT5_lS4_lS5_lS3_lT8_i: ; @_ZL26rocblas_hemvn_kernel_lowerILb0ELi64ELi4ELi33ELi32ELi16EifPKfPfEviT6_lT7_lT5_lS4_lS5_lS3_lT8_i
; %bb.0:
	s_load_dwordx2 s[6:7], s[0:1], 0x7c
	s_add_u32 s4, s0, 0x70
	s_addc_u32 s5, s1, 0
	s_waitcnt lgkmcnt(0)
	s_lshr_b32 s8, s6, 16
	s_and_b32 s6, s6, 0xffff
	s_and_b32 s7, s7, 0xffff
	s_mul_i32 s6, s8, s6
	s_mul_i32 s6, s6, s7
	s_cmpk_lg_i32 s6, 0x100
	s_cbranch_scc1 .LBB87_78
; %bb.1:
	s_load_dwordx2 s[26:27], s[0:1], 0x0
	s_load_dword s8, s[0:1], 0x50
	s_waitcnt lgkmcnt(0)
	v_cmp_eq_f32_e64 s[6:7], s27, 0
	v_cmp_eq_f32_e64 s[8:9], s8, 1.0
	s_and_b64 s[8:9], s[6:7], s[8:9]
	s_and_b64 vcc, exec, s[8:9]
	s_cbranch_vccnz .LBB87_78
; %bb.2:
	s_and_b64 vcc, exec, s[6:7]
	s_cbranch_vccnz .LBB87_78
; %bb.3:
	s_load_dwordx2 s[6:7], s[0:1], 0x48
	s_load_dword s27, s[0:1], 0x40
	s_load_dword s33, s[4:5], 0x0
	s_load_dwordx4 s[8:11], s[0:1], 0x28
	s_load_dwordx2 s[12:13], s[0:1], 0x38
	s_waitcnt lgkmcnt(0)
	s_mul_i32 s4, s7, s3
	s_mul_hi_u32 s5, s6, s3
	s_add_i32 s5, s5, s4
	s_mul_i32 s4, s6, s3
	s_lshl_b64 s[4:5], s[4:5], 2
	s_add_u32 s6, s10, s4
	s_addc_u32 s7, s11, s5
	s_lshl_b64 s[4:5], s[12:13], 2
	s_add_u32 s4, s6, s4
	s_addc_u32 s5, s7, s5
	s_ashr_i32 s40, s26, 31
	s_lshr_b32 s7, s40, 26
	v_and_b32_e32 v18, 0x3ff, v0
	s_lshl_b32 s28, s2, 6
	s_add_i32 s7, s26, s7
	s_andn2_b32 s7, s7, 63
	v_add_u32_e32 v16, s28, v18
	v_bfe_u32 v17, v0, 10, 10
	s_add_i32 s6, s33, -1
	s_sub_i32 s7, s26, s7
	v_mul_lo_u32 v0, s27, v16
	s_cmp_eq_u32 s2, s6
	v_ashrrev_i32_e32 v1, 31, v0
	s_cselect_b32 s24, s7, 0
	v_lshl_add_u64 v[4:5], v[0:1], 2, s[4:5]
	v_cmp_ne_u32_e64 s[4:5], 0, v17
	v_cmp_eq_u32_e64 s[18:19], 0, v17
	s_and_saveexec_b64 s[6:7], s[18:19]
	s_cbranch_execz .LBB87_7
; %bb.4:
	s_cmp_eq_u32 s24, 0
	s_cselect_b64 s[10:11], -1, 0
	v_cmp_gt_i32_e32 vcc, s24, v18
	s_or_b64 s[12:13], s[10:11], vcc
	v_mov_b32_e32 v0, 0
	s_and_saveexec_b64 s[10:11], s[12:13]
	s_cbranch_execz .LBB87_6
; %bb.5:
	global_load_dword v0, v[4:5], off
.LBB87_6:
	s_or_b64 exec, exec, s[10:11]
	v_lshlrev_b32_e32 v1, 2, v18
	s_waitcnt vmcnt(0)
	ds_write_b32 v1, v0 offset:4544
.LBB87_7:
	s_or_b64 exec, exec, s[6:7]
	s_load_dwordx4 s[12:15], s[0:1], 0x10
	s_load_dword s22, s[0:1], 0x20
	s_mul_i32 s6, s9, s3
	s_mul_hi_u32 s7, s8, s3
	s_add_i32 s7, s7, s6
	s_mul_i32 s6, s8, s3
	s_lshl_b64 s[6:7], s[6:7], 2
	s_waitcnt lgkmcnt(0)
	s_add_u32 s8, s12, s6
	s_addc_u32 s9, s13, s7
	s_lshl_b64 s[6:7], s[14:15], 2
	s_add_u32 s8, s8, s6
	s_addc_u32 s9, s9, s7
	s_ashr_i32 s29, s28, 31
	v_lshl_add_u32 v14, v17, 6, v18
	s_lshl_b64 s[6:7], s[28:29], 2
	v_and_b32_e32 v2, 31, v18
	v_lshrrev_b32_e32 v12, 5, v14
	s_add_u32 s6, s8, s6
	s_mul_i32 s30, s22, s28
	s_addc_u32 s7, s9, s7
	v_mad_u64_u32 v[6:7], s[8:9], s22, v12, v[2:3]
	s_ashr_i32 s31, s30, 31
	v_ashrrev_i32_e32 v7, 31, v6
	s_cmp_lg_u32 s24, 0
	v_lshl_add_u64 v[0:1], v[6:7], 2, s[6:7]
	s_cselect_b64 s[34:35], -1, 0
	s_cmp_eq_u32 s24, 0
	v_lshl_add_u64 v[8:9], s[30:31], 2, v[0:1]
	s_cselect_b64 s[20:21], -1, 0
	s_mov_b64 s[6:7], -1
	s_and_b64 vcc, exec, s[34:35]
	s_cbranch_vccnz .LBB87_9
; %bb.8:
	s_lshl_b32 s6, s22, 3
	s_ashr_i32 s7, s6, 31
	s_ashr_i32 s23, s22, 31
	v_lshl_add_u64 v[0:1], s[6:7], 2, v[8:9]
	s_lshl_b64 s[6:7], s[22:23], 5
	v_lshl_add_u64 v[10:11], v[0:1], 0, s[6:7]
	v_lshl_add_u64 v[20:21], v[10:11], 0, s[6:7]
	global_load_dword v3, v[8:9], off
	global_load_dword v13, v[0:1], off
	;; [unrolled: 1-line block ×4, first 2 shown]
	v_mul_u32_u24_e32 v0, 0x84, v12
	v_lshl_add_u32 v0, v2, 2, v0
	s_mov_b64 s[6:7], 0
	s_waitcnt vmcnt(3)
	ds_write_b32 v0, v3
	s_waitcnt vmcnt(2)
	ds_write_b32 v0, v13 offset:1056
	s_waitcnt vmcnt(1)
	ds_write_b32 v0, v15 offset:2112
	;; [unrolled: 2-line block ×3, first 2 shown]
.LBB87_9:
	s_andn2_b64 vcc, exec, s[6:7]
	v_lshlrev_b32_e32 v0, 2, v2
	s_cbranch_vccnz .LBB87_19
; %bb.10:
	v_sub_co_u32_e32 v10, vcc, v8, v0
	s_ashr_i32 s25, s24, 31
	s_nop 0
	v_subbrev_co_u32_e32 v11, vcc, 0, v9, vcc
	v_lshl_add_u64 v[10:11], s[24:25], 2, v[10:11]
	v_lshl_add_u64 v[10:11], v[10:11], 0, -4
	v_cmp_gt_i32_e32 vcc, s24, v2
	v_mov_b32_e32 v3, 0
	v_cmp_gt_i32_e64 s[6:7], s24, v12
	v_cndmask_b32_e32 v11, v11, v9, vcc
	v_cndmask_b32_e32 v10, v10, v8, vcc
	v_mov_b32_e32 v13, 0
	s_and_saveexec_b64 s[8:9], s[6:7]
	s_cbranch_execz .LBB87_12
; %bb.11:
	global_load_dword v13, v[10:11], off
.LBB87_12:
	s_or_b64 exec, exec, s[8:9]
	s_movk_i32 s6, 0x84
	v_mad_u32_u24 v15, v12, s6, v0
	s_waitcnt vmcnt(0)
	ds_write_b32 v15, v13
	v_add_u32_e32 v13, 8, v12
	v_mul_u32_u24_e32 v1, 0x84, v12
	v_cmp_gt_i32_e64 s[6:7], s24, v13
	s_and_saveexec_b64 s[8:9], s[6:7]
	s_cbranch_execz .LBB87_14
; %bb.13:
	s_lshl_b32 s6, s22, 3
	s_ashr_i32 s7, s6, 31
	v_lshl_add_u64 v[20:21], s[6:7], 2, v[10:11]
	global_load_dword v3, v[20:21], off
.LBB87_14:
	s_or_b64 exec, exec, s[8:9]
	v_add_u32_e32 v1, v1, v0
	s_waitcnt vmcnt(0)
	ds_write_b32 v1, v3 offset:1056
	v_add_u32_e32 v3, 16, v12
	v_cmp_gt_i32_e64 s[6:7], s24, v3
	v_mov_b32_e32 v3, 0
	v_mov_b32_e32 v13, 0
	s_and_saveexec_b64 s[8:9], s[6:7]
	s_cbranch_execz .LBB87_16
; %bb.15:
	s_lshl_b32 s6, s22, 4
	s_ashr_i32 s7, s6, 31
	v_lshl_add_u64 v[20:21], s[6:7], 2, v[10:11]
	global_load_dword v13, v[20:21], off
.LBB87_16:
	s_or_b64 exec, exec, s[8:9]
	s_waitcnt vmcnt(0)
	ds_write_b32 v1, v13 offset:2112
	v_add_u32_e32 v13, 24, v12
	v_cmp_gt_i32_e64 s[6:7], s24, v13
	s_and_saveexec_b64 s[8:9], s[6:7]
	s_cbranch_execz .LBB87_18
; %bb.17:
	s_mul_i32 s6, s22, 24
	s_ashr_i32 s7, s6, 31
	v_lshl_add_u64 v[20:21], s[6:7], 2, v[10:11]
	global_load_dword v3, v[20:21], off
.LBB87_18:
	s_or_b64 exec, exec, s[8:9]
	s_waitcnt vmcnt(0)
	ds_write_b32 v1, v3 offset:3168
	v_mov_b32_e32 v1, 0
	v_lshl_add_u64 v[10:11], v[10:11], 0, v[0:1]
	s_lshl_b64 s[6:7], s[24:25], 2
	v_mov_b32_e32 v1, s7
	v_subrev_co_u32_e64 v10, s[6:7], s6, v10
	s_nop 1
	v_subb_co_u32_e64 v11, s[6:7], v11, v1, s[6:7]
	v_lshl_add_u64 v[10:11], v[10:11], 0, 4
	v_cndmask_b32_e32 v9, v11, v9, vcc
	v_cndmask_b32_e32 v8, v10, v8, vcc
.LBB87_19:
	v_lshlrev_b32_e32 v13, 2, v12
	v_lshl_or_b32 v1, v2, 7, v0
	v_cmp_lt_u32_e64 s[8:9], v13, v2
	s_waitcnt lgkmcnt(0)
	s_barrier
	s_and_saveexec_b64 s[6:7], s[8:9]
	s_cbranch_execz .LBB87_21
; %bb.20:
	s_movk_i32 s10, 0x210
	v_mad_u32_u24 v3, v12, s10, v0
	ds_read_b32 v3, v3
	v_lshl_add_u32 v10, v13, 2, v1
	s_waitcnt lgkmcnt(0)
	ds_write_b32 v10, v3
.LBB87_21:
	s_or_b64 exec, exec, s[6:7]
	v_or_b32_e32 v3, 1, v13
	v_cmp_lt_u32_e64 s[10:11], v3, v2
	s_and_saveexec_b64 s[6:7], s[10:11]
	s_cbranch_execz .LBB87_23
; %bb.22:
	s_movk_i32 s12, 0x84
	v_mad_u32_u24 v10, v3, s12, v0
	ds_read_b32 v10, v10
	v_lshl_add_u32 v11, v13, 2, v1
	s_waitcnt lgkmcnt(0)
	ds_write_b32 v11, v10 offset:4
.LBB87_23:
	s_or_b64 exec, exec, s[6:7]
	v_or_b32_e32 v10, 2, v13
	v_cmp_lt_u32_e64 s[12:13], v10, v2
	s_and_saveexec_b64 s[6:7], s[12:13]
	s_cbranch_execz .LBB87_25
; %bb.24:
	s_movk_i32 s14, 0x84
	v_mad_u32_u24 v10, v10, s14, v0
	ds_read_b32 v10, v10
	v_lshl_add_u32 v11, v13, 2, v1
	s_waitcnt lgkmcnt(0)
	ds_write_b32 v11, v10 offset:8
.LBB87_25:
	s_or_b64 exec, exec, s[6:7]
	v_or_b32_e32 v11, 3, v13
	v_cmp_lt_u32_e64 s[14:15], v11, v2
	v_cmp_ge_u32_e32 vcc, v11, v2
                                        ; implicit-def: $vgpr10
	s_and_saveexec_b64 s[6:7], vcc
	s_xor_b64 s[6:7], exec, s[6:7]
; %bb.26:
	v_mul_u32_u24_e32 v10, 0x84, v11
                                        ; implicit-def: $vgpr1
                                        ; implicit-def: $vgpr11
; %bb.27:
	s_andn2_saveexec_b64 s[6:7], s[6:7]
	s_cbranch_execz .LBB87_29
; %bb.28:
	s_movk_i32 s16, 0x84
	v_mad_u32_u24 v10, v11, s16, v0
	ds_read_b32 v15, v10
	v_lshl_add_u32 v1, v13, 2, v1
	v_mul_u32_u24_e32 v10, 0x84, v11
	s_waitcnt lgkmcnt(0)
	ds_write_b32 v1, v15 offset:12
.LBB87_29:
	s_or_b64 exec, exec, s[6:7]
	s_movk_i32 s6, 0x210
	v_mad_u32_u24 v1, v12, s6, v0
	s_movk_i32 s6, 0x84
	v_mad_u32_u24 v11, v3, s6, v0
	s_waitcnt lgkmcnt(0)
	s_barrier
	ds_read2_b32 v[28:29], v11 offset1:33
	v_lshlrev_b32_e32 v20, 2, v13
	ds_read_b32 v22, v1
	ds_read_b128 v[24:27], v20 offset:4544
	v_add_u32_e32 v21, v0, v10
	ds_read_b32 v11, v21
	s_waitcnt lgkmcnt(3)
	v_mov_b32_e32 v23, v28
	v_mov_b32_e32 v10, v29
	s_waitcnt lgkmcnt(1)
	v_pk_mul_f32 v[22:23], v[22:23], v[24:25]
	v_mov_b32_e32 v24, 0
	v_add_f32_e32 v1, 0, v22
	v_add_f32_e32 v1, v1, v23
	s_waitcnt lgkmcnt(0)
	v_pk_mul_f32 v[10:11], v[10:11], v[26:27]
	v_cmp_gt_u32_e64 s[6:7], 32, v14
	v_add_f32_e32 v1, v1, v10
	v_mul_u32_u24_e32 v10, 33, v2
	v_lshlrev_b32_e32 v15, 2, v10
	v_add_f32_e32 v1, v1, v11
	v_lshl_add_u32 v19, v12, 2, v15
	s_barrier
	ds_write_b32 v19, v1
	s_waitcnt lgkmcnt(0)
	s_barrier
	s_and_saveexec_b64 s[16:17], s[6:7]
	s_cbranch_execz .LBB87_31
; %bb.30:
	ds_read2_b32 v[10:11], v15 offset1:1
	ds_read2_b32 v[22:23], v15 offset0:2 offset1:3
	ds_read2_b32 v[24:25], v15 offset0:4 offset1:5
	;; [unrolled: 1-line block ×3, first 2 shown]
	s_waitcnt lgkmcnt(3)
	v_add_f32_e32 v1, v10, v11
	s_waitcnt lgkmcnt(2)
	v_add_f32_e32 v1, v1, v22
	v_add_f32_e32 v1, v1, v23
	s_waitcnt lgkmcnt(1)
	v_add_f32_e32 v1, v1, v24
	;; [unrolled: 3-line block ×3, first 2 shown]
	v_add_f32_e32 v24, v1, v27
.LBB87_31:
	s_or_b64 exec, exec, s[16:17]
	s_lshl_b32 s36, s22, 5
	s_ashr_i32 s37, s36, 31
	v_cndmask_b32_e64 v1, 0, 1, s[20:21]
	v_lshl_add_u64 v[10:11], s[36:37], 2, v[8:9]
	s_mov_b64 s[38:39], 0x80
	v_cmp_ne_u32_e64 s[16:17], 1, v1
	s_andn2_b64 vcc, exec, s[20:21]
	s_mov_b64 s[20:21], -1
	s_barrier
	s_cbranch_vccnz .LBB87_33
; %bb.32:
	s_lshl_b32 s20, s22, 3
	s_ashr_i32 s21, s20, 31
	s_ashr_i32 s23, s22, 31
	v_lshl_add_u64 v[8:9], s[20:21], 2, v[10:11]
	s_lshl_b64 s[20:21], s[22:23], 5
	v_lshl_add_u64 v[22:23], v[8:9], 0, s[20:21]
	v_lshl_add_u64 v[26:27], v[22:23], 0, s[20:21]
	global_load_dword v1, v[10:11], off offset:128
	global_load_dword v25, v[8:9], off offset:128
	;; [unrolled: 1-line block ×4, first 2 shown]
	s_movk_i32 s20, 0x84
	v_mad_u32_u24 v8, v12, s20, v0
	s_mov_b64 s[20:21], 0
	s_waitcnt vmcnt(3)
	ds_write_b32 v8, v1
	s_waitcnt vmcnt(2)
	ds_write_b32 v8, v25 offset:1056
	s_waitcnt vmcnt(1)
	ds_write_b32 v8, v28 offset:2112
	;; [unrolled: 2-line block ×3, first 2 shown]
.LBB87_33:
	s_andn2_b64 vcc, exec, s[20:21]
	v_lshl_add_u64 v[8:9], v[10:11], 0, s[38:39]
	s_cbranch_vccnz .LBB87_43
; %bb.34:
	v_sub_co_u32_e32 v10, vcc, v10, v0
	s_ashr_i32 s25, s24, 31
	s_nop 0
	v_subbrev_co_u32_e32 v11, vcc, 0, v11, vcc
	v_or_b32_e32 v1, 32, v2
	v_lshl_add_u64 v[10:11], s[24:25], 2, v[10:11]
	v_lshl_add_u64 v[10:11], v[10:11], 0, -4
	v_cmp_gt_i32_e32 vcc, s24, v1
	s_sub_i32 s23, s24, 32
	v_mov_b32_e32 v22, 0
	v_cndmask_b32_e32 v11, v11, v9, vcc
	v_cndmask_b32_e32 v10, v10, v8, vcc
	v_cmp_gt_i32_e64 s[20:21], s23, v12
	v_mov_b32_e32 v23, 0
	s_and_saveexec_b64 s[38:39], s[20:21]
	s_cbranch_execz .LBB87_36
; %bb.35:
	global_load_dword v23, v[10:11], off
.LBB87_36:
	s_or_b64 exec, exec, s[38:39]
	s_movk_i32 s20, 0x84
	v_mad_u32_u24 v25, v12, s20, v0
	s_waitcnt vmcnt(0)
	ds_write_b32 v25, v23
	v_add_u32_e32 v23, 8, v12
	v_mul_u32_u24_e32 v1, 0x84, v12
	v_cmp_gt_i32_e64 s[20:21], s23, v23
	s_and_saveexec_b64 s[38:39], s[20:21]
	s_cbranch_execz .LBB87_38
; %bb.37:
	s_lshl_b32 s20, s22, 3
	s_ashr_i32 s21, s20, 31
	v_lshl_add_u64 v[22:23], s[20:21], 2, v[10:11]
	global_load_dword v22, v[22:23], off
.LBB87_38:
	s_or_b64 exec, exec, s[38:39]
	v_add_u32_e32 v1, v1, v0
	s_waitcnt vmcnt(0)
	ds_write_b32 v1, v22 offset:1056
	v_add_u32_e32 v22, 16, v12
	v_cmp_gt_i32_e64 s[20:21], s23, v22
	v_mov_b32_e32 v22, 0
	v_mov_b32_e32 v23, 0
	s_and_saveexec_b64 s[38:39], s[20:21]
	s_cbranch_execz .LBB87_40
; %bb.39:
	s_lshl_b32 s20, s22, 4
	s_ashr_i32 s21, s20, 31
	v_lshl_add_u64 v[26:27], s[20:21], 2, v[10:11]
	global_load_dword v23, v[26:27], off
.LBB87_40:
	s_or_b64 exec, exec, s[38:39]
	s_waitcnt vmcnt(0)
	ds_write_b32 v1, v23 offset:2112
	v_add_u32_e32 v23, 24, v12
	v_cmp_gt_i32_e64 s[20:21], s23, v23
	s_and_saveexec_b64 s[38:39], s[20:21]
	s_cbranch_execz .LBB87_42
; %bb.41:
	s_mul_i32 s20, s22, 24
	s_ashr_i32 s21, s20, 31
	v_lshl_add_u64 v[22:23], s[20:21], 2, v[10:11]
	global_load_dword v22, v[22:23], off
.LBB87_42:
	s_or_b64 exec, exec, s[38:39]
	s_waitcnt vmcnt(0)
	ds_write_b32 v1, v22 offset:3168
	v_mov_b32_e32 v1, 0
	v_lshl_add_u64 v[10:11], v[10:11], 0, v[0:1]
	s_lshl_b64 s[20:21], s[24:25], 2
	v_mov_b32_e32 v1, s21
	v_subrev_co_u32_e64 v10, s[20:21], s20, v10
	s_nop 1
	v_subb_co_u32_e64 v11, s[20:21], v11, v1, s[20:21]
	s_mov_b64 s[20:21], 0x84
	s_nop 0
	v_lshl_add_u64 v[10:11], v[10:11], 0, s[20:21]
	v_cndmask_b32_e32 v9, v11, v9, vcc
	v_cndmask_b32_e32 v8, v10, v8, vcc
.LBB87_43:
	v_mul_u32_u24_e32 v1, 0x210, v12
	v_add_u32_e32 v20, 0x11c0, v20
	v_mul_u32_u24_e32 v3, 0x84, v3
	v_add_u32_e32 v1, v0, v1
	s_waitcnt lgkmcnt(0)
	s_barrier
	s_and_saveexec_b64 s[20:21], s[8:9]
	s_cbranch_execnz .LBB87_52
; %bb.44:
	s_or_b64 exec, exec, s[20:21]
	v_add_u32_e32 v3, v0, v3
	s_and_saveexec_b64 s[8:9], s[10:11]
	s_cbranch_execnz .LBB87_53
.LBB87_45:
	s_or_b64 exec, exec, s[8:9]
	s_and_saveexec_b64 s[8:9], s[12:13]
	s_cbranch_execnz .LBB87_54
.LBB87_46:
	s_or_b64 exec, exec, s[8:9]
	s_and_saveexec_b64 s[8:9], s[14:15]
	s_cbranch_execz .LBB87_48
.LBB87_47:
	ds_read_b32 v10, v21
	v_lshl_add_u32 v11, v13, 2, v15
	s_waitcnt lgkmcnt(0)
	ds_write_b32 v11, v10 offset:12
.LBB87_48:
	s_or_b64 exec, exec, s[8:9]
	s_waitcnt lgkmcnt(0)
	s_barrier
	ds_read2_b32 v[30:31], v3 offset1:33
	ds_read_b32 v10, v1
	ds_read_b128 v[26:29], v20 offset:128
	ds_read_b32 v23, v21
	v_cmp_eq_u32_e64 s[8:9], 1, v12
	s_waitcnt lgkmcnt(3)
	v_mov_b32_e32 v11, v30
	v_mov_b32_e32 v22, v31
	s_waitcnt lgkmcnt(1)
	v_pk_mul_f32 v[10:11], v[10:11], v[26:27]
	s_waitcnt lgkmcnt(0)
	v_add_f32_e32 v1, 0, v10
	v_add_f32_e32 v1, v1, v11
	v_pk_mul_f32 v[10:11], v[22:23], v[28:29]
	s_barrier
	v_add_f32_e32 v1, v1, v10
	v_add_f32_e32 v1, v1, v11
	ds_write_b32 v19, v1
	s_waitcnt lgkmcnt(0)
	s_barrier
	s_and_saveexec_b64 s[10:11], s[8:9]
	s_cbranch_execz .LBB87_50
; %bb.49:
	ds_read2_b32 v[10:11], v15 offset1:1
	ds_read2_b32 v[22:23], v15 offset0:2 offset1:3
	ds_read2_b32 v[24:25], v15 offset0:4 offset1:5
	;; [unrolled: 1-line block ×3, first 2 shown]
	s_waitcnt lgkmcnt(3)
	v_add_f32_e32 v1, v10, v11
	s_waitcnt lgkmcnt(2)
	v_add_f32_e32 v1, v1, v22
	v_add_f32_e32 v1, v1, v23
	s_waitcnt lgkmcnt(1)
	v_add_f32_e32 v1, v1, v24
	;; [unrolled: 3-line block ×3, first 2 shown]
	v_add_f32_e32 v24, v1, v27
.LBB87_50:
	s_or_b64 exec, exec, s[10:11]
	s_lshl_b64 s[10:11], s[36:37], 2
	v_mov_b32_e32 v1, s11
	v_subrev_co_u32_e64 v8, s[10:11], s10, v8
	s_and_b64 vcc, exec, s[16:17]
	s_nop 0
	v_subb_co_u32_e64 v9, s[10:11], v9, v1, s[10:11]
	s_barrier
	s_cbranch_vccnz .LBB87_55
; %bb.51:
	s_lshl_b32 s10, s22, 3
	s_ashr_i32 s11, s10, 31
	s_ashr_i32 s23, s22, 31
	v_lshl_add_u64 v[10:11], s[10:11], 2, v[8:9]
	s_lshl_b64 s[10:11], s[22:23], 5
	v_lshl_add_u64 v[22:23], v[10:11], 0, s[10:11]
	v_lshl_add_u64 v[26:27], v[22:23], 0, s[10:11]
	global_load_dword v1, v[8:9], off
	global_load_dword v3, v[10:11], off
	;; [unrolled: 1-line block ×4, first 2 shown]
	s_movk_i32 s10, 0x84
	v_mov_b32_e32 v22, 0x420
	v_mov_b32_e32 v25, 0x840
	;; [unrolled: 1-line block ×3, first 2 shown]
	v_mul_u32_u24_e32 v11, 0x84, v12
	v_add_u32_e32 v10, 8, v12
	v_add_u32_e32 v21, 16, v12
	;; [unrolled: 1-line block ×3, first 2 shown]
	v_mad_u32_u24 v27, v12, s10, v0
	v_mad_u32_u24 v22, v12, s10, v22
	;; [unrolled: 1-line block ×4, first 2 shown]
	v_add_u32_e32 v30, v0, v22
	v_add_u32_e32 v31, v0, v25
	;; [unrolled: 1-line block ×3, first 2 shown]
	s_waitcnt vmcnt(3)
	ds_write_b32 v27, v1
	s_waitcnt vmcnt(2)
	ds_write_b32 v30, v3
	;; [unrolled: 2-line block ×4, first 2 shown]
	s_cbranch_execz .LBB87_56
	s_branch .LBB87_65
.LBB87_52:
	ds_read_b32 v10, v1
	v_lshl_add_u32 v11, v13, 2, v15
	s_waitcnt lgkmcnt(0)
	ds_write_b32 v11, v10
	s_or_b64 exec, exec, s[20:21]
	v_add_u32_e32 v3, v0, v3
	s_and_saveexec_b64 s[8:9], s[10:11]
	s_cbranch_execz .LBB87_45
.LBB87_53:
	ds_read_b32 v10, v3
	v_lshl_add_u32 v11, v13, 2, v15
	s_waitcnt lgkmcnt(0)
	ds_write_b32 v11, v10 offset:4
	s_or_b64 exec, exec, s[8:9]
	s_and_saveexec_b64 s[8:9], s[12:13]
	s_cbranch_execz .LBB87_46
.LBB87_54:
	ds_read_b32 v10, v3 offset:132
	v_lshl_add_u32 v11, v13, 2, v15
	s_waitcnt lgkmcnt(0)
	ds_write_b32 v11, v10 offset:8
	s_or_b64 exec, exec, s[8:9]
	s_and_saveexec_b64 s[8:9], s[14:15]
	s_cbranch_execnz .LBB87_47
	s_branch .LBB87_48
.LBB87_55:
                                        ; implicit-def: $vgpr11
                                        ; implicit-def: $vgpr10
                                        ; implicit-def: $vgpr22
                                        ; implicit-def: $vgpr21
                                        ; implicit-def: $vgpr25
                                        ; implicit-def: $vgpr23
                                        ; implicit-def: $vgpr26
.LBB87_56:
	v_or_b32_e32 v10, 32, v2
	v_sub_co_u32_e32 v2, vcc, v8, v0
	s_ashr_i32 s25, s24, 31
	s_nop 0
	v_subbrev_co_u32_e32 v3, vcc, 0, v9, vcc
	s_movk_i32 s10, 0xff7c
	v_lshl_add_u64 v[2:3], s[24:25], 2, v[2:3]
	s_mov_b32 s11, -1
	v_lshl_add_u64 v[2:3], v[2:3], 0, s[10:11]
	v_cmp_gt_i32_e32 vcc, s24, v10
	v_mov_b32_e32 v1, 0
	v_cmp_gt_i32_e64 s[10:11], s24, v12
	v_cndmask_b32_e32 v3, v3, v9, vcc
	v_cndmask_b32_e32 v2, v2, v8, vcc
	v_mov_b32_e32 v10, 0
	s_and_saveexec_b64 s[12:13], s[10:11]
	s_cbranch_execz .LBB87_58
; %bb.57:
	global_load_dword v10, v[2:3], off
.LBB87_58:
	s_or_b64 exec, exec, s[12:13]
	s_movk_i32 s10, 0x84
	v_mad_u32_u24 v21, v12, s10, v0
	s_waitcnt vmcnt(0)
	ds_write_b32 v21, v10
	v_add_u32_e32 v10, 8, v12
	v_mul_u32_u24_e32 v11, 0x84, v12
	v_cmp_gt_i32_e64 s[10:11], s24, v10
	s_and_saveexec_b64 s[12:13], s[10:11]
	s_cbranch_execz .LBB87_60
; %bb.59:
	s_lshl_b32 s10, s22, 3
	s_ashr_i32 s11, s10, 31
	v_lshl_add_u64 v[22:23], s[10:11], 2, v[2:3]
	global_load_dword v1, v[22:23], off
.LBB87_60:
	s_or_b64 exec, exec, s[12:13]
	v_add_u32_e32 v22, 0x420, v11
	v_add_u32_e32 v21, v0, v22
	s_waitcnt vmcnt(0)
	ds_write_b32 v21, v1
	v_add_u32_e32 v21, 16, v12
	v_cmp_gt_i32_e64 s[10:11], s24, v21
	v_mov_b32_e32 v1, 0
	v_mov_b32_e32 v23, 0
	s_and_saveexec_b64 s[12:13], s[10:11]
	s_cbranch_execz .LBB87_62
; %bb.61:
	s_lshl_b32 s10, s22, 4
	s_ashr_i32 s11, s10, 31
	v_lshl_add_u64 v[26:27], s[10:11], 2, v[2:3]
	global_load_dword v23, v[26:27], off
.LBB87_62:
	s_or_b64 exec, exec, s[12:13]
	v_add_u32_e32 v25, 0x420, v22
	v_add_u32_e32 v26, v0, v25
	s_waitcnt vmcnt(0)
	ds_write_b32 v26, v23
	v_add_u32_e32 v23, 24, v12
	v_cmp_gt_i32_e64 s[10:11], s24, v23
	s_and_saveexec_b64 s[12:13], s[10:11]
	s_cbranch_execz .LBB87_64
; %bb.63:
	s_mul_i32 s10, s22, 24
	s_ashr_i32 s11, s10, 31
	v_lshl_add_u64 v[26:27], s[10:11], 2, v[2:3]
	global_load_dword v1, v[26:27], off
.LBB87_64:
	s_or_b64 exec, exec, s[12:13]
	v_add_u32_e32 v26, 0x420, v25
	v_add_u32_e32 v12, v0, v26
	s_waitcnt vmcnt(0)
	ds_write_b32 v12, v1
	v_mov_b32_e32 v1, 0
	v_lshl_add_u64 v[2:3], v[2:3], 0, v[0:1]
	s_lshl_b64 s[10:11], s[24:25], 2
	v_mov_b32_e32 v1, s11
	v_subrev_co_u32_e64 v2, s[10:11], s10, v2
	s_nop 1
	v_subb_co_u32_e64 v3, s[10:11], v3, v1, s[10:11]
	s_mov_b64 s[10:11], 0x84
	s_nop 0
	v_lshl_add_u64 v[2:3], v[2:3], 0, s[10:11]
	v_cndmask_b32_e32 v9, v3, v9, vcc
	v_cndmask_b32_e32 v8, v2, v8, vcc
.LBB87_65:
	v_add_u32_e32 v1, v0, v11
	s_waitcnt lgkmcnt(0)
	s_barrier
	v_add_u32_e32 v2, v0, v22
	ds_read_b32 v28, v1
	ds_read_b32 v22, v13 offset:4544
	ds_read_b32 v29, v2
	v_lshlrev_b32_e32 v1, 2, v10
	v_add_u32_e32 v2, v0, v25
	v_lshlrev_b32_e32 v3, 2, v21
	v_add_u32_e32 v0, v0, v26
	v_lshlrev_b32_e32 v10, 2, v23
	ds_read_b32 v23, v1 offset:4544
	ds_read_b32 v26, v2
	ds_read_b32 v30, v3 offset:4544
	ds_read_b32 v27, v0
	ds_read_b32 v31, v10 offset:4544
	v_lshl_add_u32 v12, v13, 2, v15
	ds_read2_b32 v[10:11], v12 offset1:1
	ds_read_b128 v[0:3], v20 offset:128
	s_waitcnt lgkmcnt(6)
	v_pk_mul_f32 v[20:21], v[28:29], v[22:23]
	ds_read2_b32 v[12:13], v12 offset0:2 offset1:3
	v_add_f32_e32 v20, 0, v20
	s_waitcnt lgkmcnt(3)
	v_pk_mul_f32 v[22:23], v[26:27], v[30:31]
	v_add_f32_e32 v20, v20, v21
	v_add_f32_e32 v20, v20, v22
	;; [unrolled: 1-line block ×3, first 2 shown]
	s_waitcnt lgkmcnt(0)
	s_barrier
	ds_write_b32 v19, v20
	s_waitcnt lgkmcnt(0)
	s_barrier
	s_and_saveexec_b64 s[10:11], s[8:9]
	s_cbranch_execz .LBB87_67
; %bb.66:
	ds_read2_b32 v[20:21], v15 offset1:1
	ds_read2_b32 v[22:23], v15 offset0:2 offset1:3
	ds_read2_b32 v[26:27], v15 offset0:4 offset1:5
	;; [unrolled: 1-line block ×3, first 2 shown]
	s_waitcnt lgkmcnt(3)
	v_add_f32_e32 v20, v24, v20
	v_add_f32_e32 v20, v20, v21
	s_waitcnt lgkmcnt(2)
	v_add_f32_e32 v20, v20, v22
	v_add_f32_e32 v20, v20, v23
	;; [unrolled: 3-line block ×4, first 2 shown]
.LBB87_67:
	s_or_b64 exec, exec, s[10:11]
	v_fma_f32 v0, v10, v0, 0
	v_fmac_f32_e32 v0, v11, v1
	v_fmac_f32_e32 v0, v12, v2
	;; [unrolled: 1-line block ×3, first 2 shown]
	s_barrier
	ds_write_b32 v19, v0
	s_waitcnt lgkmcnt(0)
	s_barrier
	s_and_saveexec_b64 s[8:9], s[6:7]
	s_cbranch_execz .LBB87_69
; %bb.68:
	ds_read2_b32 v[0:1], v15 offset1:1
	ds_read2_b32 v[2:3], v15 offset0:2 offset1:3
	ds_read2_b32 v[10:11], v15 offset0:4 offset1:5
	;; [unrolled: 1-line block ×3, first 2 shown]
	s_waitcnt lgkmcnt(3)
	v_add_f32_e32 v0, v24, v0
	v_add_f32_e32 v0, v0, v1
	s_waitcnt lgkmcnt(2)
	v_add_f32_e32 v0, v0, v2
	v_add_f32_e32 v0, v0, v3
	;; [unrolled: 3-line block ×4, first 2 shown]
.LBB87_69:
	s_or_b64 exec, exec, s[8:9]
	s_load_dwordx2 s[0:1], s[0:1], 0x60
	s_mul_hi_u32 s6, s26, s3
	s_mul_i32 s40, s40, s3
	s_add_i32 s6, s6, s40
	s_mul_i32 s3, s26, s3
	s_mul_i32 s6, s6, s33
	s_mul_hi_u32 s7, s3, s33
	s_add_i32 s7, s7, s6
	s_mul_i32 s6, s3, s33
	s_lshl_b64 s[6:7], s[6:7], 2
	s_waitcnt lgkmcnt(0)
	s_add_u32 s3, s0, s6
	s_mul_i32 s0, s26, s2
	s_addc_u32 s7, s1, s7
	s_ashr_i32 s1, s0, 31
	s_lshl_b64 s[0:1], s[0:1], 2
	s_add_u32 s6, s3, s0
	v_cmp_le_i32_e32 vcc, s24, v18
	s_addc_u32 s7, s7, s1
	s_and_b64 vcc, s[34:35], vcc
	s_cmp_lt_i32 s2, 1
	v_lshlrev_b32_e32 v25, 2, v18
	s_barrier
	s_cbranch_scc1 .LBB87_76
; %bb.70:
	s_mul_i32 s0, s27, s28
	s_ashr_i32 s1, s0, 31
	s_lshl_b64 s[0:1], s[0:1], 2
	v_mov_b32_e32 v0, s1
	v_subrev_co_u32_e64 v20, s[0:1], s0, v4
	s_ashr_i32 s25, s24, 31
	s_nop 0
	v_subb_co_u32_e64 v21, s[0:1], v5, v0, s[0:1]
	s_lshl_b64 s[0:1], s[30:31], 2
	s_nop 0
	v_mov_b32_e32 v0, s1
	v_subrev_co_u32_e64 v2, s[0:1], s0, v8
	v_and_b32_e32 v4, 15, v18
	s_nop 0
	v_subb_co_u32_e64 v3, s[0:1], v9, v0, s[0:1]
	v_lshlrev_b64 v[0:1], 2, v[6:7]
	v_sub_co_u32_e64 v0, s[0:1], v2, v0
	v_mul_lo_u32 v2, v17, s22
	s_nop 0
	v_subb_co_u32_e64 v1, s[0:1], v3, v1, s[0:1]
	v_lshl_add_u32 v2, v2, 2, v18
	v_ashrrev_i32_e32 v3, 31, v2
	s_movk_i32 s0, 0xff80
	v_lshl_add_u64 v[0:1], v[2:3], 2, v[0:1]
	s_mov_b32 s1, -1
	v_lshl_add_u64 v[2:3], v[0:1], 0, s[0:1]
	v_sub_co_u32_e64 v0, s[0:1], v0, v25
	s_movk_i32 s8, 0x10c
	s_nop 0
	v_subbrev_co_u32_e64 v1, s[0:1], 0, v1, s[0:1]
	s_movk_i32 s0, 0xff7c
	v_lshl_add_u64 v[0:1], s[24:25], 2, v[0:1]
	s_mov_b32 s1, -1
	v_lshl_add_u64 v[0:1], v[0:1], 0, s[0:1]
	v_cndmask_b32_e32 v22, v2, v0, vcc
	v_lshrrev_b32_e32 v2, 2, v14
	v_and_b32_e32 v2, 0x7ffc, v2
	v_mad_u32_u24 v30, v4, s8, v2
	v_and_b32_e32 v2, 48, v18
	v_mov_b32_e32 v0, 0x10c0
	v_lshlrev_b32_e32 v2, 2, v2
	v_cndmask_b32_e32 v23, v3, v1, vcc
	v_lshl_add_u32 v27, v17, 4, v0
	s_movk_i32 s0, 0x430
	v_mul_u32_u24_e32 v0, 0x10c, v4
	v_and_b32_e32 v1, 0x1fff0, v14
	v_mad_u32_u24 v31, v4, s8, v2
	v_or_b32_e32 v2, 60, v25
	s_ashr_i32 s23, s22, 31
	v_mov_b32_e32 v19, 0
	s_lshl_b32 s3, s27, 6
	v_add_u32_e32 v26, 0x10c0, v25
	v_add_u32_e32 v28, 0x11c0, v25
	v_mad_u32_u24 v29, v17, s0, v25
	v_cmp_gt_u32_e64 s[0:1], 64, v14
	v_mad_u32_u24 v32, v4, s8, v2
	s_lshl_b64 s[8:9], s[22:23], 2
	s_lshl_b64 s[10:11], s[22:23], 8
	;; [unrolled: 1-line block ×3, first 2 shown]
	s_mul_hi_i32 s15, s22, 12
	s_mul_i32 s14, s22, 12
	s_mul_hi_i32 s17, s22, 0x48
	s_mul_i32 s16, s22, 0x48
	;; [unrolled: 2-line block ×10, first 2 shown]
	s_lshl_b64 s[40:41], s[22:23], 7
	s_mul_hi_i32 s43, s22, 0x44
	s_mul_i32 s42, s22, 0x44
	s_lshl_b64 s[22:23], s[22:23], 6
	s_mov_b32 s44, 0
	v_add_u32_e32 v33, v0, v1
	s_branch .LBB87_72
.LBB87_71:                              ;   in Loop: Header=BB87_72 Depth=1
	s_or_b64 exec, exec, s[46:47]
	v_fmac_f32_e32 v24, v37, v0
	v_fmac_f32_e32 v24, v36, v1
	;; [unrolled: 1-line block ×15, first 2 shown]
	s_add_i32 s2, s2, -1
	s_add_i32 s44, s44, s3
	v_fmac_f32_e32 v24, v46, v15
	v_lshl_add_u64 v[22:23], v[22:23], 0, s[10:11]
	s_cmp_eq_u32 s2, 0
	v_add_u32_e32 v18, 64, v18
	s_barrier
	s_cbranch_scc1 .LBB87_76
.LBB87_72:                              ; =>This Inner Loop Header: Depth=1
	s_and_saveexec_b64 s[46:47], s[18:19]
	s_cbranch_execz .LBB87_74
; %bb.73:                               ;   in Loop: Header=BB87_72 Depth=1
	s_ashr_i32 s45, s44, 31
	v_lshl_add_u64 v[0:1], s[44:45], 2, v[20:21]
	global_load_dword v0, v[0:1], off
	s_waitcnt vmcnt(0)
	ds_write_b32 v26, v0
.LBB87_74:                              ;   in Loop: Header=BB87_72 Depth=1
	s_or_b64 exec, exec, s[46:47]
	s_waitcnt lgkmcnt(0)
	s_barrier
	v_lshl_add_u64 v[0:1], v[22:23], 0, s[8:9]
	v_lshl_add_u64 v[2:3], v[22:23], 0, s[12:13]
	;; [unrolled: 1-line block ×3, first 2 shown]
	global_load_dword v37, v[22:23], off
	global_load_dword v36, v[0:1], off
	;; [unrolled: 1-line block ×4, first 2 shown]
	ds_read_b32 v12, v28
	ds_read_b128 v[0:3], v27
	v_lshl_add_u64 v[4:5], v[22:23], 0, s[22:23]
	v_lshl_add_u64 v[6:7], v[22:23], 0, s[42:43]
	;; [unrolled: 1-line block ×10, first 2 shown]
	s_waitcnt vmcnt(3) lgkmcnt(1)
	v_mul_f32_e32 v13, v37, v12
	s_waitcnt vmcnt(2)
	v_mul_f32_e32 v14, v36, v12
	s_waitcnt vmcnt(1)
	;; [unrolled: 2-line block ×3, first 2 shown]
	v_mul_f32_e32 v12, v34, v12
	ds_write2_b32 v29, v13, v14 offset1:67
	ds_write2_b32 v29, v15, v12 offset0:134 offset1:201
	s_waitcnt lgkmcnt(0)
	s_barrier
	ds_read2_b32 v[12:13], v33 offset1:1
	ds_read2_b32 v[14:15], v33 offset0:2 offset1:3
	s_waitcnt lgkmcnt(0)
	s_barrier
	global_load_dword v41, v[4:5], off
	global_load_dword v40, v[6:7], off
	global_load_dword v39, v[8:9], off
	global_load_dword v38, v[10:11], off
	ds_read_b32 v42, v28
	ds_read_b128 v[4:7], v27 offset:64
	v_lshl_add_u64 v[8:9], v[22:23], 0, s[40:41]
	v_lshl_add_u64 v[10:11], v[22:23], 0, s[38:39]
	v_add_f32_e32 v12, 0, v12
	v_add_f32_e32 v12, v12, v13
	;; [unrolled: 1-line block ×3, first 2 shown]
	s_waitcnt vmcnt(3) lgkmcnt(1)
	v_mul_f32_e32 v43, v41, v42
	s_waitcnt vmcnt(2)
	v_mul_f32_e32 v44, v40, v42
	s_waitcnt vmcnt(1)
	;; [unrolled: 2-line block ×3, first 2 shown]
	v_mul_f32_e32 v42, v38, v42
	ds_write2_b32 v29, v43, v44 offset1:67
	ds_write2_b32 v29, v45, v42 offset0:134 offset1:201
	s_waitcnt lgkmcnt(0)
	s_barrier
	ds_read2_b32 v[50:51], v33 offset1:1
	ds_read2_b32 v[52:53], v33 offset0:2 offset1:3
	s_waitcnt lgkmcnt(0)
	s_barrier
	global_load_dword v45, v[8:9], off
	global_load_dword v44, v[10:11], off
	;; [unrolled: 1-line block ×4, first 2 shown]
	ds_read_b32 v46, v28
	ds_read_b128 v[8:11], v27 offset:128
	s_waitcnt vmcnt(3) lgkmcnt(1)
	v_mul_f32_e32 v47, v45, v46
	s_waitcnt vmcnt(2)
	v_mul_f32_e32 v48, v44, v46
	s_waitcnt vmcnt(1)
	;; [unrolled: 2-line block ×3, first 2 shown]
	v_mul_f32_e32 v46, v42, v46
	ds_write2_b32 v29, v47, v48 offset1:67
	ds_write2_b32 v29, v49, v46 offset0:134 offset1:201
	s_waitcnt lgkmcnt(0)
	s_barrier
	ds_read2_b32 v[62:63], v33 offset1:1
	ds_read2_b32 v[64:65], v33 offset0:2 offset1:3
	s_waitcnt lgkmcnt(0)
	s_barrier
	global_load_dword v49, v[54:55], off
	global_load_dword v48, v[56:57], off
	;; [unrolled: 1-line block ×4, first 2 shown]
	v_add_f32_e32 v54, v12, v15
	v_add_f32_e32 v12, 0, v50
	;; [unrolled: 1-line block ×5, first 2 shown]
	ds_read_b32 v50, v28
	ds_read_b128 v[12:15], v27 offset:192
	v_add_f32_e32 v51, 0, v62
	v_add_f32_e32 v51, v51, v63
	;; [unrolled: 1-line block ×4, first 2 shown]
	s_waitcnt vmcnt(3) lgkmcnt(1)
	v_mul_f32_e32 v51, v49, v50
	s_waitcnt vmcnt(2)
	v_mul_f32_e32 v52, v48, v50
	s_waitcnt vmcnt(1)
	;; [unrolled: 2-line block ×3, first 2 shown]
	v_mul_f32_e32 v50, v46, v50
	ds_write2_b32 v29, v51, v52 offset1:67
	ds_write2_b32 v29, v53, v50 offset0:134 offset1:201
	s_waitcnt lgkmcnt(0)
	s_barrier
	ds_read2_b32 v[50:51], v33 offset1:1
	ds_read2_b32 v[52:53], v33 offset0:2 offset1:3
	s_waitcnt lgkmcnt(0)
	s_barrier
	v_add_f32_e32 v50, 0, v50
	v_add_f32_e32 v50, v50, v51
	;; [unrolled: 1-line block ×4, first 2 shown]
	ds_write2_b32 v30, v54, v55 offset1:16
	ds_write2_b32 v30, v56, v50 offset0:32 offset1:48
	s_waitcnt lgkmcnt(0)
	s_barrier
	s_and_saveexec_b64 s[46:47], s[0:1]
	s_cbranch_execz .LBB87_71
; %bb.75:                               ;   in Loop: Header=BB87_72 Depth=1
	ds_read2_b32 v[50:51], v31 offset1:1
	ds_read2_b32 v[52:53], v31 offset0:2 offset1:3
	ds_read2_b32 v[54:55], v31 offset0:4 offset1:5
	;; [unrolled: 1-line block ×4, first 2 shown]
	s_waitcnt lgkmcnt(4)
	v_add_f32_e32 v50, v50, v51
	s_waitcnt lgkmcnt(3)
	v_add_f32_e32 v50, v50, v52
	v_add_f32_e32 v50, v50, v53
	s_waitcnt lgkmcnt(2)
	v_add_f32_e32 v50, v50, v54
	;; [unrolled: 3-line block ×3, first 2 shown]
	v_add_f32_e32 v54, v50, v57
	ds_read2_b32 v[50:51], v31 offset0:10 offset1:11
	ds_read2_b32 v[52:53], v31 offset0:12 offset1:13
	ds_read_b32 v55, v31 offset:56
	s_waitcnt lgkmcnt(3)
	v_add_f32_e32 v54, v54, v58
	v_add_f32_e32 v54, v54, v59
	s_waitcnt lgkmcnt(2)
	v_add_f32_e32 v50, v54, v50
	ds_read_b32 v54, v32
	v_add_f32_e32 v50, v50, v51
	s_waitcnt lgkmcnt(2)
	v_add_f32_e32 v50, v50, v52
	v_add_f32_e32 v50, v50, v53
	s_waitcnt lgkmcnt(1)
	v_add_f32_e32 v50, v50, v55
	s_waitcnt lgkmcnt(0)
	v_add_f32_e32 v52, v50, v54
	v_lshl_add_u64 v[50:51], v[18:19], 2, s[6:7]
	global_store_dword v[50:51], v52, off
	s_branch .LBB87_71
.LBB87_76:
	s_movk_i32 s0, 0x10c
	v_mad_u32_u24 v0, v17, s0, v25
	s_nor_b64 s[0:1], s[4:5], vcc
	ds_write_b32 v0, v24
	s_waitcnt lgkmcnt(0)
	s_barrier
	s_and_saveexec_b64 s[2:3], s[0:1]
	s_cbranch_execz .LBB87_78
; %bb.77:
	ds_read2_b32 v[0:1], v25 offset1:67
	ds_read2_b32 v[2:3], v25 offset0:134 offset1:201
	v_ashrrev_i32_e32 v17, 31, v16
	s_waitcnt lgkmcnt(1)
	v_add_f32_e32 v0, v0, v1
	s_waitcnt lgkmcnt(0)
	v_add_f32_e32 v0, v0, v2
	v_add_f32_e32 v2, v0, v3
	v_lshl_add_u64 v[0:1], v[16:17], 2, s[6:7]
	global_store_dword v[0:1], v2, off
.LBB87_78:
	s_endpgm
	.section	.rodata,"a",@progbits
	.p2align	6, 0x0
	.amdhsa_kernel _ZL26rocblas_hemvn_kernel_lowerILb0ELi64ELi4ELi33ELi32ELi16EifPKfPfEviT6_lT7_lT5_lS4_lS5_lS3_lT8_i
		.amdhsa_group_segment_fixed_size 4800
		.amdhsa_private_segment_fixed_size 0
		.amdhsa_kernarg_size 368
		.amdhsa_user_sgpr_count 2
		.amdhsa_user_sgpr_dispatch_ptr 0
		.amdhsa_user_sgpr_queue_ptr 0
		.amdhsa_user_sgpr_kernarg_segment_ptr 1
		.amdhsa_user_sgpr_dispatch_id 0
		.amdhsa_user_sgpr_kernarg_preload_length 0
		.amdhsa_user_sgpr_kernarg_preload_offset 0
		.amdhsa_user_sgpr_private_segment_size 0
		.amdhsa_uses_dynamic_stack 0
		.amdhsa_enable_private_segment 0
		.amdhsa_system_sgpr_workgroup_id_x 1
		.amdhsa_system_sgpr_workgroup_id_y 0
		.amdhsa_system_sgpr_workgroup_id_z 1
		.amdhsa_system_sgpr_workgroup_info 0
		.amdhsa_system_vgpr_workitem_id 1
		.amdhsa_next_free_vgpr 66
		.amdhsa_next_free_sgpr 48
		.amdhsa_accum_offset 68
		.amdhsa_reserve_vcc 1
		.amdhsa_float_round_mode_32 0
		.amdhsa_float_round_mode_16_64 0
		.amdhsa_float_denorm_mode_32 3
		.amdhsa_float_denorm_mode_16_64 3
		.amdhsa_dx10_clamp 1
		.amdhsa_ieee_mode 1
		.amdhsa_fp16_overflow 0
		.amdhsa_tg_split 0
		.amdhsa_exception_fp_ieee_invalid_op 0
		.amdhsa_exception_fp_denorm_src 0
		.amdhsa_exception_fp_ieee_div_zero 0
		.amdhsa_exception_fp_ieee_overflow 0
		.amdhsa_exception_fp_ieee_underflow 0
		.amdhsa_exception_fp_ieee_inexact 0
		.amdhsa_exception_int_div_zero 0
	.end_amdhsa_kernel
	.section	.text._ZL26rocblas_hemvn_kernel_lowerILb0ELi64ELi4ELi33ELi32ELi16EifPKfPfEviT6_lT7_lT5_lS4_lS5_lS3_lT8_i,"axG",@progbits,_ZL26rocblas_hemvn_kernel_lowerILb0ELi64ELi4ELi33ELi32ELi16EifPKfPfEviT6_lT7_lT5_lS4_lS5_lS3_lT8_i,comdat
.Lfunc_end87:
	.size	_ZL26rocblas_hemvn_kernel_lowerILb0ELi64ELi4ELi33ELi32ELi16EifPKfPfEviT6_lT7_lT5_lS4_lS5_lS3_lT8_i, .Lfunc_end87-_ZL26rocblas_hemvn_kernel_lowerILb0ELi64ELi4ELi33ELi32ELi16EifPKfPfEviT6_lT7_lT5_lS4_lS5_lS3_lT8_i
                                        ; -- End function
	.set _ZL26rocblas_hemvn_kernel_lowerILb0ELi64ELi4ELi33ELi32ELi16EifPKfPfEviT6_lT7_lT5_lS4_lS5_lS3_lT8_i.num_vgpr, 66
	.set _ZL26rocblas_hemvn_kernel_lowerILb0ELi64ELi4ELi33ELi32ELi16EifPKfPfEviT6_lT7_lT5_lS4_lS5_lS3_lT8_i.num_agpr, 0
	.set _ZL26rocblas_hemvn_kernel_lowerILb0ELi64ELi4ELi33ELi32ELi16EifPKfPfEviT6_lT7_lT5_lS4_lS5_lS3_lT8_i.numbered_sgpr, 48
	.set _ZL26rocblas_hemvn_kernel_lowerILb0ELi64ELi4ELi33ELi32ELi16EifPKfPfEviT6_lT7_lT5_lS4_lS5_lS3_lT8_i.num_named_barrier, 0
	.set _ZL26rocblas_hemvn_kernel_lowerILb0ELi64ELi4ELi33ELi32ELi16EifPKfPfEviT6_lT7_lT5_lS4_lS5_lS3_lT8_i.private_seg_size, 0
	.set _ZL26rocblas_hemvn_kernel_lowerILb0ELi64ELi4ELi33ELi32ELi16EifPKfPfEviT6_lT7_lT5_lS4_lS5_lS3_lT8_i.uses_vcc, 1
	.set _ZL26rocblas_hemvn_kernel_lowerILb0ELi64ELi4ELi33ELi32ELi16EifPKfPfEviT6_lT7_lT5_lS4_lS5_lS3_lT8_i.uses_flat_scratch, 0
	.set _ZL26rocblas_hemvn_kernel_lowerILb0ELi64ELi4ELi33ELi32ELi16EifPKfPfEviT6_lT7_lT5_lS4_lS5_lS3_lT8_i.has_dyn_sized_stack, 0
	.set _ZL26rocblas_hemvn_kernel_lowerILb0ELi64ELi4ELi33ELi32ELi16EifPKfPfEviT6_lT7_lT5_lS4_lS5_lS3_lT8_i.has_recursion, 0
	.set _ZL26rocblas_hemvn_kernel_lowerILb0ELi64ELi4ELi33ELi32ELi16EifPKfPfEviT6_lT7_lT5_lS4_lS5_lS3_lT8_i.has_indirect_call, 0
	.section	.AMDGPU.csdata,"",@progbits
; Kernel info:
; codeLenInByte = 5524
; TotalNumSgprs: 54
; NumVgprs: 66
; NumAgprs: 0
; TotalNumVgprs: 66
; ScratchSize: 0
; MemoryBound: 0
; FloatMode: 240
; IeeeMode: 1
; LDSByteSize: 4800 bytes/workgroup (compile time only)
; SGPRBlocks: 6
; VGPRBlocks: 8
; NumSGPRsForWavesPerEU: 54
; NumVGPRsForWavesPerEU: 66
; AccumOffset: 68
; Occupancy: 7
; WaveLimiterHint : 1
; COMPUTE_PGM_RSRC2:SCRATCH_EN: 0
; COMPUTE_PGM_RSRC2:USER_SGPR: 2
; COMPUTE_PGM_RSRC2:TRAP_HANDLER: 0
; COMPUTE_PGM_RSRC2:TGID_X_EN: 1
; COMPUTE_PGM_RSRC2:TGID_Y_EN: 0
; COMPUTE_PGM_RSRC2:TGID_Z_EN: 1
; COMPUTE_PGM_RSRC2:TIDIG_COMP_CNT: 1
; COMPUTE_PGM_RSRC3_GFX90A:ACCUM_OFFSET: 16
; COMPUTE_PGM_RSRC3_GFX90A:TG_SPLIT: 0
	.section	.text._ZL36rocblas_hemvn_kernel_lower_block_sumILi64EifPffEviT1_lS1_lT2_lT0_lPT3_i,"axG",@progbits,_ZL36rocblas_hemvn_kernel_lower_block_sumILi64EifPffEviT1_lS1_lT2_lT0_lPT3_i,comdat
	.globl	_ZL36rocblas_hemvn_kernel_lower_block_sumILi64EifPffEviT1_lS1_lT2_lT0_lPT3_i ; -- Begin function _ZL36rocblas_hemvn_kernel_lower_block_sumILi64EifPffEviT1_lS1_lT2_lT0_lPT3_i
	.p2align	8
	.type	_ZL36rocblas_hemvn_kernel_lower_block_sumILi64EifPffEviT1_lS1_lT2_lT0_lPT3_i,@function
_ZL36rocblas_hemvn_kernel_lower_block_sumILi64EifPffEviT1_lS1_lT2_lT0_lPT3_i: ; @_ZL36rocblas_hemvn_kernel_lower_block_sumILi64EifPffEviT1_lS1_lT2_lT0_lPT3_i
; %bb.0:
	s_load_dwordx2 s[10:11], s[0:1], 0x0
	s_load_dword s9, s[0:1], 0x10
	s_waitcnt lgkmcnt(0)
	v_cmp_eq_f32_e64 s[4:5], s11, 0
	v_cmp_eq_f32_e64 s[6:7], s9, 1.0
	s_and_b64 s[4:5], s[4:5], s[6:7]
	s_and_b64 vcc, exec, s[4:5]
	s_cbranch_vccnz .LBB88_19
; %bb.1:
	s_load_dwordx2 s[12:13], s[0:1], 0x38
	s_load_dwordx4 s[4:7], s[0:1], 0x20
	s_load_dword s8, s[0:1], 0x30
	v_lshl_or_b32 v3, s2, 6, v0
	s_waitcnt lgkmcnt(0)
	s_mul_i32 s13, s13, s3
	s_mul_hi_u32 s14, s12, s3
	s_mul_i32 s12, s12, s3
	s_add_i32 s13, s14, s13
	s_lshl_b64 s[12:13], s[12:13], 2
	s_add_u32 s12, s4, s12
	s_addc_u32 s13, s5, s13
	s_lshl_b64 s[4:5], s[6:7], 2
	s_add_u32 s6, s12, s4
	s_addc_u32 s7, s13, s5
	v_cmp_neq_f32_e64 s[4:5], s11, 0
	s_and_b64 vcc, exec, s[4:5]
	v_cmp_gt_i32_e64 s[4:5], s10, v3
	s_cbranch_vccnz .LBB88_6
; %bb.2:
	s_mov_b64 s[14:15], 0
	s_mov_b64 s[12:13], 0
                                        ; implicit-def: $vgpr4
                                        ; implicit-def: $vgpr0_vgpr1
	s_and_saveexec_b64 s[16:17], s[4:5]
	s_cbranch_execz .LBB88_7
; %bb.3:
	v_cmp_eq_f32_e64 s[4:5], s9, 0
	v_mul_lo_u32 v0, s8, v3
	v_mov_b32_e32 v4, 0
	v_ashrrev_i32_e32 v1, 31, v0
	s_and_b64 vcc, exec, s[4:5]
	s_cbranch_vccnz .LBB88_5
; %bb.4:
	v_lshl_add_u64 v[4:5], v[0:1], 2, s[6:7]
	global_load_dword v2, v[4:5], off
	s_waitcnt vmcnt(0)
	v_mul_f32_e32 v4, s9, v2
.LBB88_5:
	s_mov_b64 s[12:13], exec
	s_or_b64 exec, exec, s[16:17]
	s_and_b64 vcc, exec, s[14:15]
	s_cbranch_vccnz .LBB88_8
	s_branch .LBB88_17
.LBB88_6:
	s_mov_b64 s[12:13], 0
                                        ; implicit-def: $vgpr4
                                        ; implicit-def: $vgpr0_vgpr1
	s_cbranch_execnz .LBB88_8
	s_branch .LBB88_17
.LBB88_7:
	s_or_b64 exec, exec, s[16:17]
	s_and_b64 vcc, exec, s[14:15]
	s_cbranch_vccz .LBB88_17
.LBB88_8:
	v_cmp_gt_i32_e32 vcc, s10, v3
                                        ; implicit-def: $vgpr4
                                        ; implicit-def: $vgpr0_vgpr1
	s_and_saveexec_b64 s[4:5], vcc
	s_cbranch_execz .LBB88_16
; %bb.9:
	s_load_dword s14, s[0:1], 0x50
	v_mov_b32_e32 v2, 0
	s_waitcnt lgkmcnt(0)
	s_cmp_ge_i32 s2, s14
	s_cbranch_scc1 .LBB88_12
; %bb.10:
	s_ashr_i32 s17, s10, 31
	s_mul_i32 s15, s10, s2
	s_load_dwordx2 s[0:1], s[0:1], 0x40
	v_add_u32_e32 v0, s15, v3
	s_mul_hi_u32 s15, s10, s3
	s_mul_i32 s18, s17, s3
	s_add_i32 s15, s15, s18
	s_mul_i32 s3, s10, s3
	s_mov_b32 s16, s10
	s_mul_i32 s15, s15, s14
	s_mul_hi_u32 s10, s3, s14
	s_add_i32 s19, s10, s15
	s_mul_i32 s18, s3, s14
	s_lshl_b64 s[18:19], s[18:19], 2
	s_waitcnt lgkmcnt(0)
	s_add_u32 s0, s0, s18
	v_ashrrev_i32_e32 v1, 31, v0
	s_addc_u32 s1, s1, s19
	v_lshl_add_u64 v[0:1], v[0:1], 2, s[0:1]
	s_lshl_b64 s[0:1], s[16:17], 2
	v_mov_b32_e32 v2, 0
.LBB88_11:                              ; =>This Inner Loop Header: Depth=1
	global_load_dword v4, v[0:1], off
	s_add_i32 s2, s2, 1
	v_lshl_add_u64 v[0:1], v[0:1], 0, s[0:1]
	s_cmp_ge_i32 s2, s14
	s_waitcnt vmcnt(0)
	v_add_f32_e32 v2, v2, v4
	s_cbranch_scc0 .LBB88_11
.LBB88_12:
	v_cmp_eq_f32_e64 s[0:1], s9, 0
	v_mul_lo_u32 v0, s8, v3
	s_and_b64 vcc, exec, s[0:1]
	v_ashrrev_i32_e32 v1, 31, v0
	s_cbranch_vccz .LBB88_20
; %bb.13:
	v_mul_f32_e32 v4, s11, v2
	s_cbranch_execnz .LBB88_15
.LBB88_14:
	v_lshl_add_u64 v[4:5], v[0:1], 2, s[6:7]
	global_load_dword v3, v[4:5], off
	s_mov_b32 s8, s11
	s_waitcnt vmcnt(0)
	v_pk_mul_f32 v[2:3], s[8:9], v[2:3]
	s_nop 0
	v_add_f32_e32 v4, v2, v3
.LBB88_15:
	s_or_b64 s[12:13], s[12:13], exec
.LBB88_16:
	s_or_b64 exec, exec, s[4:5]
.LBB88_17:
	s_and_saveexec_b64 s[0:1], s[12:13]
	s_cbranch_execz .LBB88_19
; %bb.18:
	v_lshl_add_u64 v[0:1], v[0:1], 2, s[6:7]
	global_store_dword v[0:1], v4, off
.LBB88_19:
	s_endpgm
.LBB88_20:
                                        ; implicit-def: $vgpr4
	s_branch .LBB88_14
	.section	.rodata,"a",@progbits
	.p2align	6, 0x0
	.amdhsa_kernel _ZL36rocblas_hemvn_kernel_lower_block_sumILi64EifPffEviT1_lS1_lT2_lT0_lPT3_i
		.amdhsa_group_segment_fixed_size 0
		.amdhsa_private_segment_fixed_size 0
		.amdhsa_kernarg_size 336
		.amdhsa_user_sgpr_count 2
		.amdhsa_user_sgpr_dispatch_ptr 0
		.amdhsa_user_sgpr_queue_ptr 0
		.amdhsa_user_sgpr_kernarg_segment_ptr 1
		.amdhsa_user_sgpr_dispatch_id 0
		.amdhsa_user_sgpr_kernarg_preload_length 0
		.amdhsa_user_sgpr_kernarg_preload_offset 0
		.amdhsa_user_sgpr_private_segment_size 0
		.amdhsa_uses_dynamic_stack 0
		.amdhsa_enable_private_segment 0
		.amdhsa_system_sgpr_workgroup_id_x 1
		.amdhsa_system_sgpr_workgroup_id_y 0
		.amdhsa_system_sgpr_workgroup_id_z 1
		.amdhsa_system_sgpr_workgroup_info 0
		.amdhsa_system_vgpr_workitem_id 0
		.amdhsa_next_free_vgpr 6
		.amdhsa_next_free_sgpr 20
		.amdhsa_accum_offset 8
		.amdhsa_reserve_vcc 1
		.amdhsa_float_round_mode_32 0
		.amdhsa_float_round_mode_16_64 0
		.amdhsa_float_denorm_mode_32 3
		.amdhsa_float_denorm_mode_16_64 3
		.amdhsa_dx10_clamp 1
		.amdhsa_ieee_mode 1
		.amdhsa_fp16_overflow 0
		.amdhsa_tg_split 0
		.amdhsa_exception_fp_ieee_invalid_op 0
		.amdhsa_exception_fp_denorm_src 0
		.amdhsa_exception_fp_ieee_div_zero 0
		.amdhsa_exception_fp_ieee_overflow 0
		.amdhsa_exception_fp_ieee_underflow 0
		.amdhsa_exception_fp_ieee_inexact 0
		.amdhsa_exception_int_div_zero 0
	.end_amdhsa_kernel
	.section	.text._ZL36rocblas_hemvn_kernel_lower_block_sumILi64EifPffEviT1_lS1_lT2_lT0_lPT3_i,"axG",@progbits,_ZL36rocblas_hemvn_kernel_lower_block_sumILi64EifPffEviT1_lS1_lT2_lT0_lPT3_i,comdat
.Lfunc_end88:
	.size	_ZL36rocblas_hemvn_kernel_lower_block_sumILi64EifPffEviT1_lS1_lT2_lT0_lPT3_i, .Lfunc_end88-_ZL36rocblas_hemvn_kernel_lower_block_sumILi64EifPffEviT1_lS1_lT2_lT0_lPT3_i
                                        ; -- End function
	.set _ZL36rocblas_hemvn_kernel_lower_block_sumILi64EifPffEviT1_lS1_lT2_lT0_lPT3_i.num_vgpr, 6
	.set _ZL36rocblas_hemvn_kernel_lower_block_sumILi64EifPffEviT1_lS1_lT2_lT0_lPT3_i.num_agpr, 0
	.set _ZL36rocblas_hemvn_kernel_lower_block_sumILi64EifPffEviT1_lS1_lT2_lT0_lPT3_i.numbered_sgpr, 20
	.set _ZL36rocblas_hemvn_kernel_lower_block_sumILi64EifPffEviT1_lS1_lT2_lT0_lPT3_i.num_named_barrier, 0
	.set _ZL36rocblas_hemvn_kernel_lower_block_sumILi64EifPffEviT1_lS1_lT2_lT0_lPT3_i.private_seg_size, 0
	.set _ZL36rocblas_hemvn_kernel_lower_block_sumILi64EifPffEviT1_lS1_lT2_lT0_lPT3_i.uses_vcc, 1
	.set _ZL36rocblas_hemvn_kernel_lower_block_sumILi64EifPffEviT1_lS1_lT2_lT0_lPT3_i.uses_flat_scratch, 0
	.set _ZL36rocblas_hemvn_kernel_lower_block_sumILi64EifPffEviT1_lS1_lT2_lT0_lPT3_i.has_dyn_sized_stack, 0
	.set _ZL36rocblas_hemvn_kernel_lower_block_sumILi64EifPffEviT1_lS1_lT2_lT0_lPT3_i.has_recursion, 0
	.set _ZL36rocblas_hemvn_kernel_lower_block_sumILi64EifPffEviT1_lS1_lT2_lT0_lPT3_i.has_indirect_call, 0
	.section	.AMDGPU.csdata,"",@progbits
; Kernel info:
; codeLenInByte = 544
; TotalNumSgprs: 26
; NumVgprs: 6
; NumAgprs: 0
; TotalNumVgprs: 6
; ScratchSize: 0
; MemoryBound: 0
; FloatMode: 240
; IeeeMode: 1
; LDSByteSize: 0 bytes/workgroup (compile time only)
; SGPRBlocks: 3
; VGPRBlocks: 0
; NumSGPRsForWavesPerEU: 26
; NumVGPRsForWavesPerEU: 6
; AccumOffset: 8
; Occupancy: 8
; WaveLimiterHint : 0
; COMPUTE_PGM_RSRC2:SCRATCH_EN: 0
; COMPUTE_PGM_RSRC2:USER_SGPR: 2
; COMPUTE_PGM_RSRC2:TRAP_HANDLER: 0
; COMPUTE_PGM_RSRC2:TGID_X_EN: 1
; COMPUTE_PGM_RSRC2:TGID_Y_EN: 0
; COMPUTE_PGM_RSRC2:TGID_Z_EN: 1
; COMPUTE_PGM_RSRC2:TIDIG_COMP_CNT: 0
; COMPUTE_PGM_RSRC3_GFX90A:ACCUM_OFFSET: 1
; COMPUTE_PGM_RSRC3_GFX90A:TG_SPLIT: 0
	.section	.text._ZL50rocblas_symv_kernel_upper_double_buffered_diagonalILi32ELi4E24rocblas_internal_val_ptrIdEPKdPdEvbiT1_lT2_lllS6_lllS5_lT3_llli,"axG",@progbits,_ZL50rocblas_symv_kernel_upper_double_buffered_diagonalILi32ELi4E24rocblas_internal_val_ptrIdEPKdPdEvbiT1_lT2_lllS6_lllS5_lT3_llli,comdat
	.globl	_ZL50rocblas_symv_kernel_upper_double_buffered_diagonalILi32ELi4E24rocblas_internal_val_ptrIdEPKdPdEvbiT1_lT2_lllS6_lllS5_lT3_llli ; -- Begin function _ZL50rocblas_symv_kernel_upper_double_buffered_diagonalILi32ELi4E24rocblas_internal_val_ptrIdEPKdPdEvbiT1_lT2_lllS6_lllS5_lT3_llli
	.p2align	8
	.type	_ZL50rocblas_symv_kernel_upper_double_buffered_diagonalILi32ELi4E24rocblas_internal_val_ptrIdEPKdPdEvbiT1_lT2_lllS6_lllS5_lT3_llli,@function
_ZL50rocblas_symv_kernel_upper_double_buffered_diagonalILi32ELi4E24rocblas_internal_val_ptrIdEPKdPdEvbiT1_lT2_lllS6_lllS5_lT3_llli: ; @_ZL50rocblas_symv_kernel_upper_double_buffered_diagonalILi32ELi4E24rocblas_internal_val_ptrIdEPKdPdEvbiT1_lT2_lllS6_lllS5_lT3_llli
; %bb.0:
	s_load_dword s20, s[0:1], 0x0
	s_load_dwordx16 s[4:19], s[0:1], 0x8
	s_waitcnt lgkmcnt(0)
	s_bitcmp1_b32 s20, 0
	s_load_dwordx8 s[20:27], s[0:1], 0x48
	s_cselect_b64 s[30:31], -1, 0
	s_xor_b64 s[28:29], s[30:31], -1
	s_and_b64 vcc, exec, s[30:31]
	v_mov_b64_e32 v[2:3], s[4:5]
	s_cbranch_vccnz .LBB89_2
; %bb.1:
	s_mul_i32 s7, s7, s3
	s_mul_hi_u32 s30, s6, s3
	s_add_i32 s7, s30, s7
	s_mul_i32 s6, s6, s3
	s_lshl_b64 s[6:7], s[6:7], 3
	s_add_u32 s4, s4, s6
	s_addc_u32 s5, s5, s7
	v_mov_b64_e32 v[2:3], s[4:5]
	flat_load_dwordx2 v[2:3], v[2:3]
.LBB89_2:
	s_andn2_b64 vcc, exec, s[28:29]
	s_waitcnt lgkmcnt(0)
	v_mov_b64_e32 v[4:5], s[24:25]
	s_cbranch_vccnz .LBB89_4
; %bb.3:
	s_mul_i32 s4, s27, s3
	s_mul_hi_u32 s5, s26, s3
	s_add_i32 s5, s5, s4
	s_mul_i32 s4, s26, s3
	s_lshl_b64 s[4:5], s[4:5], 3
	s_add_u32 s4, s24, s4
	s_addc_u32 s5, s25, s5
	v_mov_b64_e32 v[4:5], s[4:5]
	flat_load_dwordx2 v[4:5], v[4:5]
.LBB89_4:
	s_waitcnt vmcnt(0)
	v_cmp_neq_f64_e32 vcc, 0, v[2:3]
	s_waitcnt lgkmcnt(0)
	v_cmp_neq_f64_e64 s[4:5], 1.0, v[4:5]
	s_or_b64 s[4:5], vcc, s[4:5]
	s_and_saveexec_b64 s[6:7], s[4:5]
	s_cbranch_execz .LBB89_33
; %bb.5:
	s_load_dwordx2 s[24:25], s[0:1], 0x80
	s_load_dwordx2 s[26:27], s[0:1], 0x68
	s_load_dwordx4 s[4:7], s[0:1], 0x70
	v_and_b32_e32 v16, 0x3ff, v0
	v_bfe_u32 v17, v0, 10, 10
	s_waitcnt lgkmcnt(0)
	s_mul_i32 s1, s25, s3
	s_mul_hi_u32 s25, s24, s3
	s_mul_i32 s0, s24, s3
	s_add_i32 s1, s25, s1
	s_lshl_b64 s[0:1], s[0:1], 3
	s_add_u32 s24, s26, s0
	s_addc_u32 s25, s27, s1
	s_lshl_b64 s[0:1], s[4:5], 3
	s_add_u32 s4, s24, s0
	s_addc_u32 s5, s25, s1
	s_lshl_b32 s2, s2, 5
	s_ashr_i32 s28, s2, 31
	s_mul_i32 s0, s6, s28
	s_mul_hi_u32 s1, s6, s2
	s_add_i32 s0, s1, s0
	s_mul_i32 s1, s7, s2
	s_add_i32 s1, s0, s1
	s_mul_i32 s0, s6, s2
	s_lshl_b64 s[0:1], s[0:1], 3
	s_add_u32 s4, s4, s0
	s_addc_u32 s5, s5, s1
	v_cmp_eq_f64_e32 vcc, 0, v[2:3]
	s_and_saveexec_b64 s[0:1], vcc
	s_xor_b64 s[0:1], exec, s[0:1]
	s_cbranch_execz .LBB89_9
; %bb.6:
	v_cmp_eq_u32_e32 vcc, 0, v17
	s_and_saveexec_b64 s[24:25], vcc
	s_cbranch_execz .LBB89_8
; %bb.7:
	v_mad_u64_u32 v[0:1], s[26:27], s6, v16, 0
	v_mov_b32_e32 v2, v1
	v_mad_u64_u32 v[2:3], s[26:27], s7, v16, v[2:3]
	v_mov_b32_e32 v1, v2
	v_lshl_add_u64 v[0:1], v[0:1], 3, s[4:5]
	global_load_dwordx2 v[2:3], v[0:1], off
	s_waitcnt vmcnt(0)
	v_mul_f64 v[2:3], v[4:5], v[2:3]
	global_store_dwordx2 v[0:1], v[2:3], off
.LBB89_8:
	s_or_b64 exec, exec, s[24:25]
                                        ; implicit-def: $vgpr17
                                        ; implicit-def: $vgpr16
                                        ; implicit-def: $vgpr2_vgpr3
                                        ; implicit-def: $vgpr4_vgpr5
.LBB89_9:
	s_andn2_saveexec_b64 s[0:1], s[0:1]
	s_cbranch_execz .LBB89_33
; %bb.10:
	v_cmp_eq_u32_e32 vcc, 0, v17
	v_mov_b64_e32 v[0:1], 0
	s_and_saveexec_b64 s[24:25], vcc
	s_cbranch_execz .LBB89_14
; %bb.11:
	v_mov_b64_e32 v[0:1], 0
	v_cmp_neq_f64_e64 s[0:1], 0, v[4:5]
	s_and_saveexec_b64 s[26:27], s[0:1]
	s_cbranch_execz .LBB89_13
; %bb.12:
	v_mad_u64_u32 v[0:1], s[0:1], s6, v16, 0
	v_mov_b32_e32 v6, v1
	v_mad_u64_u32 v[6:7], s[0:1], s7, v16, v[6:7]
	v_mov_b32_e32 v1, v6
	v_lshl_add_u64 v[0:1], v[0:1], 3, s[4:5]
	global_load_dwordx2 v[0:1], v[0:1], off
	s_waitcnt vmcnt(0)
	v_mul_f64 v[0:1], v[4:5], v[0:1]
.LBB89_13:
	s_or_b64 exec, exec, s[26:27]
	s_mul_i32 s0, s23, s3
	s_mul_hi_u32 s1, s22, s3
	s_add_i32 s1, s1, s0
	s_mul_i32 s0, s22, s3
	s_lshl_b64 s[0:1], s[0:1], 3
	s_add_u32 s16, s16, s0
	s_addc_u32 s17, s17, s1
	s_lshl_b64 s[0:1], s[18:19], 3
	s_add_u32 s16, s16, s0
	s_addc_u32 s17, s17, s1
	s_mul_i32 s0, s20, s28
	s_mul_hi_u32 s1, s20, s2
	s_add_i32 s0, s1, s0
	s_mul_i32 s1, s21, s2
	s_add_i32 s1, s0, s1
	s_mul_i32 s0, s20, s2
	s_lshl_b64 s[0:1], s[0:1], 3
	s_add_u32 s0, s16, s0
	s_addc_u32 s1, s17, s1
	v_mad_u64_u32 v[6:7], s[16:17], s20, v16, 0
	v_mov_b32_e32 v8, v7
	v_mad_u64_u32 v[8:9], s[16:17], s21, v16, v[8:9]
	v_mov_b32_e32 v7, v8
	v_lshl_add_u64 v[6:7], v[6:7], 3, s[0:1]
	global_load_dwordx2 v[6:7], v[6:7], off
	v_lshlrev_b32_e32 v8, 3, v16
	s_waitcnt vmcnt(0)
	ds_write_b64 v8, v[6:7] offset:10240
.LBB89_14:
	s_or_b64 exec, exec, s[24:25]
	s_mul_i32 s0, s15, s3
	s_mul_hi_u32 s1, s14, s3
	s_add_i32 s1, s1, s0
	s_mul_i32 s0, s14, s3
	s_lshl_b64 s[0:1], s[0:1], 3
	s_add_u32 s3, s8, s0
	s_addc_u32 s8, s9, s1
	s_lshl_b64 s[0:1], s[10:11], 3
	s_add_u32 s3, s3, s0
	s_addc_u32 s8, s8, s1
	s_add_u32 s0, s12, 1
	s_addc_u32 s1, s13, 0
	s_mul_i32 s9, s0, s28
	s_mul_hi_u32 s10, s0, s2
	s_add_i32 s9, s10, s9
	s_mul_i32 s1, s1, s2
	s_add_i32 s1, s9, s1
	s_mul_i32 s0, s0, s2
	s_lshl_b64 s[0:1], s[0:1], 3
	s_add_u32 s0, s3, s0
	v_mad_u64_u32 v[6:7], s[2:3], s12, v17, 0
	v_mov_b32_e32 v8, v7
	v_mad_u64_u32 v[8:9], s[2:3], s13, v17, v[8:9]
	s_addc_u32 s1, s8, s1
	v_mov_b32_e32 v7, v8
	v_lshl_add_u64 v[8:9], v[6:7], 3, s[0:1]
	v_lshlrev_b32_e32 v6, 3, v16
	v_mov_b32_e32 v7, 0
	v_cmp_lt_u32_e64 s[0:1], 15, v16
	s_mul_i32 s14, s13, 12
	s_mul_hi_u32 s15, s12, 12
	s_mul_i32 s2, s12, 12
                                        ; implicit-def: $sgpr8_sgpr9
                                        ; implicit-def: $sgpr10_sgpr11
	s_and_saveexec_b64 s[16:17], s[0:1]
	s_xor_b64 s[0:1], exec, s[16:17]
; %bb.15:
	s_lshl_b64 s[8:9], s[12:13], 2
	s_lshl_b64 s[10:11], s[12:13], 3
	s_add_i32 s3, s15, s14
; %bb.16:
	s_or_saveexec_b64 s[0:1], s[0:1]
	v_lshl_add_u64 v[8:9], v[8:9], 0, v[6:7]
	v_mov_b64_e32 v[10:11], s[2:3]
	v_mov_b64_e32 v[12:13], s[10:11]
	v_mov_b64_e32 v[14:15], s[8:9]
	v_lshlrev_b32_e32 v7, 8, v17
	s_xor_b64 exec, exec, s[0:1]
	s_cbranch_execz .LBB89_18
; %bb.17:
	s_lshl_b64 s[8:9], s[12:13], 5
	v_lshl_add_u64 v[10:11], v[8:9], 0, s[8:9]
	v_lshl_add_u64 v[12:13], v[10:11], 0, s[8:9]
	;; [unrolled: 1-line block ×3, first 2 shown]
	global_load_dwordx2 v[18:19], v[8:9], off
	global_load_dwordx2 v[20:21], v[10:11], off
	;; [unrolled: 1-line block ×4, first 2 shown]
	v_lshl_add_u32 v14, v16, 3, v7
	s_lshl_b64 s[8:9], s[12:13], 2
	s_lshl_b64 s[10:11], s[12:13], 3
	s_add_i32 s3, s15, s14
	v_mov_b64_e32 v[10:11], s[2:3]
	v_mov_b64_e32 v[12:13], s[10:11]
	s_waitcnt vmcnt(2)
	ds_write2st64_b64 v14, v[18:19], v[20:21] offset1:2
	s_waitcnt vmcnt(0)
	ds_write2st64_b64 v14, v[22:23], v[24:25] offset0:4 offset1:6
	v_mov_b64_e32 v[14:15], s[8:9]
.LBB89_18:
	s_or_b64 exec, exec, s[0:1]
	s_lshl_b64 s[0:1], s[12:13], 7
	v_lshl_add_u64 v[8:9], v[8:9], 0, s[0:1]
	v_lshl_add_u64 v[14:15], v[14:15], 3, v[8:9]
	;; [unrolled: 1-line block ×4, first 2 shown]
	global_load_dwordx2 v[18:19], v[8:9], off
	global_load_dwordx2 v[20:21], v[14:15], off
	;; [unrolled: 1-line block ×4, first 2 shown]
	v_sub_u32_e32 v11, v16, v17
	s_movk_i32 s0, 0xf8
	v_sub_u32_e32 v12, 0, v11
	v_add_u32_e32 v8, 0x1000, v7
	v_add_u32_e32 v9, 0x1400, v7
	;; [unrolled: 1-line block ×4, first 2 shown]
	v_mad_u32_u24 v14, v16, s0, v6
	v_max_i32_e32 v13, v11, v12
	v_add_u32_e32 v8, v6, v8
	v_add_u32_e32 v9, v6, v9
	;; [unrolled: 1-line block ×4, first 2 shown]
	v_cmp_lt_u32_e64 s[0:1], 16, v13
	v_lshl_add_u32 v12, v17, 3, v14
	s_waitcnt vmcnt(3)
	ds_write_b64 v8, v[18:19]
	s_waitcnt vmcnt(2)
	ds_write_b64 v9, v[20:21]
	;; [unrolled: 2-line block ×4, first 2 shown]
	s_waitcnt lgkmcnt(0)
	s_barrier
	s_and_saveexec_b64 s[2:3], s[0:1]
	s_cbranch_execnz .LBB89_34
; %bb.19:
	s_or_b64 exec, exec, s[2:3]
	v_cmp_lt_u32_e64 s[0:1], 20, v13
	s_and_saveexec_b64 s[2:3], s[0:1]
	s_cbranch_execnz .LBB89_35
.LBB89_20:
	s_or_b64 exec, exec, s[2:3]
	v_cmp_lt_u32_e64 s[0:1], 24, v13
	s_and_saveexec_b64 s[2:3], s[0:1]
	s_cbranch_execnz .LBB89_36
.LBB89_21:
	s_or_b64 exec, exec, s[2:3]
	v_cmp_lt_u32_e64 s[0:1], 28, v13
	s_and_saveexec_b64 s[2:3], s[0:1]
	s_cbranch_execz .LBB89_23
.LBB89_22:
	ds_read_b64 v[14:15], v12 offset:224
	s_waitcnt lgkmcnt(0)
	ds_write_b64 v7, v[14:15]
.LBB89_23:
	s_or_b64 exec, exec, s[2:3]
	v_lshlrev_b32_e32 v11, 5, v17
	v_cmp_ge_u32_e64 s[0:1], v16, v17
	s_and_saveexec_b64 s[2:3], s[0:1]
	s_cbranch_execz .LBB89_25
; %bb.24:
	ds_read_b64 v[14:15], v12
	v_lshl_add_u32 v18, v11, 3, v6
	s_waitcnt lgkmcnt(0)
	ds_write_b64 v18, v[14:15]
.LBB89_25:
	s_or_b64 exec, exec, s[2:3]
	v_cmp_lt_u32_e64 s[0:1], 4, v13
	v_lshl_add_u32 v14, v17, 8, v6
	s_and_saveexec_b64 s[2:3], s[0:1]
	s_cbranch_execz .LBB89_27
; %bb.26:
	ds_read_b64 v[18:19], v12 offset:32
	s_waitcnt lgkmcnt(0)
	ds_write_b64 v14, v[18:19] offset:1024
.LBB89_27:
	s_or_b64 exec, exec, s[2:3]
	v_cmp_lt_u32_e64 s[0:1], 8, v13
	s_and_saveexec_b64 s[2:3], s[0:1]
	s_cbranch_execz .LBB89_29
; %bb.28:
	ds_read_b64 v[18:19], v12 offset:64
	s_waitcnt lgkmcnt(0)
	ds_write_b64 v14, v[18:19] offset:2048
.LBB89_29:
	s_or_b64 exec, exec, s[2:3]
	v_cmp_lt_u32_e64 s[0:1], 12, v13
	v_mov_b32_e32 v13, 0xc00
	v_lshl_add_u32 v13, v17, 8, v13
	v_add_u32_e32 v13, v6, v13
	s_and_saveexec_b64 s[2:3], s[0:1]
	s_cbranch_execz .LBB89_31
; %bb.30:
	ds_read_b64 v[18:19], v12 offset:96
	s_waitcnt lgkmcnt(0)
	ds_write_b64 v13, v[18:19]
.LBB89_31:
	s_or_b64 exec, exec, s[2:3]
	s_waitcnt lgkmcnt(0)
	s_barrier
	ds_read2st64_b64 v[18:21], v14 offset1:2
	v_lshlrev_b32_e32 v12, 3, v17
	v_add_u32_e32 v17, 0x2800, v12
	ds_read2_b64 v[22:25], v17 offset1:4
	ds_read_b64 v[14:15], v14 offset:2048
	ds_read2_b64 v[26:29], v17 offset0:8 offset1:12
	s_waitcnt lgkmcnt(2)
	v_fma_f64 v[22:23], v[18:19], v[22:23], 0
	v_fmac_f64_e32 v[22:23], v[20:21], v[24:25]
	ds_read_b64 v[24:25], v13
	s_waitcnt lgkmcnt(1)
	v_fmac_f64_e32 v[22:23], v[14:15], v[26:27]
	ds_read2_b64 v[12:15], v17 offset0:16 offset1:20
	ds_read2_b64 v[18:21], v17 offset0:24 offset1:28
	ds_read_b64 v[26:27], v8
	ds_read_b64 v[8:9], v9
	;; [unrolled: 1-line block ×4, first 2 shown]
	v_add_lshl_u32 v7, v11, v16, 3
	s_waitcnt lgkmcnt(6)
	v_fmac_f64_e32 v[22:23], v[24:25], v[28:29]
	s_waitcnt lgkmcnt(3)
	v_fmac_f64_e32 v[22:23], v[26:27], v[12:13]
	;; [unrolled: 2-line block ×5, first 2 shown]
	ds_write_b64 v7, v[22:23] offset:8192
	s_waitcnt lgkmcnt(0)
	s_barrier
	s_and_saveexec_b64 s[0:1], vcc
	s_cbranch_execz .LBB89_33
; %bb.32:
	v_add_u32_e32 v10, 0x2000, v6
	ds_read2_b64 v[6:9], v10 offset1:32
	ds_read2_b64 v[10:13], v10 offset0:64 offset1:96
	v_cmp_neq_f64_e32 vcc, 0, v[4:5]
	s_waitcnt lgkmcnt(1)
	v_add_f64 v[6:7], v[6:7], 0
	v_add_f64 v[6:7], v[6:7], v[8:9]
	s_waitcnt lgkmcnt(0)
	v_add_f64 v[6:7], v[6:7], v[10:11]
	v_add_f64 v[6:7], v[6:7], v[12:13]
	v_mul_f64 v[8:9], v[2:3], v[6:7]
	v_fmac_f64_e32 v[0:1], v[2:3], v[6:7]
	v_mad_u64_u32 v[2:3], s[0:1], s6, v16, 0
	v_mov_b32_e32 v4, v3
	v_mad_u64_u32 v[4:5], s[0:1], s7, v16, v[4:5]
	v_mov_b32_e32 v3, v4
	v_cndmask_b32_e32 v1, v9, v1, vcc
	v_cndmask_b32_e32 v0, v8, v0, vcc
	v_lshl_add_u64 v[2:3], v[2:3], 3, s[4:5]
	global_store_dwordx2 v[2:3], v[0:1], off
.LBB89_33:
	s_endpgm
.LBB89_34:
	ds_read_b64 v[14:15], v12 offset:128
	s_waitcnt lgkmcnt(0)
	ds_write_b64 v8, v[14:15]
	s_or_b64 exec, exec, s[2:3]
	v_cmp_lt_u32_e64 s[0:1], 20, v13
	s_and_saveexec_b64 s[2:3], s[0:1]
	s_cbranch_execz .LBB89_20
.LBB89_35:
	ds_read_b64 v[14:15], v12 offset:160
	s_waitcnt lgkmcnt(0)
	ds_write_b64 v9, v[14:15]
	s_or_b64 exec, exec, s[2:3]
	v_cmp_lt_u32_e64 s[0:1], 24, v13
	s_and_saveexec_b64 s[2:3], s[0:1]
	s_cbranch_execz .LBB89_21
.LBB89_36:
	ds_read_b64 v[14:15], v12 offset:192
	s_waitcnt lgkmcnt(0)
	ds_write_b64 v10, v[14:15]
	s_or_b64 exec, exec, s[2:3]
	v_cmp_lt_u32_e64 s[0:1], 28, v13
	s_and_saveexec_b64 s[2:3], s[0:1]
	s_cbranch_execnz .LBB89_22
	s_branch .LBB89_23
	.section	.rodata,"a",@progbits
	.p2align	6, 0x0
	.amdhsa_kernel _ZL50rocblas_symv_kernel_upper_double_buffered_diagonalILi32ELi4E24rocblas_internal_val_ptrIdEPKdPdEvbiT1_lT2_lllS6_lllS5_lT3_llli
		.amdhsa_group_segment_fixed_size 10496
		.amdhsa_private_segment_fixed_size 0
		.amdhsa_kernarg_size 140
		.amdhsa_user_sgpr_count 2
		.amdhsa_user_sgpr_dispatch_ptr 0
		.amdhsa_user_sgpr_queue_ptr 0
		.amdhsa_user_sgpr_kernarg_segment_ptr 1
		.amdhsa_user_sgpr_dispatch_id 0
		.amdhsa_user_sgpr_kernarg_preload_length 0
		.amdhsa_user_sgpr_kernarg_preload_offset 0
		.amdhsa_user_sgpr_private_segment_size 0
		.amdhsa_uses_dynamic_stack 0
		.amdhsa_enable_private_segment 0
		.amdhsa_system_sgpr_workgroup_id_x 1
		.amdhsa_system_sgpr_workgroup_id_y 0
		.amdhsa_system_sgpr_workgroup_id_z 1
		.amdhsa_system_sgpr_workgroup_info 0
		.amdhsa_system_vgpr_workitem_id 1
		.amdhsa_next_free_vgpr 34
		.amdhsa_next_free_sgpr 32
		.amdhsa_accum_offset 36
		.amdhsa_reserve_vcc 1
		.amdhsa_float_round_mode_32 0
		.amdhsa_float_round_mode_16_64 0
		.amdhsa_float_denorm_mode_32 3
		.amdhsa_float_denorm_mode_16_64 3
		.amdhsa_dx10_clamp 1
		.amdhsa_ieee_mode 1
		.amdhsa_fp16_overflow 0
		.amdhsa_tg_split 0
		.amdhsa_exception_fp_ieee_invalid_op 0
		.amdhsa_exception_fp_denorm_src 0
		.amdhsa_exception_fp_ieee_div_zero 0
		.amdhsa_exception_fp_ieee_overflow 0
		.amdhsa_exception_fp_ieee_underflow 0
		.amdhsa_exception_fp_ieee_inexact 0
		.amdhsa_exception_int_div_zero 0
	.end_amdhsa_kernel
	.section	.text._ZL50rocblas_symv_kernel_upper_double_buffered_diagonalILi32ELi4E24rocblas_internal_val_ptrIdEPKdPdEvbiT1_lT2_lllS6_lllS5_lT3_llli,"axG",@progbits,_ZL50rocblas_symv_kernel_upper_double_buffered_diagonalILi32ELi4E24rocblas_internal_val_ptrIdEPKdPdEvbiT1_lT2_lllS6_lllS5_lT3_llli,comdat
.Lfunc_end89:
	.size	_ZL50rocblas_symv_kernel_upper_double_buffered_diagonalILi32ELi4E24rocblas_internal_val_ptrIdEPKdPdEvbiT1_lT2_lllS6_lllS5_lT3_llli, .Lfunc_end89-_ZL50rocblas_symv_kernel_upper_double_buffered_diagonalILi32ELi4E24rocblas_internal_val_ptrIdEPKdPdEvbiT1_lT2_lllS6_lllS5_lT3_llli
                                        ; -- End function
	.set _ZL50rocblas_symv_kernel_upper_double_buffered_diagonalILi32ELi4E24rocblas_internal_val_ptrIdEPKdPdEvbiT1_lT2_lllS6_lllS5_lT3_llli.num_vgpr, 34
	.set _ZL50rocblas_symv_kernel_upper_double_buffered_diagonalILi32ELi4E24rocblas_internal_val_ptrIdEPKdPdEvbiT1_lT2_lllS6_lllS5_lT3_llli.num_agpr, 0
	.set _ZL50rocblas_symv_kernel_upper_double_buffered_diagonalILi32ELi4E24rocblas_internal_val_ptrIdEPKdPdEvbiT1_lT2_lllS6_lllS5_lT3_llli.numbered_sgpr, 32
	.set _ZL50rocblas_symv_kernel_upper_double_buffered_diagonalILi32ELi4E24rocblas_internal_val_ptrIdEPKdPdEvbiT1_lT2_lllS6_lllS5_lT3_llli.num_named_barrier, 0
	.set _ZL50rocblas_symv_kernel_upper_double_buffered_diagonalILi32ELi4E24rocblas_internal_val_ptrIdEPKdPdEvbiT1_lT2_lllS6_lllS5_lT3_llli.private_seg_size, 0
	.set _ZL50rocblas_symv_kernel_upper_double_buffered_diagonalILi32ELi4E24rocblas_internal_val_ptrIdEPKdPdEvbiT1_lT2_lllS6_lllS5_lT3_llli.uses_vcc, 1
	.set _ZL50rocblas_symv_kernel_upper_double_buffered_diagonalILi32ELi4E24rocblas_internal_val_ptrIdEPKdPdEvbiT1_lT2_lllS6_lllS5_lT3_llli.uses_flat_scratch, 0
	.set _ZL50rocblas_symv_kernel_upper_double_buffered_diagonalILi32ELi4E24rocblas_internal_val_ptrIdEPKdPdEvbiT1_lT2_lllS6_lllS5_lT3_llli.has_dyn_sized_stack, 0
	.set _ZL50rocblas_symv_kernel_upper_double_buffered_diagonalILi32ELi4E24rocblas_internal_val_ptrIdEPKdPdEvbiT1_lT2_lllS6_lllS5_lT3_llli.has_recursion, 0
	.set _ZL50rocblas_symv_kernel_upper_double_buffered_diagonalILi32ELi4E24rocblas_internal_val_ptrIdEPKdPdEvbiT1_lT2_lllS6_lllS5_lT3_llli.has_indirect_call, 0
	.section	.AMDGPU.csdata,"",@progbits
; Kernel info:
; codeLenInByte = 1920
; TotalNumSgprs: 38
; NumVgprs: 34
; NumAgprs: 0
; TotalNumVgprs: 34
; ScratchSize: 0
; MemoryBound: 0
; FloatMode: 240
; IeeeMode: 1
; LDSByteSize: 10496 bytes/workgroup (compile time only)
; SGPRBlocks: 4
; VGPRBlocks: 4
; NumSGPRsForWavesPerEU: 38
; NumVGPRsForWavesPerEU: 34
; AccumOffset: 36
; Occupancy: 8
; WaveLimiterHint : 0
; COMPUTE_PGM_RSRC2:SCRATCH_EN: 0
; COMPUTE_PGM_RSRC2:USER_SGPR: 2
; COMPUTE_PGM_RSRC2:TRAP_HANDLER: 0
; COMPUTE_PGM_RSRC2:TGID_X_EN: 1
; COMPUTE_PGM_RSRC2:TGID_Y_EN: 0
; COMPUTE_PGM_RSRC2:TGID_Z_EN: 1
; COMPUTE_PGM_RSRC2:TIDIG_COMP_CNT: 1
; COMPUTE_PGM_RSRC3_GFX90A:ACCUM_OFFSET: 8
; COMPUTE_PGM_RSRC3_GFX90A:TG_SPLIT: 0
	.section	.text._ZL54rocblas_symv_kernel_upper_double_buffered_non_diagonalILi32ELi4ELi4E24rocblas_internal_val_ptrIdEPKdPdEvbiT2_lT3_lllS6_lllT4_llli,"axG",@progbits,_ZL54rocblas_symv_kernel_upper_double_buffered_non_diagonalILi32ELi4ELi4E24rocblas_internal_val_ptrIdEPKdPdEvbiT2_lT3_lllS6_lllT4_llli,comdat
	.globl	_ZL54rocblas_symv_kernel_upper_double_buffered_non_diagonalILi32ELi4ELi4E24rocblas_internal_val_ptrIdEPKdPdEvbiT2_lT3_lllS6_lllT4_llli ; -- Begin function _ZL54rocblas_symv_kernel_upper_double_buffered_non_diagonalILi32ELi4ELi4E24rocblas_internal_val_ptrIdEPKdPdEvbiT2_lT3_lllS6_lllT4_llli
	.p2align	8
	.type	_ZL54rocblas_symv_kernel_upper_double_buffered_non_diagonalILi32ELi4ELi4E24rocblas_internal_val_ptrIdEPKdPdEvbiT2_lT3_lllS6_lllT4_llli,@function
_ZL54rocblas_symv_kernel_upper_double_buffered_non_diagonalILi32ELi4ELi4E24rocblas_internal_val_ptrIdEPKdPdEvbiT2_lT3_lllS6_lllT4_llli: ; @_ZL54rocblas_symv_kernel_upper_double_buffered_non_diagonalILi32ELi4ELi4E24rocblas_internal_val_ptrIdEPKdPdEvbiT2_lT3_lllS6_lllT4_llli
; %bb.0:
	s_load_dword s5, s[0:1], 0x0
	s_load_dwordx16 s[8:23], s[0:1], 0x8
	s_waitcnt lgkmcnt(0)
	s_bitcmp1_b32 s5, 0
	s_cselect_b64 s[6:7], -1, 0
	s_and_b64 vcc, exec, s[6:7]
	v_mov_b64_e32 v[2:3], s[8:9]
	s_cbranch_vccnz .LBB90_2
; %bb.1:
	s_mul_i32 s5, s11, s4
	s_mul_hi_u32 s6, s10, s4
	s_add_i32 s7, s6, s5
	s_mul_i32 s6, s10, s4
	s_lshl_b64 s[6:7], s[6:7], 3
	s_add_u32 s6, s8, s6
	s_addc_u32 s7, s9, s7
	v_mov_b64_e32 v[2:3], s[6:7]
	flat_load_dwordx2 v[2:3], v[2:3]
.LBB90_2:
	s_waitcnt vmcnt(0) lgkmcnt(0)
	v_cmp_neq_f64_e32 vcc, 0, v[2:3]
	s_and_saveexec_b64 s[6:7], vcc
	s_cbranch_execz .LBB90_23
; %bb.3:
	s_load_dword s10, s[0:1], 0x84
	s_cmp_eq_u32 s2, 0
	s_waitcnt lgkmcnt(0)
	v_cvt_f32_u32_e32 v1, s10
	v_rcp_iflag_f32_e32 v1, v1
	s_nop 0
	v_mul_f32_e32 v1, 0x4f7ffffe, v1
	v_cvt_u32_f32_e32 v1, v1
	s_nop 0
	v_readfirstlane_b32 s5, v1
	s_cbranch_scc1 .LBB90_23
; %bb.4:
	s_load_dwordx4 s[24:27], s[0:1], 0x48
	s_sub_i32 s6, 0, s10
	s_mul_i32 s6, s6, s5
	s_mul_hi_u32 s6, s5, s6
	s_add_i32 s5, s5, s6
	s_mul_hi_u32 s11, s2, s5
	s_waitcnt lgkmcnt(0)
	s_mul_i32 s5, s27, s4
	s_mul_hi_u32 s6, s26, s4
	s_add_i32 s7, s6, s5
	s_mul_i32 s6, s26, s4
	s_lshl_b64 s[26:27], s[6:7], 3
	s_add_u32 s5, s20, s26
	s_addc_u32 s6, s21, s27
	s_lshl_b64 s[22:23], s[22:23], 3
	s_add_u32 s5, s5, s22
	s_addc_u32 s35, s6, s23
	v_and_b32_e32 v60, 0x3ff, v0
	v_bfe_u32 v0, v0, 10, 10
	s_lshl_b32 s6, s2, 5
	s_ashr_i32 s7, s6, 31
	v_cmp_eq_u32_e32 vcc, 0, v0
	s_and_saveexec_b64 s[8:9], vcc
	s_cbranch_execz .LBB90_6
; %bb.5:
	s_mul_i32 s28, s24, s7
	s_mul_hi_u32 s29, s24, s6
	s_add_i32 s28, s29, s28
	s_mul_i32 s29, s25, s6
	s_add_i32 s29, s28, s29
	s_mul_i32 s28, s24, s6
	v_mad_u64_u32 v[4:5], s[30:31], s24, v60, 0
	s_lshl_b64 s[28:29], s[28:29], 3
	v_mov_b32_e32 v6, v5
	s_add_u32 s28, s5, s28
	v_mad_u64_u32 v[6:7], s[30:31], s25, v60, v[6:7]
	s_addc_u32 s29, s35, s29
	v_mov_b32_e32 v5, v6
	v_lshl_add_u64 v[4:5], v[4:5], 3, s[28:29]
	global_load_dwordx2 v[4:5], v[4:5], off
	v_lshlrev_b32_e32 v1, 3, v60
	s_waitcnt vmcnt(0)
	ds_write_b64 v1, v[4:5] offset:6144
.LBB90_6:
	s_or_b64 exec, exec, s[8:9]
	s_mul_i32 s8, s11, s10
	s_sub_i32 s8, s2, s8
	s_add_i32 s9, s11, 1
	s_sub_i32 s28, s8, s10
	s_cmp_ge_u32 s8, s10
	s_cselect_b32 s9, s9, s11
	s_cselect_b32 s8, s28, s8
	s_add_i32 s11, s9, 1
	s_cmp_ge_u32 s8, s10
	s_cselect_b32 s28, s11, s9
	s_add_i32 s8, s10, -1
	s_cmp_lg_u32 s3, s8
	s_mov_b32 s41, s28
	s_cbranch_scc1 .LBB90_8
; %bb.7:
	s_mul_i32 s8, s28, s10
	s_sub_i32 s2, s2, s8
	s_add_i32 s41, s2, s28
.LBB90_8:
	s_cmp_eq_u32 s41, 0
	s_cbranch_scc1 .LBB90_23
; %bb.9:
	s_load_dwordx2 s[30:31], s[0:1], 0x70
	s_load_dwordx2 s[36:37], s[0:1], 0x58
	s_load_dwordx4 s[8:11], s[0:1], 0x60
	v_lshl_add_u32 v8, v0, 5, v60
	v_and_b32_e32 v0, 15, v60
	s_waitcnt lgkmcnt(0)
	s_mul_i32 s1, s31, s4
	s_mul_hi_u32 s2, s30, s4
	s_mul_i32 s0, s30, s4
	s_add_i32 s1, s2, s1
	s_lshl_b64 s[0:1], s[0:1], 3
	s_add_u32 s2, s36, s0
	s_addc_u32 s29, s37, s1
	s_lshl_b64 s[0:1], s[8:9], 3
	s_add_u32 s33, s2, s0
	s_addc_u32 s38, s29, s1
	v_lshrrev_b32_e32 v61, 4, v8
	s_cmp_lt_i32 s41, 1
	s_barrier
	s_cbranch_scc1 .LBB90_16
; %bb.10:
	s_mul_i32 s3, s3, s28
	s_mul_i32 s0, s19, s4
	s_mul_hi_u32 s1, s18, s4
	s_lshl_b32 s8, s3, 5
	s_add_i32 s1, s1, s0
	s_mul_i32 s0, s18, s4
	s_ashr_i32 s9, s8, 31
	s_lshl_b64 s[28:29], s[0:1], 3
	s_add_u32 s0, s12, s28
	s_addc_u32 s1, s13, s29
	s_lshl_b64 s[30:31], s[14:15], 3
	s_add_u32 s2, s0, s30
	s_addc_u32 s3, s1, s31
	s_mul_i32 s0, s16, s7
	s_mul_hi_u32 s1, s16, s6
	s_add_i32 s0, s1, s0
	s_mul_i32 s1, s17, s6
	s_add_i32 s1, s0, s1
	s_mul_i32 s0, s16, s6
	s_lshl_b64 s[0:1], s[0:1], 3
	s_add_u32 s39, s2, s0
	v_lshlrev_b32_e32 v5, 2, v61
	v_mov_b32_e32 v1, 0
	s_addc_u32 s40, s3, s1
	v_mad_u64_u32 v[6:7], s[0:1], s16, v5, v[0:1]
	s_lshl_b64 s[2:3], s[8:9], 3
	v_mov_b32_e32 v4, v7
	s_add_u32 s14, s39, s2
	v_mad_u64_u32 v[4:5], s[0:1], s17, v5, v[4:5]
	s_addc_u32 s15, s40, s3
	v_mov_b32_e32 v7, v4
	v_lshl_add_u64 v[4:5], v[6:7], 3, s[14:15]
	s_lshl_b64 s[0:1], s[16:17], 3
	v_lshl_add_u64 v[10:11], v[4:5], 0, s[0:1]
	v_lshl_add_u64 v[12:13], v[10:11], 0, s[0:1]
	;; [unrolled: 1-line block ×3, first 2 shown]
	global_load_dwordx2 v[18:19], v[4:5], off
	global_load_dwordx2 v[20:21], v[10:11], off
	;; [unrolled: 1-line block ×4, first 2 shown]
	v_mad_u64_u32 v[4:5], s[18:19], s24, v0, 0
	v_mov_b32_e32 v10, v5
	v_mad_u64_u32 v[10:11], s[18:19], s25, v0, v[10:11]
	s_mul_i32 s4, s10, s9
	s_mul_hi_u32 s18, s10, s8
	s_add_i32 s4, s18, s4
	s_mul_i32 s18, s11, s8
	s_add_i32 s19, s4, s18
	s_mul_i32 s18, s10, s8
	s_lshl_b64 s[18:19], s[18:19], 3
	s_add_u32 s18, s33, s18
	s_mul_i32 s4, s24, s9
	s_mul_hi_u32 s9, s24, s8
	s_addc_u32 s19, s38, s19
	s_add_i32 s4, s9, s4
	s_mul_i32 s9, s25, s8
	s_add_i32 s9, s4, s9
	s_mul_i32 s8, s24, s8
	s_lshl_b64 s[36:37], s[8:9], 3
	s_add_u32 s34, s5, s36
	v_mov_b32_e32 v5, v10
	s_addc_u32 s35, s35, s37
	v_lshl_add_u64 v[4:5], v[4:5], 3, s[34:35]
	global_load_dwordx2 v[26:27], v[4:5], off
	v_mov_b32_e32 v4, 0x1000
	v_mov_b32_e32 v5, 0x1800
	v_lshl_or_b32 v63, v0, 3, v4
	v_lshl_add_u32 v65, v61, 5, v5
	v_lshl_add_u32 v62, v60, 3, v4
	v_mad_u64_u32 v[4:5], s[4:5], s10, v60, 0
	v_mov_b32_e32 v10, v5
	v_mad_u64_u32 v[10:11], s[4:5], s11, v60, v[10:11]
	v_lshlrev_b32_e32 v64, 8, v61
	v_mov_b32_e32 v5, v10
	v_mov_b64_e32 v[10:11], 0
	s_cmp_eq_u32 s41, 1
	s_cbranch_scc1 .LBB90_17
; %bb.11:
	s_lshl_b64 s[4:5], s[24:25], 8
	s_lshl_b64 s[8:9], s[10:11], 8
	s_add_i32 s41, s41, -1
	v_lshlrev_b32_e32 v8, 1, v8
	s_add_u32 s14, s30, s28
	v_and_b32_e32 v8, 0x1ffe0, v8
	v_mov_b32_e32 v9, v1
	s_addc_u32 s15, s31, s29
	v_lshl_add_u64 v[8:9], s[6:7], 3, v[8:9]
	v_mov_b64_e32 v[10:11], s[14:15]
	v_mad_u64_u32 v[12:13], s[14:15], s16, v8, v[10:11]
	v_mul_lo_u32 v14, s16, v9
	v_mul_lo_u32 v15, s17, v8
	v_add3_u32 v13, v15, v13, v14
	v_lshlrev_b32_e32 v14, 3, v0
	v_mov_b32_e32 v15, v1
	v_lshl_add_u64 v[12:13], v[12:13], 0, v[14:15]
	v_lshl_add_u64 v[28:29], s[12:13], 0, v[12:13]
	;; [unrolled: 1-line block ×3, first 2 shown]
	v_mad_u64_u32 v[16:17], s[14:15], s16, v12, v[10:11]
	v_mul_lo_u32 v1, s16, v13
	v_mul_lo_u32 v12, s17, v12
	v_add3_u32 v17, v12, v17, v1
	v_lshl_add_u64 v[12:13], v[16:17], 0, v[14:15]
	v_lshl_add_u64 v[30:31], s[12:13], 0, v[12:13]
	;; [unrolled: 1-line block ×3, first 2 shown]
	v_mad_u64_u32 v[16:17], s[14:15], s16, v12, v[10:11]
	v_mul_lo_u32 v1, s16, v13
	v_mul_lo_u32 v12, s17, v12
	v_lshl_add_u64 v[8:9], v[8:9], 0, 8
	v_add3_u32 v17, v12, v17, v1
	v_mad_u64_u32 v[10:11], s[14:15], s16, v8, v[10:11]
	v_mul_lo_u32 v1, s16, v9
	v_mul_lo_u32 v8, s17, v8
	v_add3_u32 v11, v8, v11, v1
	v_lshl_add_u64 v[12:13], v[16:17], 0, v[14:15]
	v_lshl_add_u64 v[8:9], v[10:11], 0, v[14:15]
	;; [unrolled: 1-line block ×5, first 2 shown]
	s_mov_b64 s[12:13], 0x80
	v_lshl_add_u64 v[10:11], v[8:9], 0, s[12:13]
	s_add_u32 s12, s20, s26
	s_addc_u32 s13, s21, s27
	v_mov_b64_e32 v[12:13], s[12:13]
	v_mad_u64_u32 v[44:45], s[12:13], s24, v10, v[12:13]
	s_add_u32 s12, s36, s26
	s_addc_u32 s13, s37, s27
	s_add_u32 s20, s20, s12
	s_addc_u32 s21, s21, s13
	s_mov_b64 s[12:13], 0x100
	v_mul_lo_u32 v1, s24, v11
	v_mul_lo_u32 v11, s25, v10
	v_lshl_add_u64 v[8:9], v[8:9], 0, s[12:13]
	v_add3_u32 v45, v11, v45, v1
	v_mul_lo_u32 v1, s24, v9
	v_mul_lo_u32 v9, s25, v8
	v_mad_u64_u32 v[46:47], s[14:15], s24, v8, v[12:13]
	v_add3_u32 v47, v9, v47, v1
	v_mov_b64_e32 v[8:9], 0
	v_mov_b64_e32 v[16:17], s[18:19]
	;; [unrolled: 1-line block ×5, first 2 shown]
.LBB90_12:                              ; =>This Inner Loop Header: Depth=1
	v_lshl_add_u64 v[48:49], v[28:29], 0, s[2:3]
	global_load_dwordx2 v[52:53], v[48:49], off offset:128
	v_lshl_add_u64 v[66:67], v[42:43], 0, s[2:3]
	global_load_dwordx2 v[54:55], v[66:67], off offset:128
	v_lshl_add_u64 v[68:69], v[30:31], 0, s[2:3]
	v_lshl_add_u64 v[32:33], v[44:45], 0, s[22:23]
	global_load_dwordx2 v[56:57], v[68:69], off offset:128
	v_lshl_add_u64 v[70:71], v[36:37], 0, s[2:3]
	global_load_dwordx2 v[50:51], v[32:33], off
	global_load_dwordx2 v[58:59], v[70:71], off offset:128
	global_load_dwordx2 v[40:41], v[48:49], off offset:256
	;; [unrolled: 1-line block ×4, first 2 shown]
	s_nop 0
	global_load_dwordx2 v[32:33], v[70:71], off offset:256
	v_lshl_add_u64 v[48:49], v[46:47], 0, s[22:23]
	global_load_dwordx2 v[48:49], v[48:49], off
	ds_read_b128 v[66:69], v65
	ds_read_b128 v[70:73], v65 offset:16
	v_add_u32_e32 v1, v63, v64
	s_waitcnt lgkmcnt(0)
	s_barrier
	s_waitcnt vmcnt(14)
	v_fma_f64 v[74:75], v[18:19], v[66:67], 0
	s_waitcnt vmcnt(13)
	v_fmac_f64_e32 v[74:75], v[20:21], v[68:69]
	s_waitcnt vmcnt(12)
	v_fmac_f64_e32 v[74:75], v[22:23], v[70:71]
	;; [unrolled: 2-line block ×3, first 2 shown]
	s_waitcnt vmcnt(9)
	v_fma_f64 v[66:67], v[52:53], v[66:67], 0
	s_waitcnt vmcnt(8)
	v_fmac_f64_e32 v[66:67], v[54:55], v[68:69]
	s_waitcnt vmcnt(7)
	v_fmac_f64_e32 v[66:67], v[56:57], v[70:71]
	;; [unrolled: 2-line block ×3, first 2 shown]
	ds_write2_b64 v1, v[74:75], v[66:67] offset1:16
	s_waitcnt lgkmcnt(0)
	s_barrier
	s_and_saveexec_b64 s[14:15], vcc
	s_cbranch_execz .LBB90_14
; %bb.13:                               ;   in Loop: Header=BB90_12 Depth=1
	ds_read2_b64 v[66:69], v62 offset1:32
	s_waitcnt lgkmcnt(0)
	v_add_f64 v[66:67], v[66:67], 0
	v_add_f64 v[70:71], v[66:67], v[68:69]
	ds_read2_b64 v[66:69], v62 offset0:64 offset1:96
	s_waitcnt lgkmcnt(0)
	v_add_f64 v[66:67], v[70:71], v[66:67]
	v_add_f64 v[70:71], v[66:67], v[68:69]
	ds_read2_b64 v[66:69], v62 offset0:128 offset1:160
	;; [unrolled: 4-line block ×3, first 2 shown]
	s_waitcnt lgkmcnt(0)
	v_add_f64 v[66:67], v[70:71], v[66:67]
	v_add_f64 v[66:67], v[66:67], v[68:69]
	v_lshl_add_u64 v[68:69], v[4:5], 3, v[16:17]
	v_mul_f64 v[66:67], v[2:3], v[66:67]
	global_atomic_add_f64 v[68:69], v[66:67], off
	v_lshl_add_u64 v[16:17], v[16:17], 0, s[8:9]
.LBB90_14:                              ;   in Loop: Header=BB90_12 Depth=1
	s_or_b64 exec, exec, s[14:15]
	s_add_i32 s41, s41, -1
	s_add_u32 s39, s39, 0x100
	s_addc_u32 s40, s40, 0
	s_add_u32 s20, s20, s4
	s_addc_u32 s21, s21, s5
	;; [unrolled: 2-line block ×3, first 2 shown]
	s_add_u32 s14, s39, s2
	v_fmac_f64_e32 v[8:9], v[26:27], v[18:19]
	v_fmac_f64_e32 v[14:15], v[26:27], v[20:21]
	;; [unrolled: 1-line block ×4, first 2 shown]
	s_addc_u32 s15, s40, s3
	v_fmac_f64_e32 v[8:9], v[50:51], v[52:53]
	v_fmac_f64_e32 v[14:15], v[50:51], v[54:55]
	;; [unrolled: 1-line block ×4, first 2 shown]
	v_lshl_add_u64 v[28:29], v[28:29], 0, s[12:13]
	v_lshl_add_u64 v[30:31], v[30:31], 0, s[12:13]
	;; [unrolled: 1-line block ×5, first 2 shown]
	s_cmp_eq_u32 s41, 0
	v_lshl_add_u64 v[46:47], v[46:47], 0, s[4:5]
	s_cbranch_scc1 .LBB90_18
; %bb.15:                               ;   in Loop: Header=BB90_12 Depth=1
	s_waitcnt vmcnt(0)
	v_mov_b64_e32 v[26:27], v[48:49]
	v_mov_b64_e32 v[18:19], v[40:41]
	v_mov_b64_e32 v[20:21], v[38:39]
	v_mov_b64_e32 v[22:23], v[34:35]
	v_mov_b64_e32 v[24:25], v[32:33]
	s_branch .LBB90_12
.LBB90_16:
	v_mov_b64_e32 v[10:11], 0
	v_mov_b64_e32 v[12:13], 0
	;; [unrolled: 1-line block ×4, first 2 shown]
	s_branch .LBB90_21
.LBB90_17:
	v_mov_b64_e32 v[16:17], s[18:19]
	s_waitcnt vmcnt(1)
	v_mov_b64_e32 v[32:33], v[24:25]
	v_mov_b64_e32 v[34:35], v[22:23]
	;; [unrolled: 1-line block ×7, first 2 shown]
	s_waitcnt vmcnt(0)
	v_mov_b64_e32 v[48:49], v[26:27]
.LBB90_18:
	v_or_b32_e32 v1, 16, v0
	v_lshl_add_u64 v[28:29], v[6:7], 3, s[14:15]
	v_mad_u64_u32 v[24:25], s[2:3], s24, v1, 0
	v_lshl_add_u64 v[30:31], s[16:17], 3, v[28:29]
	v_mov_b32_e32 v26, v25
	v_lshl_add_u64 v[36:37], v[30:31], 0, s[0:1]
	v_lshl_add_u64 v[42:43], v[36:37], 0, s[0:1]
	v_mad_u64_u32 v[26:27], s[0:1], s25, v1, v[26:27]
	v_mov_b32_e32 v25, v26
	global_load_dwordx2 v[22:23], v[28:29], off offset:128
	global_load_dwordx2 v[20:21], v[30:31], off offset:128
	;; [unrolled: 1-line block ×4, first 2 shown]
	v_lshl_add_u64 v[24:25], v[24:25], 3, s[34:35]
	global_load_dwordx2 v[24:25], v[24:25], off
	ds_read_b128 v[26:29], v65
	ds_read_b128 v[42:45], v65 offset:16
	s_waitcnt vmcnt(5)
	v_fmac_f64_e32 v[8:9], v[48:49], v[40:41]
	v_fmac_f64_e32 v[14:15], v[48:49], v[38:39]
	v_fmac_f64_e32 v[12:13], v[48:49], v[34:35]
	s_waitcnt lgkmcnt(1)
	v_fma_f64 v[30:31], v[40:41], v[26:27], 0
	v_fmac_f64_e32 v[30:31], v[38:39], v[28:29]
	s_waitcnt lgkmcnt(0)
	v_fmac_f64_e32 v[30:31], v[34:35], v[42:43]
	v_fmac_f64_e32 v[10:11], v[48:49], v[32:33]
	v_add_u32_e32 v1, v63, v64
	v_fmac_f64_e32 v[30:31], v[32:33], v[44:45]
	s_barrier
	s_waitcnt vmcnt(4)
	v_fma_f64 v[26:27], v[22:23], v[26:27], 0
	s_waitcnt vmcnt(3)
	v_fmac_f64_e32 v[26:27], v[20:21], v[28:29]
	s_waitcnt vmcnt(2)
	v_fmac_f64_e32 v[26:27], v[18:19], v[42:43]
	;; [unrolled: 2-line block ×3, first 2 shown]
	ds_write2_b64 v1, v[30:31], v[26:27] offset1:16
	s_waitcnt lgkmcnt(0)
	s_barrier
	s_and_saveexec_b64 s[0:1], vcc
	s_cbranch_execz .LBB90_20
; %bb.19:
	ds_read2_b64 v[26:29], v62 offset1:32
	ds_read2_b64 v[30:33], v62 offset0:64 offset1:96
	ds_read2_b64 v[34:37], v62 offset0:128 offset1:160
	ds_read2_b64 v[38:41], v62 offset0:192 offset1:224
	v_lshl_add_u64 v[4:5], v[4:5], 3, v[16:17]
	s_waitcnt lgkmcnt(3)
	v_add_f64 v[26:27], v[26:27], 0
	v_add_f64 v[26:27], v[26:27], v[28:29]
	s_waitcnt lgkmcnt(2)
	v_add_f64 v[26:27], v[26:27], v[30:31]
	v_add_f64 v[26:27], v[26:27], v[32:33]
	s_waitcnt lgkmcnt(1)
	v_add_f64 v[26:27], v[26:27], v[34:35]
	v_add_f64 v[26:27], v[26:27], v[36:37]
	s_waitcnt lgkmcnt(0)
	v_add_f64 v[26:27], v[26:27], v[38:39]
	v_add_f64 v[26:27], v[26:27], v[40:41]
	v_mul_f64 v[16:17], v[2:3], v[26:27]
	global_atomic_add_f64 v[4:5], v[16:17], off
.LBB90_20:
	s_or_b64 exec, exec, s[0:1]
	s_waitcnt vmcnt(0)
	v_fmac_f64_e32 v[8:9], v[24:25], v[22:23]
	v_fmac_f64_e32 v[14:15], v[24:25], v[20:21]
	;; [unrolled: 1-line block ×4, first 2 shown]
.LBB90_21:
	v_lshlrev_b32_e32 v1, 9, v61
	v_lshl_or_b32 v1, v0, 3, v1
	ds_write2_b64 v1, v[8:9], v[14:15] offset1:16
	ds_write2_b64 v1, v[12:13], v[10:11] offset0:32 offset1:48
	s_waitcnt lgkmcnt(0)
	s_barrier
	s_and_b64 exec, exec, vcc
	s_cbranch_execz .LBB90_23
; %bb.22:
	v_add_u32_e32 v4, 1, v60
	v_lshlrev_b32_e32 v16, 7, v60
	v_and_b32_e32 v4, 15, v4
	v_lshl_or_b32 v6, v4, 3, v16
	v_add_u32_e32 v4, 2, v60
	v_and_b32_e32 v4, 15, v4
	v_lshl_or_b32 v1, v0, 3, v16
	v_lshl_or_b32 v8, v4, 3, v16
	ds_read_b64 v[4:5], v1
	ds_read_b64 v[6:7], v6
	ds_read_b64 v[8:9], v8
	v_add_u32_e32 v1, 3, v60
	v_and_b32_e32 v1, 15, v1
	s_waitcnt lgkmcnt(2)
	v_add_f64 v[4:5], v[4:5], 0
	s_waitcnt lgkmcnt(1)
	v_add_f64 v[4:5], v[4:5], v[6:7]
	v_add_u32_e32 v6, 5, v60
	v_and_b32_e32 v6, 15, v6
	v_lshl_or_b32 v1, v1, 3, v16
	s_waitcnt lgkmcnt(0)
	v_add_f64 v[4:5], v[4:5], v[8:9]
	v_lshl_or_b32 v8, v6, 3, v16
	v_add_u32_e32 v6, 6, v60
	ds_read_b64 v[10:11], v1
	v_and_b32_e32 v6, 15, v6
	v_add_u32_e32 v1, 4, v60
	v_lshl_or_b32 v12, v6, 3, v16
	v_add_u32_e32 v6, 7, v60
	v_and_b32_e32 v1, 15, v1
	v_and_b32_e32 v6, 15, v6
	v_lshl_or_b32 v1, v1, 3, v16
	v_lshl_or_b32 v14, v6, 3, v16
	ds_read_b64 v[6:7], v1
	ds_read_b64 v[8:9], v8
	;; [unrolled: 1-line block ×4, first 2 shown]
	v_add_u32_e32 v1, 9, v60
	s_waitcnt lgkmcnt(4)
	v_add_f64 v[4:5], v[4:5], v[10:11]
	v_and_b32_e32 v1, 15, v1
	s_waitcnt lgkmcnt(3)
	v_add_f64 v[4:5], v[4:5], v[6:7]
	v_lshl_or_b32 v6, v1, 3, v16
	v_add_u32_e32 v1, 10, v60
	v_xor_b32_e32 v0, 8, v0
	v_and_b32_e32 v1, 15, v1
	s_waitcnt lgkmcnt(2)
	v_add_f64 v[4:5], v[4:5], v[8:9]
	v_lshl_or_b32 v0, v0, 3, v16
	v_lshl_or_b32 v8, v1, 3, v16
	ds_read_b64 v[0:1], v0
	ds_read_b64 v[6:7], v6
	ds_read_b64 v[8:9], v8
	s_waitcnt lgkmcnt(4)
	v_add_f64 v[4:5], v[4:5], v[12:13]
	s_waitcnt lgkmcnt(3)
	v_add_f64 v[4:5], v[4:5], v[14:15]
	v_add_u32_e32 v10, 11, v60
	s_waitcnt lgkmcnt(2)
	v_add_f64 v[0:1], v[4:5], v[0:1]
	v_add_u32_e32 v5, 13, v60
	v_and_b32_e32 v10, 15, v10
	v_and_b32_e32 v5, 15, v5
	v_lshl_or_b32 v10, v10, 3, v16
	s_waitcnt lgkmcnt(1)
	v_add_f64 v[0:1], v[0:1], v[6:7]
	v_lshl_or_b32 v6, v5, 3, v16
	v_add_u32_e32 v5, 14, v60
	ds_read_b64 v[10:11], v10
	v_and_b32_e32 v5, 15, v5
	s_waitcnt lgkmcnt(1)
	v_add_f64 v[0:1], v[0:1], v[8:9]
	v_add_u32_e32 v4, 12, v60
	v_lshl_or_b32 v8, v5, 3, v16
	v_add_u32_e32 v5, -1, v60
	v_and_b32_e32 v4, 15, v4
	v_and_b32_e32 v5, 15, v5
	v_lshl_or_b32 v4, v4, 3, v16
	v_lshl_or_b32 v12, v5, 3, v16
	s_mul_i32 s0, s10, s7
	s_mul_hi_u32 s1, s10, s6
	ds_read_b64 v[4:5], v4
	ds_read_b64 v[6:7], v6
	;; [unrolled: 1-line block ×4, first 2 shown]
	s_add_i32 s0, s1, s0
	s_mul_i32 s1, s11, s6
	s_waitcnt lgkmcnt(4)
	v_add_f64 v[0:1], v[0:1], v[10:11]
	s_add_i32 s1, s0, s1
	s_mul_i32 s0, s10, s6
	s_waitcnt lgkmcnt(3)
	v_add_f64 v[0:1], v[0:1], v[4:5]
	v_mad_u64_u32 v[4:5], s[2:3], s10, v60, 0
	s_lshl_b64 s[0:1], s[0:1], 3
	s_waitcnt lgkmcnt(2)
	v_add_f64 v[0:1], v[0:1], v[6:7]
	v_mov_b32_e32 v6, v5
	s_add_u32 s0, s33, s0
	s_waitcnt lgkmcnt(1)
	v_add_f64 v[0:1], v[0:1], v[8:9]
	v_mad_u64_u32 v[6:7], s[2:3], s11, v60, v[6:7]
	s_addc_u32 s1, s38, s1
	s_waitcnt lgkmcnt(0)
	v_add_f64 v[0:1], v[0:1], v[12:13]
	v_mov_b32_e32 v5, v6
	v_lshl_add_u64 v[4:5], v[4:5], 3, s[0:1]
	v_mul_f64 v[0:1], v[2:3], v[0:1]
	global_atomic_add_f64 v[4:5], v[0:1], off
.LBB90_23:
	s_endpgm
	.section	.rodata,"a",@progbits
	.p2align	6, 0x0
	.amdhsa_kernel _ZL54rocblas_symv_kernel_upper_double_buffered_non_diagonalILi32ELi4ELi4E24rocblas_internal_val_ptrIdEPKdPdEvbiT2_lT3_lllS6_lllT4_llli
		.amdhsa_group_segment_fixed_size 6400
		.amdhsa_private_segment_fixed_size 0
		.amdhsa_kernarg_size 384
		.amdhsa_user_sgpr_count 2
		.amdhsa_user_sgpr_dispatch_ptr 0
		.amdhsa_user_sgpr_queue_ptr 0
		.amdhsa_user_sgpr_kernarg_segment_ptr 1
		.amdhsa_user_sgpr_dispatch_id 0
		.amdhsa_user_sgpr_kernarg_preload_length 0
		.amdhsa_user_sgpr_kernarg_preload_offset 0
		.amdhsa_user_sgpr_private_segment_size 0
		.amdhsa_uses_dynamic_stack 0
		.amdhsa_enable_private_segment 0
		.amdhsa_system_sgpr_workgroup_id_x 1
		.amdhsa_system_sgpr_workgroup_id_y 1
		.amdhsa_system_sgpr_workgroup_id_z 1
		.amdhsa_system_sgpr_workgroup_info 0
		.amdhsa_system_vgpr_workitem_id 1
		.amdhsa_next_free_vgpr 76
		.amdhsa_next_free_sgpr 42
		.amdhsa_accum_offset 76
		.amdhsa_reserve_vcc 1
		.amdhsa_float_round_mode_32 0
		.amdhsa_float_round_mode_16_64 0
		.amdhsa_float_denorm_mode_32 3
		.amdhsa_float_denorm_mode_16_64 3
		.amdhsa_dx10_clamp 1
		.amdhsa_ieee_mode 1
		.amdhsa_fp16_overflow 0
		.amdhsa_tg_split 0
		.amdhsa_exception_fp_ieee_invalid_op 0
		.amdhsa_exception_fp_denorm_src 0
		.amdhsa_exception_fp_ieee_div_zero 0
		.amdhsa_exception_fp_ieee_overflow 0
		.amdhsa_exception_fp_ieee_underflow 0
		.amdhsa_exception_fp_ieee_inexact 0
		.amdhsa_exception_int_div_zero 0
	.end_amdhsa_kernel
	.section	.text._ZL54rocblas_symv_kernel_upper_double_buffered_non_diagonalILi32ELi4ELi4E24rocblas_internal_val_ptrIdEPKdPdEvbiT2_lT3_lllS6_lllT4_llli,"axG",@progbits,_ZL54rocblas_symv_kernel_upper_double_buffered_non_diagonalILi32ELi4ELi4E24rocblas_internal_val_ptrIdEPKdPdEvbiT2_lT3_lllS6_lllT4_llli,comdat
.Lfunc_end90:
	.size	_ZL54rocblas_symv_kernel_upper_double_buffered_non_diagonalILi32ELi4ELi4E24rocblas_internal_val_ptrIdEPKdPdEvbiT2_lT3_lllS6_lllT4_llli, .Lfunc_end90-_ZL54rocblas_symv_kernel_upper_double_buffered_non_diagonalILi32ELi4ELi4E24rocblas_internal_val_ptrIdEPKdPdEvbiT2_lT3_lllS6_lllT4_llli
                                        ; -- End function
	.set _ZL54rocblas_symv_kernel_upper_double_buffered_non_diagonalILi32ELi4ELi4E24rocblas_internal_val_ptrIdEPKdPdEvbiT2_lT3_lllS6_lllT4_llli.num_vgpr, 76
	.set _ZL54rocblas_symv_kernel_upper_double_buffered_non_diagonalILi32ELi4ELi4E24rocblas_internal_val_ptrIdEPKdPdEvbiT2_lT3_lllS6_lllT4_llli.num_agpr, 0
	.set _ZL54rocblas_symv_kernel_upper_double_buffered_non_diagonalILi32ELi4ELi4E24rocblas_internal_val_ptrIdEPKdPdEvbiT2_lT3_lllS6_lllT4_llli.numbered_sgpr, 42
	.set _ZL54rocblas_symv_kernel_upper_double_buffered_non_diagonalILi32ELi4ELi4E24rocblas_internal_val_ptrIdEPKdPdEvbiT2_lT3_lllS6_lllT4_llli.num_named_barrier, 0
	.set _ZL54rocblas_symv_kernel_upper_double_buffered_non_diagonalILi32ELi4ELi4E24rocblas_internal_val_ptrIdEPKdPdEvbiT2_lT3_lllS6_lllT4_llli.private_seg_size, 0
	.set _ZL54rocblas_symv_kernel_upper_double_buffered_non_diagonalILi32ELi4ELi4E24rocblas_internal_val_ptrIdEPKdPdEvbiT2_lT3_lllS6_lllT4_llli.uses_vcc, 1
	.set _ZL54rocblas_symv_kernel_upper_double_buffered_non_diagonalILi32ELi4ELi4E24rocblas_internal_val_ptrIdEPKdPdEvbiT2_lT3_lllS6_lllT4_llli.uses_flat_scratch, 0
	.set _ZL54rocblas_symv_kernel_upper_double_buffered_non_diagonalILi32ELi4ELi4E24rocblas_internal_val_ptrIdEPKdPdEvbiT2_lT3_lllS6_lllT4_llli.has_dyn_sized_stack, 0
	.set _ZL54rocblas_symv_kernel_upper_double_buffered_non_diagonalILi32ELi4ELi4E24rocblas_internal_val_ptrIdEPKdPdEvbiT2_lT3_lllS6_lllT4_llli.has_recursion, 0
	.set _ZL54rocblas_symv_kernel_upper_double_buffered_non_diagonalILi32ELi4ELi4E24rocblas_internal_val_ptrIdEPKdPdEvbiT2_lT3_lllS6_lllT4_llli.has_indirect_call, 0
	.section	.AMDGPU.csdata,"",@progbits
; Kernel info:
; codeLenInByte = 3064
; TotalNumSgprs: 48
; NumVgprs: 76
; NumAgprs: 0
; TotalNumVgprs: 76
; ScratchSize: 0
; MemoryBound: 0
; FloatMode: 240
; IeeeMode: 1
; LDSByteSize: 6400 bytes/workgroup (compile time only)
; SGPRBlocks: 5
; VGPRBlocks: 9
; NumSGPRsForWavesPerEU: 48
; NumVGPRsForWavesPerEU: 76
; AccumOffset: 76
; Occupancy: 6
; WaveLimiterHint : 0
; COMPUTE_PGM_RSRC2:SCRATCH_EN: 0
; COMPUTE_PGM_RSRC2:USER_SGPR: 2
; COMPUTE_PGM_RSRC2:TRAP_HANDLER: 0
; COMPUTE_PGM_RSRC2:TGID_X_EN: 1
; COMPUTE_PGM_RSRC2:TGID_Y_EN: 1
; COMPUTE_PGM_RSRC2:TGID_Z_EN: 1
; COMPUTE_PGM_RSRC2:TIDIG_COMP_CNT: 1
; COMPUTE_PGM_RSRC3_GFX90A:ACCUM_OFFSET: 18
; COMPUTE_PGM_RSRC3_GFX90A:TG_SPLIT: 0
	.section	.text._ZL58rocblas_symv_kernel_upper_double_buffered_diagonal_genericILi32ELi8E24rocblas_internal_val_ptrIdEPKdPdEvbiT1_lT2_lllS6_lllS5_lT3_lllii,"axG",@progbits,_ZL58rocblas_symv_kernel_upper_double_buffered_diagonal_genericILi32ELi8E24rocblas_internal_val_ptrIdEPKdPdEvbiT1_lT2_lllS6_lllS5_lT3_lllii,comdat
	.globl	_ZL58rocblas_symv_kernel_upper_double_buffered_diagonal_genericILi32ELi8E24rocblas_internal_val_ptrIdEPKdPdEvbiT1_lT2_lllS6_lllS5_lT3_lllii ; -- Begin function _ZL58rocblas_symv_kernel_upper_double_buffered_diagonal_genericILi32ELi8E24rocblas_internal_val_ptrIdEPKdPdEvbiT1_lT2_lllS6_lllS5_lT3_lllii
	.p2align	8
	.type	_ZL58rocblas_symv_kernel_upper_double_buffered_diagonal_genericILi32ELi8E24rocblas_internal_val_ptrIdEPKdPdEvbiT1_lT2_lllS6_lllS5_lT3_lllii,@function
_ZL58rocblas_symv_kernel_upper_double_buffered_diagonal_genericILi32ELi8E24rocblas_internal_val_ptrIdEPKdPdEvbiT1_lT2_lllS6_lllS5_lT3_lllii: ; @_ZL58rocblas_symv_kernel_upper_double_buffered_diagonal_genericILi32ELi8E24rocblas_internal_val_ptrIdEPKdPdEvbiT1_lT2_lllS6_lllS5_lT3_lllii
; %bb.0:
	s_load_dword s20, s[0:1], 0x0
	s_load_dwordx16 s[4:19], s[0:1], 0x8
	s_waitcnt lgkmcnt(0)
	s_bitcmp1_b32 s20, 0
	s_load_dwordx8 s[20:27], s[0:1], 0x48
	s_cselect_b64 s[30:31], -1, 0
	s_xor_b64 s[28:29], s[30:31], -1
	s_and_b64 vcc, exec, s[30:31]
	v_mov_b64_e32 v[4:5], s[4:5]
	s_cbranch_vccnz .LBB91_2
; %bb.1:
	s_mul_i32 s7, s7, s3
	s_mul_hi_u32 s30, s6, s3
	s_add_i32 s7, s30, s7
	s_mul_i32 s6, s6, s3
	s_lshl_b64 s[6:7], s[6:7], 3
	s_add_u32 s4, s4, s6
	s_addc_u32 s5, s5, s7
	v_mov_b64_e32 v[2:3], s[4:5]
	flat_load_dwordx2 v[4:5], v[2:3]
.LBB91_2:
	s_andn2_b64 vcc, exec, s[28:29]
	s_waitcnt lgkmcnt(0)
	v_mov_b64_e32 v[2:3], s[24:25]
	s_cbranch_vccnz .LBB91_4
; %bb.3:
	s_mul_i32 s4, s27, s3
	s_mul_hi_u32 s5, s26, s3
	s_add_i32 s5, s5, s4
	s_mul_i32 s4, s26, s3
	s_lshl_b64 s[4:5], s[4:5], 3
	s_add_u32 s4, s24, s4
	s_addc_u32 s5, s25, s5
	v_mov_b64_e32 v[2:3], s[4:5]
	flat_load_dwordx2 v[2:3], v[2:3]
.LBB91_4:
	s_waitcnt vmcnt(0)
	v_cmp_neq_f64_e32 vcc, 0, v[4:5]
	s_waitcnt lgkmcnt(0)
	v_cmp_neq_f64_e64 s[4:5], 1.0, v[2:3]
	s_or_b64 s[4:5], vcc, s[4:5]
	s_and_saveexec_b64 s[6:7], s[4:5]
	s_cbranch_execz .LBB91_42
; %bb.5:
	s_load_dwordx2 s[4:5], s[0:1], 0x80
	s_load_dwordx2 s[6:7], s[0:1], 0x68
	s_load_dwordx4 s[24:27], s[0:1], 0x70
	s_load_dword s33, s[0:1], 0x88
	v_and_b32_e32 v12, 0x3ff, v0
	s_waitcnt lgkmcnt(0)
	s_mul_i32 s5, s5, s3
	s_mul_hi_u32 s28, s4, s3
	s_add_i32 s5, s28, s5
	s_mul_i32 s4, s4, s3
	s_lshl_b64 s[4:5], s[4:5], 3
	s_add_u32 s6, s6, s4
	s_addc_u32 s7, s7, s5
	s_lshl_b64 s[4:5], s[24:25], 3
	s_add_u32 s6, s6, s4
	s_addc_u32 s7, s7, s5
	s_lshl_b32 s36, s2, 5
	s_ashr_i32 s37, s36, 31
	s_mul_i32 s4, s26, s37
	s_mul_hi_u32 s5, s26, s36
	s_add_i32 s4, s5, s4
	s_mul_i32 s5, s27, s36
	s_add_i32 s5, s4, s5
	s_mul_i32 s4, s26, s36
	s_lshl_b64 s[4:5], s[4:5], 3
	s_add_u32 s24, s6, s4
	v_bfe_u32 v13, v0, 10, 10
	s_addc_u32 s25, s7, s5
	v_cmp_eq_f64_e32 vcc, 0, v[4:5]
	s_and_saveexec_b64 s[4:5], vcc
	s_xor_b64 s[4:5], exec, s[4:5]
	s_cbranch_execz .LBB91_12
; %bb.6:
	v_cmp_eq_u32_e32 vcc, 0, v13
	s_and_saveexec_b64 s[6:7], vcc
	s_cbranch_execz .LBB91_11
; %bb.7:
	v_cmp_gt_i32_e64 s[28:29], s33, v12
	v_cmp_le_i32_e32 vcc, s33, v12
	s_and_saveexec_b64 s[30:31], vcc
	s_cbranch_execz .LBB91_9
; %bb.8:
	s_load_dword s34, s[0:1], 0x90
	s_waitcnt lgkmcnt(0)
	s_add_i32 s34, s34, -1
	s_cmp_lt_u32 s2, s34
	s_cselect_b64 s[34:35], -1, 0
	s_andn2_b64 s[28:29], s[28:29], exec
	s_and_b64 s[34:35], s[34:35], exec
	s_or_b64 s[28:29], s[28:29], s[34:35]
.LBB91_9:
	s_or_b64 exec, exec, s[30:31]
	s_and_b64 exec, exec, s[28:29]
	s_cbranch_execz .LBB91_11
; %bb.10:
	v_mad_u64_u32 v[0:1], s[28:29], s26, v12, 0
	v_mov_b32_e32 v4, v1
	v_mad_u64_u32 v[4:5], s[28:29], s27, v12, v[4:5]
	v_mov_b32_e32 v1, v4
	v_lshl_add_u64 v[0:1], v[0:1], 3, s[24:25]
	global_load_dwordx2 v[4:5], v[0:1], off
	s_waitcnt vmcnt(0)
	v_mul_f64 v[2:3], v[2:3], v[4:5]
	global_store_dwordx2 v[0:1], v[2:3], off
.LBB91_11:
	s_or_b64 exec, exec, s[6:7]
                                        ; implicit-def: $vgpr13
                                        ; implicit-def: $vgpr12
                                        ; implicit-def: $vgpr2_vgpr3
                                        ; implicit-def: $vgpr4_vgpr5
.LBB91_12:
	s_andn2_saveexec_b64 s[4:5], s[4:5]
	s_cbranch_execz .LBB91_42
; %bb.13:
	v_mov_b32_e32 v1, 0
	v_cmp_ne_u32_e64 s[4:5], 0, v13
	v_cmp_eq_u32_e64 s[6:7], 0, v13
	v_mov_b64_e32 v[6:7], 0
	s_and_saveexec_b64 s[28:29], s[6:7]
	s_cbranch_execz .LBB91_21
; %bb.14:
	v_cmp_gt_i32_e64 s[34:35], s33, v12
	v_cmp_le_i32_e32 vcc, s33, v12
	s_and_saveexec_b64 s[30:31], vcc
	s_cbranch_execz .LBB91_16
; %bb.15:
	s_load_dword s38, s[0:1], 0x90
	s_waitcnt lgkmcnt(0)
	s_add_i32 s38, s38, -1
	s_cmp_lt_u32 s2, s38
	s_cselect_b64 s[38:39], -1, 0
	s_andn2_b64 s[34:35], s[34:35], exec
	s_and_b64 s[38:39], s[38:39], exec
	s_or_b64 s[34:35], s[34:35], s[38:39]
.LBB91_16:
	s_or_b64 exec, exec, s[30:31]
	v_mov_b64_e32 v[6:7], 0
	s_and_saveexec_b64 s[30:31], s[34:35]
	s_cbranch_execz .LBB91_20
; %bb.17:
	s_mul_i32 s23, s23, s3
	s_mul_hi_u32 s34, s22, s3
	s_add_i32 s23, s34, s23
	s_mul_i32 s22, s22, s3
	s_lshl_b64 s[22:23], s[22:23], 3
	s_add_u32 s22, s16, s22
	s_addc_u32 s23, s17, s23
	s_lshl_b64 s[16:17], s[18:19], 3
	s_add_u32 s18, s22, s16
	s_addc_u32 s19, s23, s17
	s_mul_i32 s16, s20, s37
	s_mul_hi_u32 s17, s20, s36
	s_add_i32 s16, s17, s16
	s_mul_i32 s17, s21, s36
	s_add_i32 s17, s16, s17
	s_mul_i32 s16, s20, s36
	s_lshl_b64 s[16:17], s[16:17], 3
	s_add_u32 s16, s18, s16
	s_addc_u32 s17, s19, s17
	v_mad_u64_u32 v[6:7], s[18:19], s20, v12, 0
	v_mov_b32_e32 v0, v7
	v_mad_u64_u32 v[8:9], s[18:19], s21, v12, v[0:1]
	v_mov_b32_e32 v7, v8
	v_lshl_add_u64 v[6:7], v[6:7], 3, s[16:17]
	global_load_dwordx2 v[8:9], v[6:7], off
	v_lshlrev_b32_e32 v0, 3, v12
	v_mov_b64_e32 v[6:7], 0
	v_cmp_neq_f64_e32 vcc, 0, v[2:3]
	s_waitcnt vmcnt(0)
	ds_write_b64 v0, v[8:9] offset:12288
	s_and_saveexec_b64 s[16:17], vcc
	s_cbranch_execz .LBB91_19
; %bb.18:
	v_mad_u64_u32 v[6:7], s[18:19], s26, v12, 0
	v_mov_b32_e32 v0, v7
	v_mad_u64_u32 v[8:9], s[18:19], s27, v12, v[0:1]
	v_mov_b32_e32 v7, v8
	v_lshl_add_u64 v[6:7], v[6:7], 3, s[24:25]
	global_load_dwordx2 v[6:7], v[6:7], off
	s_waitcnt vmcnt(0)
	v_mul_f64 v[6:7], v[2:3], v[6:7]
.LBB91_19:
	s_or_b64 exec, exec, s[16:17]
.LBB91_20:
	s_or_b64 exec, exec, s[30:31]
.LBB91_21:
	s_or_b64 exec, exec, s[28:29]
	s_mul_i32 s15, s15, s3
	s_mul_hi_u32 s16, s14, s3
	s_add_i32 s15, s16, s15
	s_mul_i32 s14, s14, s3
	s_lshl_b64 s[14:15], s[14:15], 3
	s_add_u32 s3, s8, s14
	s_addc_u32 s16, s9, s15
	s_lshl_b64 s[10:11], s[10:11], 3
	s_add_u32 s3, s3, s10
	s_addc_u32 s19, s16, s11
	s_add_u32 s16, s12, 1
	s_addc_u32 s17, s13, 0
	s_mul_i32 s18, s16, s37
	s_mul_hi_u32 s20, s16, s36
	s_add_i32 s18, s20, s18
	s_mul_i32 s17, s17, s36
	s_add_i32 s17, s18, s17
	s_mul_i32 s16, s16, s36
	s_lshl_b64 s[16:17], s[16:17], 3
	s_add_u32 s18, s3, s16
	v_mad_u64_u32 v[10:11], s[20:21], s12, v13, 0
	s_load_dword s3, s[0:1], 0x90
	v_mov_b32_e32 v0, v11
	v_mad_u64_u32 v[8:9], s[20:21], s13, v13, v[0:1]
	s_addc_u32 s19, s19, s17
	v_mov_b32_e32 v11, v8
	v_lshl_add_u64 v[8:9], v[10:11], 3, s[18:19]
	v_lshlrev_b32_e32 v0, 3, v12
	v_lshl_add_u64 v[8:9], v[8:9], 0, v[0:1]
	s_waitcnt lgkmcnt(0)
	s_add_i32 s3, s3, -1
	v_lshlrev_b32_e32 v1, 8, v13
	v_lshlrev_b32_e32 v16, 5, v13
	s_cmp_eq_u32 s2, s3
	s_mov_b64 s[0:1], -1
	v_add_u32_e32 v14, v0, v1
	s_cbranch_scc1 .LBB91_23
; %bb.22:
	s_lshl_b64 s[0:1], s[12:13], 6
	v_lshl_add_u64 v[18:19], v[8:9], 0, s[0:1]
	v_lshl_add_u64 v[20:21], v[18:19], 0, s[0:1]
	;; [unrolled: 1-line block ×3, first 2 shown]
	global_load_dwordx2 v[24:25], v[8:9], off
	global_load_dwordx2 v[26:27], v[18:19], off
	;; [unrolled: 1-line block ×4, first 2 shown]
	s_mov_b64 s[0:1], 0
	s_waitcnt vmcnt(2)
	ds_write2st64_b64 v14, v[24:25], v[26:27] offset1:4
	s_waitcnt vmcnt(0)
	ds_write2st64_b64 v14, v[28:29], v[30:31] offset0:8 offset1:12
.LBB91_23:
	s_andn2_b64 vcc, exec, s[0:1]
	v_add_u32_e32 v15, v16, v12
	s_cbranch_vccnz .LBB91_33
; %bb.24:
	s_mov_b32 s0, 0
	s_mov_b32 s1, s0
	v_cmp_gt_i32_e32 vcc, s33, v12
	v_mov_b64_e32 v[18:19], s[0:1]
	s_nor_b64 s[4:5], s[4:5], vcc
	ds_write2st64_b64 v14, v[18:19], v[18:19] offset1:4
	ds_write2st64_b64 v14, v[18:19], v[18:19] offset0:8 offset1:12
	s_and_saveexec_b64 s[0:1], s[4:5]
; %bb.25:
	v_mov_b32_e32 v18, 0
	v_mov_b32_e32 v19, v18
	ds_write_b64 v0, v[18:19] offset:12288
; %bb.26:
	s_or_b64 exec, exec, s[0:1]
	s_and_saveexec_b64 s[0:1], vcc
	s_cbranch_execz .LBB91_32
; %bb.27:
	s_cmp_lt_u32 s33, 8
	s_mov_b32 s18, 0
	s_cbranch_scc1 .LBB91_30
; %bb.28:
	s_lshr_b32 s18, s33, 3
	s_add_u32 s4, s16, s14
	s_addc_u32 s5, s17, s15
	s_add_u32 s4, s10, s4
	s_addc_u32 s5, s11, s5
	v_lshl_add_u64 v[10:11], v[10:11], 3, s[4:5]
	v_mov_b32_e32 v1, 0
	v_lshl_add_u64 v[10:11], v[10:11], 0, v[0:1]
	v_lshl_add_u32 v17, v16, 3, v0
	v_lshl_add_u64 v[10:11], s[8:9], 0, v[10:11]
	s_lshl_b64 s[4:5], s[12:13], 6
	s_mov_b32 s8, s18
.LBB91_29:                              ; =>This Inner Loop Header: Depth=1
	global_load_dwordx2 v[18:19], v[10:11], off
	s_add_i32 s8, s8, -1
	v_lshl_add_u64 v[10:11], v[10:11], 0, s[4:5]
	s_cmp_lg_u32 s8, 0
	s_waitcnt vmcnt(0)
	ds_write_b64 v17, v[18:19]
	v_add_u32_e32 v17, 0x800, v17
	s_cbranch_scc1 .LBB91_29
.LBB91_30:
	s_and_b32 s4, s33, 7
	v_cmp_gt_u32_e32 vcc, s4, v13
	s_and_b64 exec, exec, vcc
	s_cbranch_execz .LBB91_32
; %bb.31:
	s_lshl_b32 s4, s18, 3
	s_mul_i32 s5, s13, s4
	s_mul_hi_u32 s8, s12, s4
	s_add_i32 s5, s8, s5
	s_mul_i32 s4, s12, s4
	v_lshl_add_u64 v[8:9], s[4:5], 3, v[8:9]
	global_load_dwordx2 v[8:9], v[8:9], off
	v_lshlrev_b32_e32 v1, 3, v15
	v_lshl_add_u32 v1, s18, 11, v1
	s_waitcnt vmcnt(0)
	ds_write_b64 v1, v[8:9]
.LBB91_32:
	s_or_b64 exec, exec, s[0:1]
.LBB91_33:
	v_sub_u32_e32 v1, v12, v13
	v_sub_u32_e32 v8, 0, v1
	s_movk_i32 s0, 0xf8
	v_max_i32_e32 v8, v1, v8
	v_mad_u32_u24 v1, v12, s0, v0
	v_cmp_lt_u32_e32 vcc, 16, v8
	v_lshl_add_u32 v1, v13, 3, v1
	s_waitcnt lgkmcnt(0)
	s_barrier
	s_and_saveexec_b64 s[0:1], vcc
	s_cbranch_execnz .LBB91_43
; %bb.34:
	s_or_b64 exec, exec, s[0:1]
	v_cmp_lt_u32_e32 vcc, 24, v8
	s_and_saveexec_b64 s[0:1], vcc
	s_cbranch_execnz .LBB91_44
.LBB91_35:
	s_or_b64 exec, exec, s[0:1]
	v_cmp_ge_u32_e32 vcc, v12, v13
	s_and_saveexec_b64 s[0:1], vcc
	s_cbranch_execz .LBB91_37
.LBB91_36:
	ds_read_b64 v[10:11], v1
	v_lshl_add_u32 v9, v16, 3, v0
	s_waitcnt lgkmcnt(0)
	ds_write_b64 v9, v[10:11]
.LBB91_37:
	s_or_b64 exec, exec, s[0:1]
	v_cmp_lt_u32_e32 vcc, 8, v8
	v_mov_b32_e32 v8, 0x800
	v_lshl_add_u32 v8, v13, 8, v8
	v_add_u32_e32 v8, v0, v8
	s_and_saveexec_b64 s[0:1], vcc
	s_cbranch_execz .LBB91_39
; %bb.38:
	ds_read_b64 v[10:11], v1 offset:64
	s_waitcnt lgkmcnt(0)
	ds_write_b64 v8, v[10:11]
.LBB91_39:
	s_or_b64 exec, exec, s[0:1]
	v_lshlrev_b32_e32 v1, 3, v13
	v_add_u32_e32 v1, 0x3000, v1
	s_waitcnt lgkmcnt(0)
	s_barrier
	ds_read2_b64 v[16:19], v1 offset1:8
	ds_read_b64 v[24:25], v14
	ds_read_b64 v[26:27], v8
	v_lshl_add_u32 v8, v13, 8, v0
	ds_read2st64_b64 v[8:11], v8 offset0:8 offset1:12
	ds_read2_b64 v[20:23], v1 offset0:16 offset1:24
	v_lshlrev_b32_e32 v1, 3, v15
	s_waitcnt lgkmcnt(3)
	v_fma_f64 v[16:17], v[24:25], v[16:17], 0
	s_waitcnt lgkmcnt(2)
	v_fmac_f64_e32 v[16:17], v[26:27], v[18:19]
	s_waitcnt lgkmcnt(0)
	v_fmac_f64_e32 v[16:17], v[8:9], v[20:21]
	v_fmac_f64_e32 v[16:17], v[10:11], v[22:23]
	ds_write_b64 v1, v[16:17] offset:8192
	s_waitcnt lgkmcnt(0)
	s_barrier
	s_and_saveexec_b64 s[0:1], s[6:7]
	s_cbranch_execz .LBB91_42
; %bb.40:
	s_cmp_lt_u32 s2, s3
	v_cmp_gt_i32_e32 vcc, s33, v12
	s_cselect_b64 s[0:1], -1, 0
	s_or_b64 s[0:1], vcc, s[0:1]
	s_and_b64 exec, exec, s[0:1]
	s_cbranch_execz .LBB91_42
; %bb.41:
	v_add_u32_e32 v0, 0x2000, v0
	ds_read2_b64 v[8:11], v0 offset1:32
	ds_read2_b64 v[14:17], v0 offset0:64 offset1:96
	ds_read2_b64 v[18:21], v0 offset0:128 offset1:160
	;; [unrolled: 1-line block ×3, first 2 shown]
	v_cmp_neq_f64_e32 vcc, 0, v[2:3]
	s_waitcnt lgkmcnt(3)
	v_add_f64 v[0:1], v[8:9], 0
	v_add_f64 v[0:1], v[0:1], v[10:11]
	s_waitcnt lgkmcnt(2)
	v_add_f64 v[0:1], v[0:1], v[14:15]
	v_add_f64 v[0:1], v[0:1], v[16:17]
	;; [unrolled: 3-line block ×4, first 2 shown]
	v_mad_u64_u32 v[2:3], s[0:1], s26, v12, 0
	v_mul_f64 v[8:9], v[4:5], v[0:1]
	v_fmac_f64_e32 v[6:7], v[4:5], v[0:1]
	v_mov_b32_e32 v4, v3
	v_mad_u64_u32 v[4:5], s[0:1], s27, v12, v[4:5]
	v_mov_b32_e32 v3, v4
	v_cndmask_b32_e32 v1, v9, v7, vcc
	v_cndmask_b32_e32 v0, v8, v6, vcc
	v_lshl_add_u64 v[2:3], v[2:3], 3, s[24:25]
	global_store_dwordx2 v[2:3], v[0:1], off
.LBB91_42:
	s_endpgm
.LBB91_43:
	ds_read_b64 v[10:11], v1 offset:128
	s_waitcnt lgkmcnt(0)
	ds_write_b64 v14, v[10:11] offset:4096
	s_or_b64 exec, exec, s[0:1]
	v_cmp_lt_u32_e32 vcc, 24, v8
	s_and_saveexec_b64 s[0:1], vcc
	s_cbranch_execz .LBB91_35
.LBB91_44:
	ds_read_b64 v[10:11], v1 offset:192
	s_waitcnt lgkmcnt(0)
	ds_write_b64 v14, v[10:11] offset:6144
	s_or_b64 exec, exec, s[0:1]
	v_cmp_ge_u32_e32 vcc, v12, v13
	s_and_saveexec_b64 s[0:1], vcc
	s_cbranch_execnz .LBB91_36
	s_branch .LBB91_37
	.section	.rodata,"a",@progbits
	.p2align	6, 0x0
	.amdhsa_kernel _ZL58rocblas_symv_kernel_upper_double_buffered_diagonal_genericILi32ELi8E24rocblas_internal_val_ptrIdEPKdPdEvbiT1_lT2_lllS6_lllS5_lT3_lllii
		.amdhsa_group_segment_fixed_size 12544
		.amdhsa_private_segment_fixed_size 0
		.amdhsa_kernarg_size 400
		.amdhsa_user_sgpr_count 2
		.amdhsa_user_sgpr_dispatch_ptr 0
		.amdhsa_user_sgpr_queue_ptr 0
		.amdhsa_user_sgpr_kernarg_segment_ptr 1
		.amdhsa_user_sgpr_dispatch_id 0
		.amdhsa_user_sgpr_kernarg_preload_length 0
		.amdhsa_user_sgpr_kernarg_preload_offset 0
		.amdhsa_user_sgpr_private_segment_size 0
		.amdhsa_uses_dynamic_stack 0
		.amdhsa_enable_private_segment 0
		.amdhsa_system_sgpr_workgroup_id_x 1
		.amdhsa_system_sgpr_workgroup_id_y 0
		.amdhsa_system_sgpr_workgroup_id_z 1
		.amdhsa_system_sgpr_workgroup_info 0
		.amdhsa_system_vgpr_workitem_id 1
		.amdhsa_next_free_vgpr 32
		.amdhsa_next_free_sgpr 40
		.amdhsa_accum_offset 32
		.amdhsa_reserve_vcc 1
		.amdhsa_float_round_mode_32 0
		.amdhsa_float_round_mode_16_64 0
		.amdhsa_float_denorm_mode_32 3
		.amdhsa_float_denorm_mode_16_64 3
		.amdhsa_dx10_clamp 1
		.amdhsa_ieee_mode 1
		.amdhsa_fp16_overflow 0
		.amdhsa_tg_split 0
		.amdhsa_exception_fp_ieee_invalid_op 0
		.amdhsa_exception_fp_denorm_src 0
		.amdhsa_exception_fp_ieee_div_zero 0
		.amdhsa_exception_fp_ieee_overflow 0
		.amdhsa_exception_fp_ieee_underflow 0
		.amdhsa_exception_fp_ieee_inexact 0
		.amdhsa_exception_int_div_zero 0
	.end_amdhsa_kernel
	.section	.text._ZL58rocblas_symv_kernel_upper_double_buffered_diagonal_genericILi32ELi8E24rocblas_internal_val_ptrIdEPKdPdEvbiT1_lT2_lllS6_lllS5_lT3_lllii,"axG",@progbits,_ZL58rocblas_symv_kernel_upper_double_buffered_diagonal_genericILi32ELi8E24rocblas_internal_val_ptrIdEPKdPdEvbiT1_lT2_lllS6_lllS5_lT3_lllii,comdat
.Lfunc_end91:
	.size	_ZL58rocblas_symv_kernel_upper_double_buffered_diagonal_genericILi32ELi8E24rocblas_internal_val_ptrIdEPKdPdEvbiT1_lT2_lllS6_lllS5_lT3_lllii, .Lfunc_end91-_ZL58rocblas_symv_kernel_upper_double_buffered_diagonal_genericILi32ELi8E24rocblas_internal_val_ptrIdEPKdPdEvbiT1_lT2_lllS6_lllS5_lT3_lllii
                                        ; -- End function
	.set _ZL58rocblas_symv_kernel_upper_double_buffered_diagonal_genericILi32ELi8E24rocblas_internal_val_ptrIdEPKdPdEvbiT1_lT2_lllS6_lllS5_lT3_lllii.num_vgpr, 32
	.set _ZL58rocblas_symv_kernel_upper_double_buffered_diagonal_genericILi32ELi8E24rocblas_internal_val_ptrIdEPKdPdEvbiT1_lT2_lllS6_lllS5_lT3_lllii.num_agpr, 0
	.set _ZL58rocblas_symv_kernel_upper_double_buffered_diagonal_genericILi32ELi8E24rocblas_internal_val_ptrIdEPKdPdEvbiT1_lT2_lllS6_lllS5_lT3_lllii.numbered_sgpr, 40
	.set _ZL58rocblas_symv_kernel_upper_double_buffered_diagonal_genericILi32ELi8E24rocblas_internal_val_ptrIdEPKdPdEvbiT1_lT2_lllS6_lllS5_lT3_lllii.num_named_barrier, 0
	.set _ZL58rocblas_symv_kernel_upper_double_buffered_diagonal_genericILi32ELi8E24rocblas_internal_val_ptrIdEPKdPdEvbiT1_lT2_lllS6_lllS5_lT3_lllii.private_seg_size, 0
	.set _ZL58rocblas_symv_kernel_upper_double_buffered_diagonal_genericILi32ELi8E24rocblas_internal_val_ptrIdEPKdPdEvbiT1_lT2_lllS6_lllS5_lT3_lllii.uses_vcc, 1
	.set _ZL58rocblas_symv_kernel_upper_double_buffered_diagonal_genericILi32ELi8E24rocblas_internal_val_ptrIdEPKdPdEvbiT1_lT2_lllS6_lllS5_lT3_lllii.uses_flat_scratch, 0
	.set _ZL58rocblas_symv_kernel_upper_double_buffered_diagonal_genericILi32ELi8E24rocblas_internal_val_ptrIdEPKdPdEvbiT1_lT2_lllS6_lllS5_lT3_lllii.has_dyn_sized_stack, 0
	.set _ZL58rocblas_symv_kernel_upper_double_buffered_diagonal_genericILi32ELi8E24rocblas_internal_val_ptrIdEPKdPdEvbiT1_lT2_lllS6_lllS5_lT3_lllii.has_recursion, 0
	.set _ZL58rocblas_symv_kernel_upper_double_buffered_diagonal_genericILi32ELi8E24rocblas_internal_val_ptrIdEPKdPdEvbiT1_lT2_lllS6_lllS5_lT3_lllii.has_indirect_call, 0
	.section	.AMDGPU.csdata,"",@progbits
; Kernel info:
; codeLenInByte = 1928
; TotalNumSgprs: 46
; NumVgprs: 32
; NumAgprs: 0
; TotalNumVgprs: 32
; ScratchSize: 0
; MemoryBound: 0
; FloatMode: 240
; IeeeMode: 1
; LDSByteSize: 12544 bytes/workgroup (compile time only)
; SGPRBlocks: 5
; VGPRBlocks: 3
; NumSGPRsForWavesPerEU: 46
; NumVGPRsForWavesPerEU: 32
; AccumOffset: 32
; Occupancy: 8
; WaveLimiterHint : 0
; COMPUTE_PGM_RSRC2:SCRATCH_EN: 0
; COMPUTE_PGM_RSRC2:USER_SGPR: 2
; COMPUTE_PGM_RSRC2:TRAP_HANDLER: 0
; COMPUTE_PGM_RSRC2:TGID_X_EN: 1
; COMPUTE_PGM_RSRC2:TGID_Y_EN: 0
; COMPUTE_PGM_RSRC2:TGID_Z_EN: 1
; COMPUTE_PGM_RSRC2:TIDIG_COMP_CNT: 1
; COMPUTE_PGM_RSRC3_GFX90A:ACCUM_OFFSET: 7
; COMPUTE_PGM_RSRC3_GFX90A:TG_SPLIT: 0
	.section	.text._ZL62rocblas_symv_kernel_upper_double_buffered_non_diagonal_genericILi32ELi8ELi2ELi0E24rocblas_internal_val_ptrIdEPKdPdEvbiT3_lT4_lllS6_lllT5_lllii,"axG",@progbits,_ZL62rocblas_symv_kernel_upper_double_buffered_non_diagonal_genericILi32ELi8ELi2ELi0E24rocblas_internal_val_ptrIdEPKdPdEvbiT3_lT4_lllS6_lllT5_lllii,comdat
	.globl	_ZL62rocblas_symv_kernel_upper_double_buffered_non_diagonal_genericILi32ELi8ELi2ELi0E24rocblas_internal_val_ptrIdEPKdPdEvbiT3_lT4_lllS6_lllT5_lllii ; -- Begin function _ZL62rocblas_symv_kernel_upper_double_buffered_non_diagonal_genericILi32ELi8ELi2ELi0E24rocblas_internal_val_ptrIdEPKdPdEvbiT3_lT4_lllS6_lllT5_lllii
	.p2align	8
	.type	_ZL62rocblas_symv_kernel_upper_double_buffered_non_diagonal_genericILi32ELi8ELi2ELi0E24rocblas_internal_val_ptrIdEPKdPdEvbiT3_lT4_lllS6_lllT5_lllii,@function
_ZL62rocblas_symv_kernel_upper_double_buffered_non_diagonal_genericILi32ELi8ELi2ELi0E24rocblas_internal_val_ptrIdEPKdPdEvbiT3_lT4_lllS6_lllT5_lllii: ; @_ZL62rocblas_symv_kernel_upper_double_buffered_non_diagonal_genericILi32ELi8ELi2ELi0E24rocblas_internal_val_ptrIdEPKdPdEvbiT3_lT4_lllS6_lllT5_lllii
; %bb.0:
	s_load_dword s5, s[0:1], 0x0
	s_load_dwordx16 s[8:23], s[0:1], 0x8
	s_waitcnt lgkmcnt(0)
	s_bitcmp1_b32 s5, 0
	s_cselect_b64 s[6:7], -1, 0
	s_and_b64 vcc, exec, s[6:7]
	v_mov_b64_e32 v[12:13], s[8:9]
	s_cbranch_vccnz .LBB92_2
; %bb.1:
	s_mul_i32 s5, s11, s4
	s_mul_hi_u32 s6, s10, s4
	s_add_i32 s7, s6, s5
	s_mul_i32 s6, s10, s4
	s_lshl_b64 s[6:7], s[6:7], 3
	s_add_u32 s6, s8, s6
	s_addc_u32 s7, s9, s7
	v_mov_b64_e32 v[2:3], s[6:7]
	flat_load_dwordx2 v[12:13], v[2:3]
.LBB92_2:
	s_waitcnt vmcnt(0) lgkmcnt(0)
	v_cmp_neq_f64_e32 vcc, 0, v[12:13]
	s_and_saveexec_b64 s[6:7], vcc
	s_cbranch_execz .LBB92_41
; %bb.3:
	s_load_dword s5, s[0:1], 0x84
	s_add_u32 s6, s0, 0x80
	s_addc_u32 s7, s1, 0
	s_cmp_eq_u32 s2, 0
	s_waitcnt lgkmcnt(0)
	v_cvt_f32_u32_e32 v1, s5
	v_rcp_iflag_f32_e32 v1, v1
	s_nop 0
	v_mul_f32_e32 v1, 0x4f7ffffe, v1
	v_cvt_u32_f32_e32 v1, v1
	s_nop 0
	v_readfirstlane_b32 s8, v1
	s_cbranch_scc1 .LBB92_41
; %bb.4:
	s_sub_i32 s9, 0, s5
	s_mul_i32 s9, s9, s8
	s_mul_hi_u32 s9, s8, s9
	s_add_i32 s8, s8, s9
	s_mul_hi_u32 s8, s2, s8
	s_mul_i32 s9, s8, s5
	s_sub_i32 s9, s2, s9
	s_add_i32 s10, s8, 1
	s_sub_i32 s11, s9, s5
	s_cmp_ge_u32 s9, s5
	s_cselect_b32 s8, s10, s8
	s_cselect_b32 s9, s11, s9
	s_add_i32 s10, s8, 1
	s_cmp_ge_u32 s9, s5
	s_cselect_b32 s38, s10, s8
	s_add_i32 s8, s5, -1
	s_cmp_lg_u32 s3, s8
	s_mov_b32 s46, s38
	s_cbranch_scc1 .LBB92_6
; %bb.5:
	s_mul_i32 s5, s38, s5
	s_sub_i32 s5, s2, s5
	s_add_i32 s46, s5, s38
.LBB92_6:
	s_cmp_eq_u32 s46, 0
	s_cbranch_scc1 .LBB92_41
; %bb.7:
	s_load_dwordx4 s[24:27], s[0:1], 0x48
	s_load_dword s33, s[0:1], 0x78
	s_load_dword s42, s[6:7], 0x0
	v_and_b32_e32 v46, 0x3ff, v0
	v_bfe_u32 v1, v0, 10, 10
	s_waitcnt lgkmcnt(0)
	s_mul_i32 s5, s27, s4
	s_mul_hi_u32 s9, s26, s4
	s_mul_i32 s8, s26, s4
	s_add_i32 s9, s9, s5
	s_lshl_b64 s[28:29], s[8:9], 3
	s_add_u32 s5, s20, s28
	s_addc_u32 s8, s21, s29
	s_lshl_b64 s[26:27], s[22:23], 3
	s_add_u32 s5, s5, s26
	s_addc_u32 s47, s8, s27
	s_lshl_b32 s22, s2, 5
	s_ashr_i32 s23, s22, 31
	s_mul_i32 s8, s24, s23
	s_mul_hi_u32 s9, s24, s22
	s_add_i32 s8, s9, s8
	s_mul_i32 s9, s25, s22
	s_add_i32 s9, s8, s9
	s_mul_i32 s8, s24, s22
	s_lshl_b64 s[6:7], s[8:9], 3
	s_add_u32 s10, s5, s6
	s_addc_u32 s11, s47, s7
	s_add_i32 s42, s42, -1
	s_cmp_lg_u32 s2, s42
	v_lshl_add_u32 v4, v1, 5, v46
	s_cselect_b64 s[8:9], -1, 0
	v_and_b32_e32 v14, 15, v0
	v_lshrrev_b32_e32 v5, 4, v4
	v_cmp_eq_u32_e64 s[6:7], 0, v1
	s_mov_b64 s[30:31], -1
	s_and_b64 vcc, exec, s[8:9]
	s_cbranch_vccnz .LBB92_13
; %bb.8:
	s_and_saveexec_b64 s[30:31], s[6:7]
	s_cbranch_execz .LBB92_12
; %bb.9:
	v_cmp_gt_i32_e32 vcc, s33, v46
	v_mov_b64_e32 v[0:1], 0
	s_and_saveexec_b64 s[34:35], vcc
	s_cbranch_execz .LBB92_11
; %bb.10:
	v_mad_u64_u32 v[0:1], s[36:37], s24, v46, 0
	v_mov_b32_e32 v2, v1
	v_mad_u64_u32 v[2:3], s[36:37], s25, v46, v[2:3]
	v_mov_b32_e32 v1, v2
	v_lshl_add_u64 v[0:1], v[0:1], 3, s[10:11]
	global_load_dwordx2 v[0:1], v[0:1], off
.LBB92_11:
	s_or_b64 exec, exec, s[34:35]
	v_lshlrev_b32_e32 v2, 3, v46
	s_waitcnt vmcnt(0)
	ds_write_b64 v2, v[0:1] offset:8192
.LBB92_12:
	s_or_b64 exec, exec, s[30:31]
	s_mov_b32 s30, 0
	v_lshlrev_b32_e32 v0, 3, v14
	s_mov_b32 s31, s30
	v_lshl_or_b32 v2, v5, 8, v0
	v_mov_b64_e32 v[0:1], s[30:31]
	ds_write2_b64 v2, v[0:1], v[0:1] offset1:16
	v_add_u32_e32 v2, 0x1000, v2
	s_mov_b64 s[30:31], 0
	ds_write2_b64 v2, v[0:1], v[0:1] offset1:16
.LBB92_13:
	s_load_dwordx2 s[40:41], s[0:1], 0x58
	s_and_b64 vcc, exec, s[30:31]
	s_cbranch_vccz .LBB92_17
; %bb.14:
	s_and_saveexec_b64 s[30:31], s[6:7]
	s_cbranch_execz .LBB92_16
; %bb.15:
	v_mad_u64_u32 v[0:1], s[34:35], s24, v46, 0
	v_mov_b32_e32 v2, v1
	v_mad_u64_u32 v[2:3], s[34:35], s25, v46, v[2:3]
	v_mov_b32_e32 v1, v2
	v_lshl_add_u64 v[0:1], v[0:1], 3, s[10:11]
	global_load_dwordx2 v[0:1], v[0:1], off
	v_lshlrev_b32_e32 v2, 3, v46
	s_waitcnt vmcnt(0)
	ds_write_b64 v2, v[0:1] offset:8192
.LBB92_16:
	s_or_b64 exec, exec, s[30:31]
.LBB92_17:
	s_lshr_b32 s10, s33, 31
	s_add_i32 s10, s33, s10
	s_ashr_i32 s43, s10, 1
	s_mul_i32 s10, s19, s4
	s_mul_hi_u32 s11, s18, s4
	s_add_i32 s11, s11, s10
	s_mul_i32 s10, s18, s4
	s_lshl_b64 s[34:35], s[10:11], 3
	s_add_u32 s10, s12, s34
	s_addc_u32 s11, s13, s35
	s_lshl_b64 s[36:37], s[14:15], 3
	s_add_u32 s14, s10, s36
	s_addc_u32 s15, s11, s37
	s_mul_i32 s10, s16, s23
	s_mul_hi_u32 s11, s16, s22
	s_add_i32 s10, s11, s10
	s_mul_i32 s11, s17, s22
	s_add_i32 s11, s10, s11
	s_mul_i32 s10, s16, s22
	s_lshl_b64 s[10:11], s[10:11], 3
	s_add_u32 s44, s14, s10
	s_mul_i32 s3, s3, s38
	s_addc_u32 s45, s15, s11
	s_lshl_b32 s38, s3, 5
	v_lshlrev_b32_e32 v6, 1, v5
	v_mov_b32_e32 v15, 0
	s_ashr_i32 s39, s38, 31
	v_mad_u64_u32 v[16:17], s[10:11], s16, v6, v[14:15]
	s_lshl_b64 s[18:19], s[38:39], 3
	v_mov_b32_e32 v0, v17
	s_add_u32 s30, s44, s18
	v_mad_u64_u32 v[0:1], s[10:11], s17, v6, v[0:1]
	v_cmp_gt_i32_e32 vcc, s43, v5
	s_addc_u32 s31, s45, s19
	v_mov_b32_e32 v17, v0
	s_or_b64 s[14:15], s[8:9], vcc
	v_mov_b32_e32 v0, v15
	v_mov_b32_e32 v1, v15
	;; [unrolled: 1-line block ×4, first 2 shown]
	s_waitcnt lgkmcnt(0)
	s_barrier
	s_and_saveexec_b64 s[8:9], s[14:15]
	s_cbranch_execz .LBB92_19
; %bb.18:
	v_lshl_add_u64 v[8:9], v[16:17], 3, s[30:31]
	v_lshl_add_u64 v[10:11], s[16:17], 3, v[8:9]
	global_load_dwordx2 v[0:1], v[8:9], off
	global_load_dwordx2 v[2:3], v[10:11], off
.LBB92_19:
	s_or_b64 exec, exec, s[8:9]
	s_load_dwordx2 s[48:49], s[0:1], 0x70
	s_load_dwordx4 s[8:11], s[0:1], 0x60
	v_lshlrev_b32_e32 v15, 8, v5
	s_waitcnt lgkmcnt(0)
	s_mul_i32 s1, s49, s4
	s_mul_hi_u32 s3, s48, s4
	s_mul_i32 s0, s48, s4
	s_add_i32 s1, s3, s1
	s_lshl_b64 s[0:1], s[0:1], 3
	s_add_u32 s3, s40, s0
	s_addc_u32 s4, s41, s1
	s_lshl_b64 s[0:1], s[8:9], 3
	s_add_u32 s3, s3, s0
	s_addc_u32 s43, s4, s1
	s_cmp_gt_i32 s46, 0
	s_cbranch_scc1 .LBB92_21
; %bb.20:
	v_lshlrev_b32_e32 v5, 8, v5
	v_mov_b64_e32 v[22:23], 0
	v_mov_b64_e32 v[20:21], 0
	s_cbranch_execz .LBB92_22
	s_branch .LBB92_38
.LBB92_21:
                                        ; implicit-def: $vgpr5
	v_mov_b64_e32 v[22:23], 0
	v_mov_b64_e32 v[20:21], 0
.LBB92_22:
	v_mad_u64_u32 v[8:9], s[0:1], s24, v14, 0
	v_mov_b32_e32 v10, v9
	v_mad_u64_u32 v[10:11], s[0:1], s25, v14, v[10:11]
	s_mul_i32 s0, s24, s39
	s_mul_hi_u32 s1, s24, s38
	s_add_i32 s0, s1, s0
	s_mul_i32 s1, s25, s38
	s_add_i32 s1, s0, s1
	s_mul_i32 s0, s24, s38
	s_lshl_b64 s[8:9], s[0:1], 3
	s_add_u32 s40, s5, s8
	v_mov_b32_e32 v9, v10
	s_addc_u32 s41, s47, s9
	v_lshl_add_u64 v[8:9], v[8:9], 3, s[40:41]
	global_load_dwordx2 v[30:31], v[8:9], off
	s_mul_i32 s0, s10, s39
	s_mul_hi_u32 s1, s10, s38
	s_add_i32 s0, s1, s0
	s_mul_i32 s1, s11, s38
	s_add_i32 s1, s0, s1
	s_mul_i32 s0, s10, s38
	s_lshl_b64 s[0:1], s[0:1], 3
	s_add_u32 s38, s3, s0
	s_addc_u32 s39, s43, s1
	v_mov_b32_e32 v7, 0x2000
	v_mad_u64_u32 v[18:19], s[0:1], s10, v46, 0
	v_lshl_add_u32 v49, v6, 3, v7
	v_mov_b32_e32 v6, v19
	v_lshlrev_b32_e32 v5, 3, v14
	v_mad_u64_u32 v[6:7], s[0:1], s11, v46, v[6:7]
	v_lshlrev_b32_e32 v47, 3, v46
	v_mov_b32_e32 v19, v6
	v_mov_b64_e32 v[26:27], 0
	s_cmp_eq_u32 s46, 1
	v_add_u32_e32 v48, v5, v15
	s_cbranch_scc1 .LBB92_32
; %bb.23:
	s_lshl_b64 s[0:1], s[24:25], 8
	s_lshl_b64 s[4:5], s[10:11], 8
	s_add_i32 s46, s46, -1
	v_and_b32_e32 v4, 0xfff0, v4
	v_mov_b32_e32 v5, 0
	s_add_u32 s30, s36, s34
	v_lshl_add_u64 v[6:7], s[22:23], 3, v[4:5]
	s_addc_u32 s31, s37, s35
	v_lshl_add_u64 v[8:9], v[6:7], 0, 8
	v_mov_b64_e32 v[10:11], s[30:31]
	v_mad_u64_u32 v[20:21], s[30:31], s16, v8, v[10:11]
	v_mul_lo_u32 v4, s16, v9
	v_mul_lo_u32 v8, s17, v8
	v_add3_u32 v21, v8, v21, v4
	v_lshlrev_b32_e32 v4, 3, v14
	v_lshl_add_u64 v[8:9], v[20:21], 0, v[4:5]
	v_lshl_add_u64 v[32:33], s[12:13], 0, v[8:9]
	v_mad_u64_u32 v[8:9], s[30:31], s16, v6, v[10:11]
	v_mul_lo_u32 v7, s16, v7
	v_mul_lo_u32 v6, s17, v6
	v_add3_u32 v9, v6, v9, v7
	v_lshl_add_u64 v[6:7], v[8:9], 0, v[4:5]
	v_lshl_add_u64 v[34:35], s[12:13], 0, v[6:7]
	;; [unrolled: 1-line block ×3, first 2 shown]
	s_mov_b64 s[12:13], 0x80
	v_lshl_add_u64 v[6:7], v[4:5], 0, s[12:13]
	s_add_u32 s12, s20, s28
	s_addc_u32 s13, s21, s29
	s_add_u32 s8, s8, s28
	s_addc_u32 s9, s9, s29
	;; [unrolled: 2-line block ×3, first 2 shown]
	s_mov_b64 s[8:9], 0x100
	v_mov_b64_e32 v[8:9], s[12:13]
	v_lshl_add_u64 v[4:5], v[4:5], 0, s[8:9]
	v_mul_lo_u32 v7, s24, v7
	v_mul_lo_u32 v10, s25, v6
	v_mad_u64_u32 v[36:37], s[12:13], s24, v6, v[8:9]
	v_mul_lo_u32 v5, s24, v5
	v_mul_lo_u32 v6, s25, v4
	v_mad_u64_u32 v[38:39], s[12:13], s24, v4, v[8:9]
	v_add3_u32 v37, v10, v37, v7
	v_add3_u32 v39, v6, v39, v5
	v_mov_b64_e32 v[20:21], 0
	v_mov_b64_e32 v[24:25], s[38:39]
	;; [unrolled: 1-line block ×5, first 2 shown]
.LBB92_24:                              ; =>This Inner Loop Header: Depth=1
	v_lshl_add_u64 v[4:5], v[36:37], 0, s[26:27]
	global_load_dwordx2 v[42:43], v[4:5], off
	v_lshl_add_u64 v[40:41], v[34:35], 0, s[18:19]
	v_lshl_add_u64 v[44:45], v[32:33], 0, s[18:19]
	s_and_saveexec_b64 s[12:13], s[14:15]
	s_cbranch_execz .LBB92_26
; %bb.25:                               ;   in Loop: Header=BB92_24 Depth=1
	global_load_dwordx2 v[28:29], v[40:41], off offset:128
	global_load_dwordx2 v[26:27], v[44:45], off offset:128
.LBB92_26:                              ;   in Loop: Header=BB92_24 Depth=1
	s_or_b64 exec, exec, s[12:13]
	ds_read_b128 v[8:11], v49
	s_waitcnt vmcnt(2)
	v_mov_b64_e32 v[6:7], v[2:3]
	v_mov_b64_e32 v[4:5], v[0:1]
	s_and_saveexec_b64 s[12:13], s[14:15]
	s_cbranch_execz .LBB92_28
; %bb.27:                               ;   in Loop: Header=BB92_24 Depth=1
	global_load_dwordx2 v[4:5], v[40:41], off offset:256
	global_load_dwordx2 v[6:7], v[44:45], off offset:256
.LBB92_28:                              ;   in Loop: Header=BB92_24 Depth=1
	s_or_b64 exec, exec, s[12:13]
	v_lshl_add_u64 v[40:41], v[38:39], 0, s[26:27]
	global_load_dwordx2 v[40:41], v[40:41], off
	s_waitcnt lgkmcnt(0)
	v_fma_f64 v[44:45], v[0:1], v[8:9], 0
	s_waitcnt vmcnt(2)
	v_fma_f64 v[8:9], v[28:29], v[8:9], 0
	v_fmac_f64_e32 v[44:45], v[2:3], v[10:11]
	s_waitcnt vmcnt(1)
	v_fmac_f64_e32 v[8:9], v[26:27], v[10:11]
	s_barrier
	ds_write2_b64 v48, v[44:45], v[8:9] offset1:16
	s_waitcnt lgkmcnt(0)
	s_barrier
	s_and_saveexec_b64 s[12:13], s[6:7]
	s_cbranch_execz .LBB92_30
; %bb.29:                               ;   in Loop: Header=BB92_24 Depth=1
	ds_read2_b64 v[8:11], v47 offset1:32
	ds_read2_b64 v[50:53], v47 offset0:64 offset1:96
	ds_read2_b64 v[54:57], v47 offset0:128 offset1:160
	;; [unrolled: 1-line block ×3, first 2 shown]
	v_add_u32_e32 v62, 0x800, v47
	s_waitcnt lgkmcnt(3)
	v_add_f64 v[8:9], v[8:9], 0
	v_add_f64 v[8:9], v[8:9], v[10:11]
	s_waitcnt lgkmcnt(2)
	v_add_f64 v[8:9], v[8:9], v[50:51]
	v_add_f64 v[8:9], v[8:9], v[52:53]
	s_waitcnt lgkmcnt(1)
	v_add_f64 v[44:45], v[8:9], v[54:55]
	ds_read2_b64 v[8:11], v62 offset1:32
	v_add_f64 v[44:45], v[44:45], v[56:57]
	ds_read2_b64 v[50:53], v62 offset0:64 offset1:96
	s_waitcnt lgkmcnt(2)
	v_add_f64 v[44:45], v[44:45], v[58:59]
	v_add_f64 v[44:45], v[44:45], v[60:61]
	ds_read2_b64 v[54:57], v62 offset0:128 offset1:160
	s_waitcnt lgkmcnt(2)
	v_add_f64 v[8:9], v[44:45], v[8:9]
	;; [unrolled: 4-line block ×3, first 2 shown]
	v_add_f64 v[44:45], v[44:45], v[52:53]
	s_waitcnt lgkmcnt(1)
	v_add_f64 v[44:45], v[44:45], v[54:55]
	v_add_f64 v[44:45], v[44:45], v[56:57]
	s_waitcnt lgkmcnt(0)
	v_add_f64 v[8:9], v[44:45], v[8:9]
	v_add_f64 v[8:9], v[8:9], v[10:11]
	v_lshl_add_u64 v[10:11], v[18:19], 3, v[24:25]
	v_mul_f64 v[8:9], v[12:13], v[8:9]
	global_atomic_add_f64 v[10:11], v[8:9], off
	v_lshl_add_u64 v[24:25], v[24:25], 0, s[4:5]
.LBB92_30:                              ;   in Loop: Header=BB92_24 Depth=1
	s_or_b64 exec, exec, s[12:13]
	s_add_i32 s46, s46, -1
	s_add_u32 s44, s44, 0x100
	s_addc_u32 s45, s45, 0
	s_add_u32 s20, s20, s0
	s_addc_u32 s21, s21, s1
	;; [unrolled: 2-line block ×3, first 2 shown]
	s_add_u32 s30, s44, s18
	v_fmac_f64_e32 v[20:21], v[30:31], v[0:1]
	v_fmac_f64_e32 v[22:23], v[30:31], v[2:3]
	s_addc_u32 s31, s45, s19
	v_fmac_f64_e32 v[20:21], v[42:43], v[28:29]
	v_fmac_f64_e32 v[22:23], v[42:43], v[26:27]
	v_lshl_add_u64 v[32:33], v[32:33], 0, s[8:9]
	v_lshl_add_u64 v[34:35], v[34:35], 0, s[8:9]
	;; [unrolled: 1-line block ×3, first 2 shown]
	s_cmp_eq_u32 s46, 0
	v_lshl_add_u64 v[38:39], v[38:39], 0, s[0:1]
	s_cbranch_scc1 .LBB92_33
; %bb.31:                               ;   in Loop: Header=BB92_24 Depth=1
	v_mov_b64_e32 v[0:1], v[4:5]
	s_waitcnt vmcnt(0)
	v_mov_b64_e32 v[30:31], v[40:41]
	v_mov_b64_e32 v[2:3], v[6:7]
	s_branch .LBB92_24
.LBB92_32:
	s_waitcnt vmcnt(1)
	v_mov_b64_e32 v[6:7], v[2:3]
	v_mov_b64_e32 v[24:25], s[38:39]
	;; [unrolled: 1-line block ×6, first 2 shown]
	s_waitcnt vmcnt(0)
	v_mov_b64_e32 v[40:41], v[30:31]
.LBB92_33:
	v_or_b32_e32 v3, 16, v14
	v_mad_u64_u32 v[0:1], s[0:1], s24, v3, 0
	v_mov_b32_e32 v2, v1
	v_mad_u64_u32 v[2:3], s[0:1], s25, v3, v[2:3]
	v_mov_b32_e32 v1, v2
	v_lshl_add_u64 v[0:1], v[0:1], 3, s[40:41]
	global_load_dwordx2 v[0:1], v[0:1], off
	s_and_saveexec_b64 s[0:1], s[14:15]
	s_cbranch_execz .LBB92_35
; %bb.34:
	v_lshl_add_u64 v[2:3], v[16:17], 3, s[30:31]
	v_lshl_add_u64 v[8:9], s[16:17], 3, v[2:3]
	global_load_dwordx2 v[28:29], v[2:3], off offset:128
	global_load_dwordx2 v[26:27], v[8:9], off offset:128
.LBB92_35:
	s_or_b64 exec, exec, s[0:1]
	ds_read_b128 v[8:11], v49
	s_waitcnt vmcnt(1)
	v_fmac_f64_e32 v[20:21], v[40:41], v[4:5]
	v_fmac_f64_e32 v[22:23], v[40:41], v[6:7]
	s_waitcnt lgkmcnt(0)
	s_barrier
	v_fma_f64 v[2:3], v[4:5], v[8:9], 0
	v_fma_f64 v[4:5], v[28:29], v[8:9], 0
	v_fmac_f64_e32 v[2:3], v[6:7], v[10:11]
	s_waitcnt vmcnt(0)
	v_fmac_f64_e32 v[4:5], v[26:27], v[10:11]
	ds_write2_b64 v48, v[2:3], v[4:5] offset1:16
	s_waitcnt lgkmcnt(0)
	s_barrier
	s_and_saveexec_b64 s[0:1], s[6:7]
	s_cbranch_execz .LBB92_37
; %bb.36:
	ds_read2_b64 v[2:5], v47 offset1:32
	ds_read2_b64 v[6:9], v47 offset0:64 offset1:96
	ds_read2_b64 v[30:33], v47 offset0:128 offset1:160
	;; [unrolled: 1-line block ×3, first 2 shown]
	v_add_u32_e32 v16, 0x800, v47
	s_waitcnt lgkmcnt(3)
	v_add_f64 v[2:3], v[2:3], 0
	v_add_f64 v[2:3], v[2:3], v[4:5]
	s_waitcnt lgkmcnt(2)
	v_add_f64 v[2:3], v[2:3], v[6:7]
	v_add_f64 v[2:3], v[2:3], v[8:9]
	s_waitcnt lgkmcnt(1)
	v_add_f64 v[6:7], v[2:3], v[30:31]
	ds_read2_b64 v[2:5], v16 offset1:32
	v_add_f64 v[6:7], v[6:7], v[32:33]
	s_waitcnt lgkmcnt(1)
	v_add_f64 v[6:7], v[6:7], v[34:35]
	v_add_f64 v[10:11], v[6:7], v[36:37]
	ds_read2_b64 v[6:9], v16 offset0:64 offset1:96
	ds_read2_b64 v[30:33], v16 offset0:128 offset1:160
	s_waitcnt lgkmcnt(2)
	v_add_f64 v[2:3], v[10:11], v[2:3]
	v_add_f64 v[10:11], v[2:3], v[4:5]
	ds_read2_b64 v[2:5], v16 offset0:192 offset1:224
	s_waitcnt lgkmcnt(2)
	v_add_f64 v[6:7], v[10:11], v[6:7]
	v_add_f64 v[6:7], v[6:7], v[8:9]
	s_waitcnt lgkmcnt(1)
	v_add_f64 v[6:7], v[6:7], v[30:31]
	v_add_f64 v[6:7], v[6:7], v[32:33]
	;; [unrolled: 3-line block ×3, first 2 shown]
	v_lshl_add_u64 v[4:5], v[18:19], 3, v[24:25]
	v_mul_f64 v[2:3], v[12:13], v[2:3]
	global_atomic_add_f64 v[4:5], v[2:3], off
.LBB92_37:
	s_or_b64 exec, exec, s[0:1]
	v_fmac_f64_e32 v[20:21], v[0:1], v[28:29]
	v_fmac_f64_e32 v[22:23], v[0:1], v[26:27]
	v_mov_b32_e32 v5, v15
.LBB92_38:
	s_waitcnt vmcnt(1)
	v_lshl_add_u32 v0, v14, 3, v5
	v_add_u32_e32 v0, 0x1000, v0
	ds_write2_b64 v0, v[20:21], v[22:23] offset1:16
	s_waitcnt lgkmcnt(0)
	s_barrier
	s_and_b64 exec, exec, s[6:7]
	s_cbranch_execz .LBB92_41
; %bb.39:
	s_cmp_lt_u32 s2, s42
	v_cmp_gt_i32_e32 vcc, s33, v46
	s_cselect_b64 s[0:1], -1, 0
	s_or_b64 s[0:1], vcc, s[0:1]
	s_and_b64 exec, exec, s[0:1]
	s_cbranch_execz .LBB92_41
; %bb.40:
	v_mov_b32_e32 v0, 0x1000
	v_add_u32_e32 v1, 1, v46
	v_lshl_add_u32 v15, v46, 7, v0
	v_and_b32_e32 v1, 15, v1
	s_waitcnt vmcnt(0)
	v_lshl_or_b32 v2, v1, 3, v15
	v_add_u32_e32 v1, 2, v46
	v_and_b32_e32 v1, 15, v1
	v_lshl_or_b32 v0, v14, 3, v15
	v_lshl_or_b32 v4, v1, 3, v15
	ds_read_b64 v[0:1], v0
	ds_read_b64 v[2:3], v2
	;; [unrolled: 1-line block ×3, first 2 shown]
	v_add_u32_e32 v6, 3, v46
	v_and_b32_e32 v6, 15, v6
	s_waitcnt lgkmcnt(2)
	v_add_f64 v[0:1], v[0:1], 0
	s_waitcnt lgkmcnt(1)
	v_add_f64 v[0:1], v[0:1], v[2:3]
	v_add_u32_e32 v3, 5, v46
	v_and_b32_e32 v3, 15, v3
	v_lshl_or_b32 v6, v6, 3, v15
	s_waitcnt lgkmcnt(0)
	v_add_f64 v[0:1], v[0:1], v[4:5]
	v_lshl_or_b32 v4, v3, 3, v15
	v_add_u32_e32 v3, 6, v46
	ds_read_b64 v[6:7], v6
	v_and_b32_e32 v3, 15, v3
	v_add_u32_e32 v2, 4, v46
	v_lshl_or_b32 v8, v3, 3, v15
	v_add_u32_e32 v3, 7, v46
	v_and_b32_e32 v2, 15, v2
	v_and_b32_e32 v3, 15, v3
	v_lshl_or_b32 v2, v2, 3, v15
	v_lshl_or_b32 v10, v3, 3, v15
	ds_read_b64 v[2:3], v2
	ds_read_b64 v[4:5], v4
	;; [unrolled: 1-line block ×4, first 2 shown]
	s_waitcnt lgkmcnt(4)
	v_add_f64 v[0:1], v[0:1], v[6:7]
	s_waitcnt lgkmcnt(3)
	v_add_f64 v[0:1], v[0:1], v[2:3]
	v_add_u32_e32 v3, 9, v46
	v_and_b32_e32 v3, 15, v3
	s_waitcnt lgkmcnt(2)
	v_add_f64 v[0:1], v[0:1], v[4:5]
	v_lshl_or_b32 v4, v3, 3, v15
	v_add_u32_e32 v3, 10, v46
	v_xor_b32_e32 v2, 8, v14
	v_and_b32_e32 v3, 15, v3
	v_lshl_or_b32 v2, v2, 3, v15
	v_lshl_or_b32 v6, v3, 3, v15
	ds_read_b64 v[2:3], v2
	ds_read_b64 v[4:5], v4
	ds_read_b64 v[6:7], v6
	s_waitcnt lgkmcnt(4)
	v_add_f64 v[0:1], v[0:1], v[8:9]
	s_waitcnt lgkmcnt(3)
	v_add_f64 v[0:1], v[0:1], v[10:11]
	v_add_u32_e32 v8, 11, v46
	s_waitcnt lgkmcnt(2)
	v_add_f64 v[0:1], v[0:1], v[2:3]
	v_add_u32_e32 v3, 13, v46
	v_and_b32_e32 v8, 15, v8
	v_and_b32_e32 v3, 15, v3
	v_lshl_or_b32 v8, v8, 3, v15
	s_waitcnt lgkmcnt(1)
	v_add_f64 v[0:1], v[0:1], v[4:5]
	v_lshl_or_b32 v4, v3, 3, v15
	v_add_u32_e32 v3, 14, v46
	ds_read_b64 v[8:9], v8
	v_and_b32_e32 v3, 15, v3
	s_waitcnt lgkmcnt(1)
	v_add_f64 v[0:1], v[0:1], v[6:7]
	v_add_u32_e32 v2, 12, v46
	v_lshl_or_b32 v6, v3, 3, v15
	v_add_u32_e32 v3, -1, v46
	s_mul_i32 s0, s10, s23
	s_mul_hi_u32 s1, s10, s22
	v_and_b32_e32 v2, 15, v2
	v_and_b32_e32 v3, 15, v3
	s_add_i32 s0, s1, s0
	s_mul_i32 s1, s11, s22
	v_lshl_or_b32 v2, v2, 3, v15
	v_lshl_or_b32 v10, v3, 3, v15
	s_add_i32 s1, s0, s1
	s_mul_i32 s0, s10, s22
	ds_read_b64 v[2:3], v2
	ds_read_b64 v[4:5], v4
	;; [unrolled: 1-line block ×4, first 2 shown]
	s_lshl_b64 s[0:1], s[0:1], 3
	s_waitcnt lgkmcnt(4)
	v_add_f64 v[0:1], v[0:1], v[8:9]
	s_add_u32 s0, s3, s0
	s_waitcnt lgkmcnt(3)
	v_add_f64 v[0:1], v[0:1], v[2:3]
	v_mad_u64_u32 v[2:3], s[2:3], s10, v46, 0
	s_waitcnt lgkmcnt(2)
	v_add_f64 v[0:1], v[0:1], v[4:5]
	v_mov_b32_e32 v4, v3
	s_waitcnt lgkmcnt(1)
	v_add_f64 v[0:1], v[0:1], v[6:7]
	v_mad_u64_u32 v[4:5], s[2:3], s11, v46, v[4:5]
	s_addc_u32 s1, s43, s1
	s_waitcnt lgkmcnt(0)
	v_add_f64 v[0:1], v[0:1], v[10:11]
	v_mov_b32_e32 v3, v4
	v_lshl_add_u64 v[2:3], v[2:3], 3, s[0:1]
	v_mul_f64 v[0:1], v[12:13], v[0:1]
	global_atomic_add_f64 v[2:3], v[0:1], off
.LBB92_41:
	s_endpgm
	.section	.rodata,"a",@progbits
	.p2align	6, 0x0
	.amdhsa_kernel _ZL62rocblas_symv_kernel_upper_double_buffered_non_diagonal_genericILi32ELi8ELi2ELi0E24rocblas_internal_val_ptrIdEPKdPdEvbiT3_lT4_lllS6_lllT5_lllii
		.amdhsa_group_segment_fixed_size 8448
		.amdhsa_private_segment_fixed_size 0
		.amdhsa_kernarg_size 384
		.amdhsa_user_sgpr_count 2
		.amdhsa_user_sgpr_dispatch_ptr 0
		.amdhsa_user_sgpr_queue_ptr 0
		.amdhsa_user_sgpr_kernarg_segment_ptr 1
		.amdhsa_user_sgpr_dispatch_id 0
		.amdhsa_user_sgpr_kernarg_preload_length 0
		.amdhsa_user_sgpr_kernarg_preload_offset 0
		.amdhsa_user_sgpr_private_segment_size 0
		.amdhsa_uses_dynamic_stack 0
		.amdhsa_enable_private_segment 0
		.amdhsa_system_sgpr_workgroup_id_x 1
		.amdhsa_system_sgpr_workgroup_id_y 1
		.amdhsa_system_sgpr_workgroup_id_z 1
		.amdhsa_system_sgpr_workgroup_info 0
		.amdhsa_system_vgpr_workitem_id 1
		.amdhsa_next_free_vgpr 63
		.amdhsa_next_free_sgpr 50
		.amdhsa_accum_offset 64
		.amdhsa_reserve_vcc 1
		.amdhsa_float_round_mode_32 0
		.amdhsa_float_round_mode_16_64 0
		.amdhsa_float_denorm_mode_32 3
		.amdhsa_float_denorm_mode_16_64 3
		.amdhsa_dx10_clamp 1
		.amdhsa_ieee_mode 1
		.amdhsa_fp16_overflow 0
		.amdhsa_tg_split 0
		.amdhsa_exception_fp_ieee_invalid_op 0
		.amdhsa_exception_fp_denorm_src 0
		.amdhsa_exception_fp_ieee_div_zero 0
		.amdhsa_exception_fp_ieee_overflow 0
		.amdhsa_exception_fp_ieee_underflow 0
		.amdhsa_exception_fp_ieee_inexact 0
		.amdhsa_exception_int_div_zero 0
	.end_amdhsa_kernel
	.section	.text._ZL62rocblas_symv_kernel_upper_double_buffered_non_diagonal_genericILi32ELi8ELi2ELi0E24rocblas_internal_val_ptrIdEPKdPdEvbiT3_lT4_lllS6_lllT5_lllii,"axG",@progbits,_ZL62rocblas_symv_kernel_upper_double_buffered_non_diagonal_genericILi32ELi8ELi2ELi0E24rocblas_internal_val_ptrIdEPKdPdEvbiT3_lT4_lllS6_lllT5_lllii,comdat
.Lfunc_end92:
	.size	_ZL62rocblas_symv_kernel_upper_double_buffered_non_diagonal_genericILi32ELi8ELi2ELi0E24rocblas_internal_val_ptrIdEPKdPdEvbiT3_lT4_lllS6_lllT5_lllii, .Lfunc_end92-_ZL62rocblas_symv_kernel_upper_double_buffered_non_diagonal_genericILi32ELi8ELi2ELi0E24rocblas_internal_val_ptrIdEPKdPdEvbiT3_lT4_lllS6_lllT5_lllii
                                        ; -- End function
	.set _ZL62rocblas_symv_kernel_upper_double_buffered_non_diagonal_genericILi32ELi8ELi2ELi0E24rocblas_internal_val_ptrIdEPKdPdEvbiT3_lT4_lllS6_lllT5_lllii.num_vgpr, 63
	.set _ZL62rocblas_symv_kernel_upper_double_buffered_non_diagonal_genericILi32ELi8ELi2ELi0E24rocblas_internal_val_ptrIdEPKdPdEvbiT3_lT4_lllS6_lllT5_lllii.num_agpr, 0
	.set _ZL62rocblas_symv_kernel_upper_double_buffered_non_diagonal_genericILi32ELi8ELi2ELi0E24rocblas_internal_val_ptrIdEPKdPdEvbiT3_lT4_lllS6_lllT5_lllii.numbered_sgpr, 50
	.set _ZL62rocblas_symv_kernel_upper_double_buffered_non_diagonal_genericILi32ELi8ELi2ELi0E24rocblas_internal_val_ptrIdEPKdPdEvbiT3_lT4_lllS6_lllT5_lllii.num_named_barrier, 0
	.set _ZL62rocblas_symv_kernel_upper_double_buffered_non_diagonal_genericILi32ELi8ELi2ELi0E24rocblas_internal_val_ptrIdEPKdPdEvbiT3_lT4_lllS6_lllT5_lllii.private_seg_size, 0
	.set _ZL62rocblas_symv_kernel_upper_double_buffered_non_diagonal_genericILi32ELi8ELi2ELi0E24rocblas_internal_val_ptrIdEPKdPdEvbiT3_lT4_lllS6_lllT5_lllii.uses_vcc, 1
	.set _ZL62rocblas_symv_kernel_upper_double_buffered_non_diagonal_genericILi32ELi8ELi2ELi0E24rocblas_internal_val_ptrIdEPKdPdEvbiT3_lT4_lllS6_lllT5_lllii.uses_flat_scratch, 0
	.set _ZL62rocblas_symv_kernel_upper_double_buffered_non_diagonal_genericILi32ELi8ELi2ELi0E24rocblas_internal_val_ptrIdEPKdPdEvbiT3_lT4_lllS6_lllT5_lllii.has_dyn_sized_stack, 0
	.set _ZL62rocblas_symv_kernel_upper_double_buffered_non_diagonal_genericILi32ELi8ELi2ELi0E24rocblas_internal_val_ptrIdEPKdPdEvbiT3_lT4_lllS6_lllT5_lllii.has_recursion, 0
	.set _ZL62rocblas_symv_kernel_upper_double_buffered_non_diagonal_genericILi32ELi8ELi2ELi0E24rocblas_internal_val_ptrIdEPKdPdEvbiT3_lT4_lllS6_lllT5_lllii.has_indirect_call, 0
	.section	.AMDGPU.csdata,"",@progbits
; Kernel info:
; codeLenInByte = 3244
; TotalNumSgprs: 56
; NumVgprs: 63
; NumAgprs: 0
; TotalNumVgprs: 63
; ScratchSize: 0
; MemoryBound: 1
; FloatMode: 240
; IeeeMode: 1
; LDSByteSize: 8448 bytes/workgroup (compile time only)
; SGPRBlocks: 6
; VGPRBlocks: 7
; NumSGPRsForWavesPerEU: 56
; NumVGPRsForWavesPerEU: 63
; AccumOffset: 64
; Occupancy: 8
; WaveLimiterHint : 0
; COMPUTE_PGM_RSRC2:SCRATCH_EN: 0
; COMPUTE_PGM_RSRC2:USER_SGPR: 2
; COMPUTE_PGM_RSRC2:TRAP_HANDLER: 0
; COMPUTE_PGM_RSRC2:TGID_X_EN: 1
; COMPUTE_PGM_RSRC2:TGID_Y_EN: 1
; COMPUTE_PGM_RSRC2:TGID_Z_EN: 1
; COMPUTE_PGM_RSRC2:TIDIG_COMP_CNT: 1
; COMPUTE_PGM_RSRC3_GFX90A:ACCUM_OFFSET: 15
; COMPUTE_PGM_RSRC3_GFX90A:TG_SPLIT: 0
	.section	.text._ZL62rocblas_symv_kernel_upper_double_buffered_non_diagonal_genericILi32ELi8ELi2ELi1E24rocblas_internal_val_ptrIdEPKdPdEvbiT3_lT4_lllS6_lllT5_lllii,"axG",@progbits,_ZL62rocblas_symv_kernel_upper_double_buffered_non_diagonal_genericILi32ELi8ELi2ELi1E24rocblas_internal_val_ptrIdEPKdPdEvbiT3_lT4_lllS6_lllT5_lllii,comdat
	.globl	_ZL62rocblas_symv_kernel_upper_double_buffered_non_diagonal_genericILi32ELi8ELi2ELi1E24rocblas_internal_val_ptrIdEPKdPdEvbiT3_lT4_lllS6_lllT5_lllii ; -- Begin function _ZL62rocblas_symv_kernel_upper_double_buffered_non_diagonal_genericILi32ELi8ELi2ELi1E24rocblas_internal_val_ptrIdEPKdPdEvbiT3_lT4_lllS6_lllT5_lllii
	.p2align	8
	.type	_ZL62rocblas_symv_kernel_upper_double_buffered_non_diagonal_genericILi32ELi8ELi2ELi1E24rocblas_internal_val_ptrIdEPKdPdEvbiT3_lT4_lllS6_lllT5_lllii,@function
_ZL62rocblas_symv_kernel_upper_double_buffered_non_diagonal_genericILi32ELi8ELi2ELi1E24rocblas_internal_val_ptrIdEPKdPdEvbiT3_lT4_lllS6_lllT5_lllii: ; @_ZL62rocblas_symv_kernel_upper_double_buffered_non_diagonal_genericILi32ELi8ELi2ELi1E24rocblas_internal_val_ptrIdEPKdPdEvbiT3_lT4_lllS6_lllT5_lllii
; %bb.0:
	s_load_dword s5, s[0:1], 0x0
	s_load_dwordx16 s[8:23], s[0:1], 0x8
	s_waitcnt lgkmcnt(0)
	s_bitcmp1_b32 s5, 0
	s_cselect_b64 s[6:7], -1, 0
	s_and_b64 vcc, exec, s[6:7]
	v_mov_b64_e32 v[12:13], s[8:9]
	s_cbranch_vccnz .LBB93_2
; %bb.1:
	s_mul_i32 s5, s11, s4
	s_mul_hi_u32 s6, s10, s4
	s_add_i32 s7, s6, s5
	s_mul_i32 s6, s10, s4
	s_lshl_b64 s[6:7], s[6:7], 3
	s_add_u32 s6, s8, s6
	s_addc_u32 s7, s9, s7
	v_mov_b64_e32 v[2:3], s[6:7]
	flat_load_dwordx2 v[12:13], v[2:3]
.LBB93_2:
	s_waitcnt vmcnt(0) lgkmcnt(0)
	v_cmp_neq_f64_e32 vcc, 0, v[12:13]
	s_and_saveexec_b64 s[6:7], vcc
	s_cbranch_execz .LBB93_73
; %bb.3:
	s_load_dword s5, s[0:1], 0x84
	s_add_u32 s6, s0, 0x80
	s_addc_u32 s7, s1, 0
	s_cmp_eq_u32 s2, 0
	s_waitcnt lgkmcnt(0)
	v_cvt_f32_u32_e32 v1, s5
	v_rcp_iflag_f32_e32 v1, v1
	s_nop 0
	v_mul_f32_e32 v1, 0x4f7ffffe, v1
	v_cvt_u32_f32_e32 v1, v1
	s_nop 0
	v_readfirstlane_b32 s8, v1
	s_cbranch_scc1 .LBB93_73
; %bb.4:
	s_sub_i32 s9, 0, s5
	s_mul_i32 s9, s9, s8
	s_mul_hi_u32 s9, s8, s9
	s_add_i32 s8, s8, s9
	s_mul_hi_u32 s8, s2, s8
	s_mul_i32 s9, s8, s5
	s_sub_i32 s9, s2, s9
	s_add_i32 s10, s8, 1
	s_sub_i32 s11, s9, s5
	s_cmp_ge_u32 s9, s5
	s_cselect_b32 s8, s10, s8
	s_cselect_b32 s9, s11, s9
	s_add_i32 s10, s8, 1
	s_cmp_ge_u32 s9, s5
	s_cselect_b32 s36, s10, s8
	s_add_i32 s8, s5, -1
	s_cmp_lg_u32 s3, s8
	s_mov_b32 s50, s36
	s_cbranch_scc1 .LBB93_6
; %bb.5:
	s_mul_i32 s5, s36, s5
	s_sub_i32 s5, s2, s5
	s_add_i32 s50, s5, s36
.LBB93_6:
	s_cmp_eq_u32 s50, 0
	s_cbranch_scc1 .LBB93_73
; %bb.7:
	s_load_dwordx4 s[28:31], s[0:1], 0x48
	s_load_dword s33, s[6:7], 0x0
	v_and_b32_e32 v44, 0x3ff, v0
	v_bfe_u32 v1, v0, 10, 10
	v_lshl_add_u32 v4, v1, 5, v44
	s_waitcnt lgkmcnt(0)
	s_mul_i32 s5, s31, s4
	s_mul_hi_u32 s9, s30, s4
	s_mul_i32 s8, s30, s4
	s_add_i32 s9, s9, s5
	s_lshl_b64 s[34:35], s[8:9], 3
	s_add_u32 s5, s20, s34
	s_addc_u32 s8, s21, s35
	s_lshl_b64 s[30:31], s[22:23], 3
	s_add_u32 s5, s5, s30
	s_addc_u32 s44, s8, s31
	s_lshl_b32 s22, s2, 5
	s_ashr_i32 s23, s22, 31
	s_mul_i32 s8, s28, s23
	s_mul_hi_u32 s9, s28, s22
	s_add_i32 s8, s9, s8
	s_mul_i32 s9, s29, s22
	s_add_i32 s9, s8, s9
	s_mul_i32 s8, s28, s22
	s_lshl_b64 s[6:7], s[8:9], 3
	s_add_u32 s10, s5, s6
	s_addc_u32 s11, s44, s7
	s_add_i32 s33, s33, -1
	s_cmp_lg_u32 s2, s33
	s_cselect_b64 s[6:7], -1, 0
	v_cmp_eq_u32_e64 s[8:9], 0, v1
	s_mov_b64 s[24:25], -1
	s_and_b64 vcc, exec, s[6:7]
	s_cbranch_vccz .LBB93_11
; %bb.8:
	s_and_saveexec_b64 s[24:25], s[8:9]
	s_cbranch_execz .LBB93_10
; %bb.9:
	v_mad_u64_u32 v[2:3], s[26:27], s28, v44, 0
	v_mov_b32_e32 v6, v3
	v_mad_u64_u32 v[6:7], s[26:27], s29, v44, v[6:7]
	v_mov_b32_e32 v3, v6
	v_lshl_add_u64 v[2:3], v[2:3], 3, s[10:11]
	global_load_dwordx2 v[2:3], v[2:3], off
	v_lshlrev_b32_e32 v1, 3, v44
	s_waitcnt vmcnt(0)
	ds_write_b64 v1, v[2:3] offset:8192
.LBB93_10:
	s_or_b64 exec, exec, s[24:25]
	s_mov_b64 s[24:25], 0
.LBB93_11:
	s_load_dword s46, s[0:1], 0x78
	v_and_b32_e32 v14, 15, v0
	s_andn2_b64 vcc, exec, s[24:25]
	v_lshrrev_b32_e32 v5, 4, v4
	s_cbranch_vccnz .LBB93_17
; %bb.12:
	s_and_saveexec_b64 s[24:25], s[8:9]
	s_cbranch_execz .LBB93_16
; %bb.13:
	s_waitcnt lgkmcnt(0)
	v_cmp_gt_i32_e32 vcc, s46, v44
	v_mov_b64_e32 v[0:1], 0
	s_and_saveexec_b64 s[26:27], vcc
	s_cbranch_execz .LBB93_15
; %bb.14:
	v_mad_u64_u32 v[0:1], s[38:39], s28, v44, 0
	v_mov_b32_e32 v2, v1
	v_mad_u64_u32 v[2:3], s[38:39], s29, v44, v[2:3]
	v_mov_b32_e32 v1, v2
	v_lshl_add_u64 v[0:1], v[0:1], 3, s[10:11]
	global_load_dwordx2 v[0:1], v[0:1], off
.LBB93_15:
	s_or_b64 exec, exec, s[26:27]
	v_lshlrev_b32_e32 v2, 3, v44
	s_waitcnt vmcnt(0)
	ds_write_b64 v2, v[0:1] offset:8192
.LBB93_16:
	s_or_b64 exec, exec, s[24:25]
	s_mov_b32 s10, 0
	v_lshlrev_b32_e32 v0, 3, v14
	s_mov_b32 s11, s10
	v_lshl_or_b32 v2, v5, 8, v0
	v_mov_b64_e32 v[0:1], s[10:11]
	ds_write2_b64 v2, v[0:1], v[0:1] offset1:16
	v_add_u32_e32 v2, 0x1000, v2
	ds_write2_b64 v2, v[0:1], v[0:1] offset1:16
.LBB93_17:
	s_waitcnt lgkmcnt(0)
	s_lshr_b32 s10, s46, 31
	s_add_i32 s10, s46, s10
	s_ashr_i32 s51, s10, 1
	s_mul_i32 s10, s19, s4
	s_mul_hi_u32 s11, s18, s4
	s_add_i32 s11, s11, s10
	s_mul_i32 s10, s18, s4
	s_lshl_b64 s[38:39], s[10:11], 3
	s_add_u32 s10, s12, s38
	s_addc_u32 s11, s13, s39
	s_lshl_b64 s[40:41], s[14:15], 3
	s_add_u32 s14, s10, s40
	s_addc_u32 s15, s11, s41
	s_mul_i32 s10, s16, s23
	s_mul_hi_u32 s11, s16, s22
	s_add_i32 s10, s11, s10
	s_mul_i32 s11, s17, s22
	s_add_i32 s11, s10, s11
	s_mul_i32 s10, s16, s22
	s_lshl_b64 s[10:11], s[10:11], 3
	s_add_u32 s48, s14, s10
	s_mul_i32 s3, s3, s36
	v_lshlrev_b32_e32 v6, 1, v5
	v_mov_b32_e32 v15, 0
	s_load_dwordx2 s[42:43], s[0:1], 0x58
	s_addc_u32 s49, s15, s11
	s_lshl_b32 s18, s3, 5
	v_mad_u64_u32 v[16:17], s[10:11], s16, v6, v[14:15]
	s_ashr_i32 s19, s18, 31
	v_mov_b32_e32 v0, v17
	s_lshl_b64 s[14:15], s[18:19], 3
	v_mad_u64_u32 v[0:1], s[10:11], s17, v6, v[0:1]
	s_add_u32 s36, s48, s14
	v_cndmask_b32_e64 v1, 0, 1, s[6:7]
	s_addc_u32 s37, s49, s15
	v_cmp_ne_u32_e64 s[10:11], 1, v1
	s_andn2_b64 vcc, exec, s[6:7]
	v_mov_b32_e32 v17, v0
	s_waitcnt lgkmcnt(0)
	s_barrier
	s_cbranch_vccnz .LBB93_19
; %bb.18:
	v_lshl_add_u64 v[8:9], v[16:17], 3, s[36:37]
	v_lshl_add_u64 v[10:11], s[16:17], 3, v[8:9]
	global_load_dwordx2 v[0:1], v[8:9], off
	global_load_dwordx2 v[2:3], v[10:11], off
	v_cmp_le_i32_e64 s[6:7], s51, v5
	s_cbranch_execz .LBB93_20
	s_branch .LBB93_27
.LBB93_19:
                                        ; implicit-def: $vgpr0_vgpr1_vgpr2_vgpr3
	v_cmp_le_i32_e64 s[6:7], s51, v5
.LBB93_20:
                                        ; implicit-def: $vgpr0_vgpr1_vgpr2_vgpr3
	s_and_saveexec_b64 s[24:25], s[6:7]
	s_xor_b64 s[6:7], exec, s[24:25]
	s_cbranch_execz .LBB93_24
; %bb.21:
	s_waitcnt vmcnt(1)
	v_mov_b32_e32 v0, 0
	v_cmp_eq_u32_e32 vcc, s51, v5
	v_mov_b32_e32 v1, v0
	s_waitcnt vmcnt(0)
	v_mov_b32_e32 v2, v0
	v_mov_b32_e32 v3, v0
	s_and_saveexec_b64 s[24:25], vcc
	s_cbranch_execz .LBB93_23
; %bb.22:
	v_lshl_add_u64 v[2:3], v[16:17], 3, s[36:37]
	global_load_dwordx2 v[8:9], v[2:3], off
	v_mov_b32_e32 v10, v0
	v_mov_b32_e32 v11, v0
	s_waitcnt vmcnt(0)
	v_mov_b64_e32 v[0:1], v[8:9]
	v_mov_b64_e32 v[2:3], v[10:11]
.LBB93_23:
	s_or_b64 exec, exec, s[24:25]
.LBB93_24:
	s_andn2_saveexec_b64 s[6:7], s[6:7]
	s_cbranch_execz .LBB93_26
; %bb.25:
	v_lshl_add_u64 v[8:9], v[16:17], 3, s[36:37]
	v_lshl_add_u64 v[10:11], s[16:17], 3, v[8:9]
	global_load_dwordx2 v[0:1], v[8:9], off
	global_load_dwordx2 v[2:3], v[10:11], off
.LBB93_26:
	s_or_b64 exec, exec, s[6:7]
.LBB93_27:
	s_load_dwordx2 s[6:7], s[0:1], 0x70
	s_load_dwordx4 s[24:27], s[0:1], 0x60
	v_lshlrev_b32_e32 v15, 8, v5
	s_waitcnt lgkmcnt(0)
	s_mul_i32 s1, s7, s4
	s_mul_hi_u32 s3, s6, s4
	s_mul_i32 s0, s6, s4
	s_add_i32 s1, s3, s1
	s_lshl_b64 s[0:1], s[0:1], 3
	s_add_u32 s3, s42, s0
	s_addc_u32 s4, s43, s1
	s_lshl_b64 s[0:1], s[24:25], 3
	s_add_u32 s3, s3, s0
	s_addc_u32 s47, s4, s1
	s_cmp_gt_i32 s50, 0
	s_cbranch_scc1 .LBB93_29
; %bb.28:
	v_lshlrev_b32_e32 v7, 8, v5
	v_mov_b64_e32 v[22:23], 0
	v_mov_b64_e32 v[20:21], 0
	s_cbranch_execz .LBB93_30
	s_branch .LBB93_70
.LBB93_29:
                                        ; implicit-def: $vgpr7
	v_mov_b64_e32 v[22:23], 0
	v_mov_b64_e32 v[20:21], 0
.LBB93_30:
	v_mad_u64_u32 v[8:9], s[0:1], s28, v14, 0
	v_mov_b32_e32 v10, v9
	v_mad_u64_u32 v[10:11], s[0:1], s29, v14, v[10:11]
	s_mul_i32 s0, s28, s19
	s_mul_hi_u32 s1, s28, s18
	s_add_i32 s0, s1, s0
	s_mul_i32 s1, s29, s18
	s_add_i32 s1, s0, s1
	s_mul_i32 s0, s28, s18
	s_lshl_b64 s[42:43], s[0:1], 3
	s_add_u32 s24, s5, s42
	v_mov_b32_e32 v9, v10
	s_addc_u32 s25, s44, s43
	v_lshl_add_u64 v[8:9], v[8:9], 3, s[24:25]
	global_load_dwordx2 v[26:27], v[8:9], off
	s_mul_i32 s0, s26, s19
	s_mul_hi_u32 s1, s26, s18
	s_add_i32 s0, s1, s0
	s_mul_i32 s1, s27, s18
	s_add_i32 s1, s0, s1
	s_mul_i32 s0, s26, s18
	s_lshl_b64 s[0:1], s[0:1], 3
	s_add_u32 s44, s3, s0
	s_addc_u32 s45, s47, s1
	v_cmp_le_i32_e64 s[6:7], s51, v5
	v_cmp_eq_u32_e64 s[4:5], s51, v5
	v_mov_b32_e32 v5, 0x2000
	v_mad_u64_u32 v[18:19], s[0:1], s26, v44, 0
	v_lshl_add_u32 v47, v6, 3, v5
	v_mov_b32_e32 v6, v19
	v_mad_u64_u32 v[6:7], s[0:1], s27, v44, v[6:7]
	v_lshlrev_b32_e32 v46, 3, v14
	v_lshlrev_b32_e32 v45, 3, v44
	v_mov_b32_e32 v19, v6
	v_mov_b64_e32 v[28:29], 0
	s_cmp_eq_u32 s50, 1
	s_cbranch_scc1 .LBB93_56
; %bb.31:
	s_lshl_b64 s[0:1], s[28:29], 8
	s_lshl_b64 s[18:19], s[26:27], 8
	s_add_i32 s50, s50, -1
	v_and_b32_e32 v4, 0xfff0, v4
	v_mov_b32_e32 v5, 0
	s_add_u32 s24, s40, s38
	v_lshl_add_u64 v[6:7], s[22:23], 3, v[4:5]
	s_addc_u32 s25, s41, s39
	v_lshl_add_u64 v[8:9], v[6:7], 0, 8
	v_mov_b64_e32 v[10:11], s[24:25]
	v_mad_u64_u32 v[20:21], s[24:25], s16, v8, v[10:11]
	v_mul_lo_u32 v4, s16, v9
	v_mul_lo_u32 v8, s17, v8
	v_add3_u32 v21, v8, v21, v4
	v_lshlrev_b32_e32 v4, 3, v14
	v_lshl_add_u64 v[8:9], v[20:21], 0, v[4:5]
	v_lshl_add_u64 v[30:31], s[12:13], 0, v[8:9]
	v_mad_u64_u32 v[8:9], s[24:25], s16, v6, v[10:11]
	v_mul_lo_u32 v7, s16, v7
	v_mul_lo_u32 v6, s17, v6
	v_add3_u32 v9, v6, v9, v7
	v_lshl_add_u64 v[6:7], v[8:9], 0, v[4:5]
	v_lshl_add_u64 v[34:35], s[12:13], 0, v[6:7]
	;; [unrolled: 1-line block ×3, first 2 shown]
	s_mov_b64 s[12:13], 0x80
	v_lshl_add_u64 v[6:7], v[4:5], 0, s[12:13]
	s_add_u32 s12, s20, s34
	s_addc_u32 s13, s21, s35
	v_mov_b64_e32 v[8:9], s[12:13]
	v_mad_u64_u32 v[36:37], s[12:13], s28, v6, v[8:9]
	s_add_u32 s12, s42, s34
	s_addc_u32 s13, s43, s35
	s_add_u32 s34, s20, s12
	s_addc_u32 s35, s21, s13
	s_mov_b64 s[12:13], 0x100
	v_lshl_add_u64 v[4:5], v[4:5], 0, s[12:13]
	v_mul_lo_u32 v7, s28, v7
	v_mul_lo_u32 v10, s29, v6
	;; [unrolled: 1-line block ×4, first 2 shown]
	v_mad_u64_u32 v[38:39], s[20:21], s28, v4, v[8:9]
	v_add3_u32 v37, v10, v37, v7
	v_add3_u32 v39, v6, v39, v5
	v_mov_b64_e32 v[20:21], 0
	v_mov_b64_e32 v[24:25], s[44:45]
	;; [unrolled: 1-line block ×5, first 2 shown]
.LBB93_32:                              ; =>This Inner Loop Header: Depth=1
	v_lshl_add_u64 v[8:9], v[36:37], 0, s[30:31]
	global_load_dwordx2 v[40:41], v[8:9], off
	s_and_b64 vcc, exec, s[10:11]
	s_mov_b64 s[20:21], -1
                                        ; implicit-def: $vgpr28_vgpr29
                                        ; implicit-def: $vgpr32_vgpr33
	s_cbranch_vccnz .LBB93_36
; %bb.33:                               ;   in Loop: Header=BB93_32 Depth=1
	v_lshl_add_u64 v[8:9], v[34:35], 0, s[14:15]
	global_load_dwordx2 v[32:33], v[8:9], off offset:128
	v_lshl_add_u64 v[8:9], v[30:31], 0, s[14:15]
	global_load_dwordx2 v[28:29], v[8:9], off offset:128
	s_cbranch_execz .LBB93_37
.LBB93_34:                              ;   in Loop: Header=BB93_32 Depth=1
	ds_read_b128 v[8:11], v47
	s_and_b64 vcc, exec, s[10:11]
	s_mov_b64 s[20:21], -1
                                        ; implicit-def: $vgpr4_vgpr5_vgpr6_vgpr7
	s_cbranch_vccnz .LBB93_44
.LBB93_35:                              ;   in Loop: Header=BB93_32 Depth=1
	v_lshl_add_u64 v[4:5], v[34:35], 0, s[14:15]
	v_lshl_add_u64 v[6:7], v[30:31], 0, s[14:15]
	global_load_dwordx2 v[4:5], v[4:5], off offset:256
	s_nop 0
	global_load_dwordx2 v[6:7], v[6:7], off offset:256
	s_cbranch_execnz .LBB93_52
	s_branch .LBB93_45
.LBB93_36:                              ;   in Loop: Header=BB93_32 Depth=1
	s_andn2_b64 vcc, exec, s[20:21]
	s_cbranch_vccnz .LBB93_34
.LBB93_37:                              ;   in Loop: Header=BB93_32 Depth=1
	s_and_saveexec_b64 s[20:21], s[6:7]
	s_xor_b64 s[20:21], exec, s[20:21]
	s_cbranch_execz .LBB93_41
; %bb.38:                               ;   in Loop: Header=BB93_32 Depth=1
	s_and_saveexec_b64 s[24:25], s[4:5]
	s_cbranch_execz .LBB93_40
; %bb.39:                               ;   in Loop: Header=BB93_32 Depth=1
	v_lshl_add_u64 v[4:5], v[34:35], 0, s[14:15]
	global_load_dwordx2 v[4:5], v[4:5], off offset:128
.LBB93_40:                              ;   in Loop: Header=BB93_32 Depth=1
	s_or_b64 exec, exec, s[24:25]
.LBB93_41:                              ;   in Loop: Header=BB93_32 Depth=1
	s_andn2_saveexec_b64 s[20:21], s[20:21]
	s_cbranch_execz .LBB93_43
; %bb.42:                               ;   in Loop: Header=BB93_32 Depth=1
	s_waitcnt vmcnt(0)
	v_lshl_add_u64 v[4:5], v[34:35], 0, s[14:15]
	v_lshl_add_u64 v[6:7], v[30:31], 0, s[14:15]
	global_load_dwordx2 v[4:5], v[4:5], off offset:128
	s_nop 0
	global_load_dwordx2 v[6:7], v[6:7], off offset:128
.LBB93_43:                              ;   in Loop: Header=BB93_32 Depth=1
	s_or_b64 exec, exec, s[20:21]
	s_waitcnt vmcnt(0)
	v_mov_b64_e32 v[32:33], v[4:5]
	v_mov_b64_e32 v[28:29], v[6:7]
	ds_read_b128 v[8:11], v47
	s_and_b64 vcc, exec, s[10:11]
	s_mov_b64 s[20:21], -1
                                        ; implicit-def: $vgpr4_vgpr5_vgpr6_vgpr7
	s_cbranch_vccz .LBB93_35
.LBB93_44:                              ;   in Loop: Header=BB93_32 Depth=1
	s_andn2_b64 vcc, exec, s[20:21]
	s_cbranch_vccnz .LBB93_52
.LBB93_45:                              ;   in Loop: Header=BB93_32 Depth=1
                                        ; implicit-def: $vgpr4_vgpr5_vgpr6_vgpr7
	s_and_saveexec_b64 s[20:21], s[6:7]
	s_xor_b64 s[20:21], exec, s[20:21]
	s_cbranch_execz .LBB93_49
; %bb.46:                               ;   in Loop: Header=BB93_32 Depth=1
	s_waitcnt vmcnt(0)
	v_mov_b64_e32 v[6:7], v[2:3]
	v_mov_b64_e32 v[4:5], v[0:1]
	s_and_saveexec_b64 s[24:25], s[4:5]
	s_cbranch_execz .LBB93_48
; %bb.47:                               ;   in Loop: Header=BB93_32 Depth=1
	v_lshl_add_u64 v[4:5], v[34:35], 0, s[14:15]
	global_load_dwordx2 v[42:43], v[4:5], off offset:256
	v_mov_b64_e32 v[6:7], v[2:3]
	v_mov_b64_e32 v[4:5], v[0:1]
	s_waitcnt vmcnt(0)
	v_mov_b32_e32 v4, v42
	v_mov_b32_e32 v5, v43
.LBB93_48:                              ;   in Loop: Header=BB93_32 Depth=1
	s_or_b64 exec, exec, s[24:25]
.LBB93_49:                              ;   in Loop: Header=BB93_32 Depth=1
	s_andn2_saveexec_b64 s[20:21], s[20:21]
	s_cbranch_execz .LBB93_51
; %bb.50:                               ;   in Loop: Header=BB93_32 Depth=1
	s_waitcnt vmcnt(1)
	v_lshl_add_u64 v[4:5], v[34:35], 0, s[14:15]
	s_waitcnt vmcnt(0)
	v_lshl_add_u64 v[6:7], v[30:31], 0, s[14:15]
	global_load_dwordx2 v[4:5], v[4:5], off offset:256
	s_nop 0
	global_load_dwordx2 v[6:7], v[6:7], off offset:256
.LBB93_51:                              ;   in Loop: Header=BB93_32 Depth=1
	s_or_b64 exec, exec, s[20:21]
.LBB93_52:                              ;   in Loop: Header=BB93_32 Depth=1
	v_lshl_add_u64 v[42:43], v[38:39], 0, s[30:31]
	global_load_dwordx2 v[42:43], v[42:43], off
	s_waitcnt vmcnt(4) lgkmcnt(0)
	v_fma_f64 v[48:49], v[0:1], v[8:9], 0
	s_waitcnt vmcnt(2)
	v_fma_f64 v[8:9], v[32:33], v[8:9], 0
	v_fmac_f64_e32 v[48:49], v[2:3], v[10:11]
	s_waitcnt vmcnt(1)
	v_fmac_f64_e32 v[8:9], v[28:29], v[10:11]
	v_add_u32_e32 v10, v46, v15
	s_barrier
	ds_write2_b64 v10, v[48:49], v[8:9] offset1:16
	s_waitcnt lgkmcnt(0)
	s_barrier
	s_and_saveexec_b64 s[20:21], s[8:9]
	s_cbranch_execz .LBB93_54
; %bb.53:                               ;   in Loop: Header=BB93_32 Depth=1
	ds_read2_b64 v[8:11], v45 offset1:32
	ds_read2_b64 v[48:51], v45 offset0:64 offset1:96
	ds_read2_b64 v[52:55], v45 offset0:128 offset1:160
	;; [unrolled: 1-line block ×3, first 2 shown]
	v_add_u32_e32 v60, 0x800, v45
	s_waitcnt lgkmcnt(3)
	v_add_f64 v[8:9], v[8:9], 0
	v_add_f64 v[8:9], v[8:9], v[10:11]
	s_waitcnt lgkmcnt(2)
	v_add_f64 v[8:9], v[8:9], v[48:49]
	v_add_f64 v[8:9], v[8:9], v[50:51]
	s_waitcnt lgkmcnt(1)
	v_add_f64 v[48:49], v[8:9], v[52:53]
	ds_read2_b64 v[8:11], v60 offset1:32
	v_add_f64 v[48:49], v[48:49], v[54:55]
	s_waitcnt lgkmcnt(1)
	v_add_f64 v[48:49], v[48:49], v[56:57]
	v_add_f64 v[52:53], v[48:49], v[58:59]
	ds_read2_b64 v[48:51], v60 offset0:64 offset1:96
	s_waitcnt lgkmcnt(1)
	v_add_f64 v[8:9], v[52:53], v[8:9]
	ds_read2_b64 v[52:55], v60 offset0:128 offset1:160
	v_add_f64 v[56:57], v[8:9], v[10:11]
	ds_read2_b64 v[8:11], v60 offset0:192 offset1:224
	s_waitcnt lgkmcnt(2)
	v_add_f64 v[48:49], v[56:57], v[48:49]
	v_add_f64 v[48:49], v[48:49], v[50:51]
	s_waitcnt lgkmcnt(1)
	v_add_f64 v[48:49], v[48:49], v[52:53]
	v_add_f64 v[48:49], v[48:49], v[54:55]
	;; [unrolled: 3-line block ×3, first 2 shown]
	v_lshl_add_u64 v[10:11], v[18:19], 3, v[24:25]
	v_mul_f64 v[8:9], v[12:13], v[8:9]
	global_atomic_add_f64 v[10:11], v[8:9], off
	v_lshl_add_u64 v[24:25], v[24:25], 0, s[18:19]
.LBB93_54:                              ;   in Loop: Header=BB93_32 Depth=1
	s_or_b64 exec, exec, s[20:21]
	s_add_i32 s50, s50, -1
	s_add_u32 s48, s48, 0x100
	s_addc_u32 s49, s49, 0
	s_add_u32 s34, s34, s0
	s_addc_u32 s35, s35, s1
	;; [unrolled: 2-line block ×3, first 2 shown]
	s_add_u32 s36, s48, s14
	v_fmac_f64_e32 v[20:21], v[26:27], v[0:1]
	v_fmac_f64_e32 v[22:23], v[26:27], v[2:3]
	s_addc_u32 s37, s49, s15
	v_fmac_f64_e32 v[20:21], v[40:41], v[32:33]
	v_fmac_f64_e32 v[22:23], v[40:41], v[28:29]
	v_lshl_add_u64 v[30:31], v[30:31], 0, s[12:13]
	v_lshl_add_u64 v[34:35], v[34:35], 0, s[12:13]
	;; [unrolled: 1-line block ×3, first 2 shown]
	s_cmp_eq_u32 s50, 0
	v_lshl_add_u64 v[38:39], v[38:39], 0, s[0:1]
	s_cbranch_scc1 .LBB93_57
; %bb.55:                               ;   in Loop: Header=BB93_32 Depth=1
	v_mov_b64_e32 v[0:1], v[4:5]
	s_waitcnt vmcnt(0)
	v_mov_b64_e32 v[26:27], v[42:43]
	v_mov_b64_e32 v[2:3], v[6:7]
	;; [unrolled: 1-line block ×4, first 2 shown]
	s_branch .LBB93_32
.LBB93_56:
	s_waitcnt vmcnt(1)
	v_mov_b64_e32 v[6:7], v[2:3]
	v_mov_b64_e32 v[24:25], s[44:45]
	;; [unrolled: 1-line block ×6, first 2 shown]
	s_waitcnt vmcnt(0)
	v_mov_b64_e32 v[42:43], v[26:27]
.LBB93_57:
	v_or_b32_e32 v3, 16, v14
	v_mad_u64_u32 v[0:1], s[0:1], s28, v3, 0
	v_mov_b32_e32 v2, v1
	v_mad_u64_u32 v[2:3], s[0:1], s29, v3, v[2:3]
	v_mov_b32_e32 v1, v2
	v_lshl_add_u64 v[0:1], v[0:1], 3, s[24:25]
	global_load_dwordx2 v[0:1], v[0:1], off
	s_and_b64 vcc, exec, s[10:11]
	s_cbranch_vccnz .LBB93_59
; %bb.58:
	v_lshl_add_u64 v[10:11], v[16:17], 3, s[36:37]
	v_lshl_add_u64 v[26:27], s[16:17], 3, v[10:11]
	global_load_dwordx2 v[8:9], v[10:11], off offset:128
	global_load_dwordx2 v[2:3], v[26:27], off offset:128
	s_cbranch_execz .LBB93_60
	s_branch .LBB93_67
.LBB93_59:
                                        ; implicit-def: $vgpr2_vgpr3
                                        ; implicit-def: $vgpr8_vgpr9
.LBB93_60:
	s_and_saveexec_b64 s[0:1], s[6:7]
	s_xor_b64 s[0:1], exec, s[0:1]
	s_cbranch_execz .LBB93_64
; %bb.61:
	s_and_saveexec_b64 s[6:7], s[4:5]
	s_cbranch_execz .LBB93_63
; %bb.62:
	s_waitcnt vmcnt(0)
	v_lshl_add_u64 v[2:3], v[16:17], 3, s[36:37]
	global_load_dwordx2 v[32:33], v[2:3], off offset:128
.LBB93_63:
	s_or_b64 exec, exec, s[6:7]
                                        ; implicit-def: $vgpr16_vgpr17
.LBB93_64:
	s_andn2_saveexec_b64 s[0:1], s[0:1]
	s_cbranch_execz .LBB93_66
; %bb.65:
	s_waitcnt vmcnt(0)
	v_lshl_add_u64 v[2:3], v[16:17], 3, s[36:37]
	v_lshl_add_u64 v[8:9], s[16:17], 3, v[2:3]
	global_load_dwordx2 v[32:33], v[2:3], off offset:128
	global_load_dwordx2 v[28:29], v[8:9], off offset:128
.LBB93_66:
	s_or_b64 exec, exec, s[0:1]
	s_waitcnt vmcnt(0)
	v_mov_b64_e32 v[8:9], v[32:33]
	v_mov_b64_e32 v[2:3], v[28:29]
.LBB93_67:
	ds_read_b128 v[26:29], v47
	s_waitcnt vmcnt(1)
	v_fmac_f64_e32 v[20:21], v[42:43], v[4:5]
	v_fmac_f64_e32 v[22:23], v[42:43], v[6:7]
	s_waitcnt lgkmcnt(0)
	s_barrier
	v_fma_f64 v[4:5], v[4:5], v[26:27], 0
	v_fma_f64 v[10:11], v[8:9], v[26:27], 0
	v_fmac_f64_e32 v[4:5], v[6:7], v[28:29]
	s_waitcnt vmcnt(0)
	v_fmac_f64_e32 v[10:11], v[2:3], v[28:29]
	v_add_u32_e32 v6, v46, v15
	ds_write2_b64 v6, v[4:5], v[10:11] offset1:16
	s_waitcnt lgkmcnt(0)
	s_barrier
	s_and_saveexec_b64 s[0:1], s[8:9]
	s_cbranch_execz .LBB93_69
; %bb.68:
	ds_read2_b64 v[4:7], v45 offset1:32
	ds_read2_b64 v[26:29], v45 offset0:64 offset1:96
	ds_read2_b64 v[30:33], v45 offset0:128 offset1:160
	;; [unrolled: 1-line block ×3, first 2 shown]
	v_add_u32_e32 v16, 0x800, v45
	s_waitcnt lgkmcnt(3)
	v_add_f64 v[4:5], v[4:5], 0
	v_add_f64 v[4:5], v[4:5], v[6:7]
	s_waitcnt lgkmcnt(2)
	v_add_f64 v[4:5], v[4:5], v[26:27]
	v_add_f64 v[4:5], v[4:5], v[28:29]
	s_waitcnt lgkmcnt(1)
	v_add_f64 v[10:11], v[4:5], v[30:31]
	ds_read2_b64 v[4:7], v16 offset1:32
	v_add_f64 v[10:11], v[10:11], v[32:33]
	ds_read2_b64 v[26:29], v16 offset0:64 offset1:96
	s_waitcnt lgkmcnt(2)
	v_add_f64 v[10:11], v[10:11], v[34:35]
	v_add_f64 v[10:11], v[10:11], v[36:37]
	ds_read2_b64 v[30:33], v16 offset0:128 offset1:160
	s_waitcnt lgkmcnt(2)
	v_add_f64 v[4:5], v[10:11], v[4:5]
	;; [unrolled: 4-line block ×3, first 2 shown]
	v_add_f64 v[10:11], v[10:11], v[28:29]
	s_waitcnt lgkmcnt(1)
	v_add_f64 v[10:11], v[10:11], v[30:31]
	v_add_f64 v[10:11], v[10:11], v[32:33]
	s_waitcnt lgkmcnt(0)
	v_add_f64 v[4:5], v[10:11], v[4:5]
	v_add_f64 v[4:5], v[4:5], v[6:7]
	v_lshl_add_u64 v[6:7], v[18:19], 3, v[24:25]
	v_mul_f64 v[4:5], v[12:13], v[4:5]
	global_atomic_add_f64 v[6:7], v[4:5], off
.LBB93_69:
	s_or_b64 exec, exec, s[0:1]
	v_fmac_f64_e32 v[20:21], v[0:1], v[8:9]
	v_fmac_f64_e32 v[22:23], v[0:1], v[2:3]
	v_mov_b32_e32 v7, v15
.LBB93_70:
	s_waitcnt vmcnt(1)
	v_lshl_add_u32 v0, v14, 3, v7
	v_add_u32_e32 v0, 0x1000, v0
	ds_write2_b64 v0, v[20:21], v[22:23] offset1:16
	s_waitcnt lgkmcnt(0)
	s_barrier
	s_and_b64 exec, exec, s[8:9]
	s_cbranch_execz .LBB93_73
; %bb.71:
	s_cmp_lt_u32 s2, s33
	v_cmp_gt_i32_e32 vcc, s46, v44
	s_cselect_b64 s[0:1], -1, 0
	s_or_b64 s[0:1], vcc, s[0:1]
	s_and_b64 exec, exec, s[0:1]
	s_cbranch_execz .LBB93_73
; %bb.72:
	v_mov_b32_e32 v0, 0x1000
	v_add_u32_e32 v1, 1, v44
	v_lshl_add_u32 v15, v44, 7, v0
	v_and_b32_e32 v1, 15, v1
	s_waitcnt vmcnt(0)
	v_lshl_or_b32 v2, v1, 3, v15
	v_add_u32_e32 v1, 2, v44
	v_and_b32_e32 v1, 15, v1
	v_lshl_or_b32 v0, v14, 3, v15
	v_lshl_or_b32 v4, v1, 3, v15
	ds_read_b64 v[0:1], v0
	ds_read_b64 v[2:3], v2
	;; [unrolled: 1-line block ×3, first 2 shown]
	v_add_u32_e32 v6, 3, v44
	v_and_b32_e32 v6, 15, v6
	s_waitcnt lgkmcnt(2)
	v_add_f64 v[0:1], v[0:1], 0
	s_waitcnt lgkmcnt(1)
	v_add_f64 v[0:1], v[0:1], v[2:3]
	v_add_u32_e32 v3, 5, v44
	v_and_b32_e32 v3, 15, v3
	v_lshl_or_b32 v6, v6, 3, v15
	s_waitcnt lgkmcnt(0)
	v_add_f64 v[0:1], v[0:1], v[4:5]
	v_lshl_or_b32 v4, v3, 3, v15
	v_add_u32_e32 v3, 6, v44
	ds_read_b64 v[6:7], v6
	v_and_b32_e32 v3, 15, v3
	v_add_u32_e32 v2, 4, v44
	v_lshl_or_b32 v8, v3, 3, v15
	v_add_u32_e32 v3, 7, v44
	v_and_b32_e32 v2, 15, v2
	v_and_b32_e32 v3, 15, v3
	v_lshl_or_b32 v2, v2, 3, v15
	v_lshl_or_b32 v10, v3, 3, v15
	ds_read_b64 v[2:3], v2
	ds_read_b64 v[4:5], v4
	;; [unrolled: 1-line block ×4, first 2 shown]
	s_waitcnt lgkmcnt(4)
	v_add_f64 v[0:1], v[0:1], v[6:7]
	s_waitcnt lgkmcnt(3)
	v_add_f64 v[0:1], v[0:1], v[2:3]
	v_add_u32_e32 v3, 9, v44
	v_and_b32_e32 v3, 15, v3
	s_waitcnt lgkmcnt(2)
	v_add_f64 v[0:1], v[0:1], v[4:5]
	v_lshl_or_b32 v4, v3, 3, v15
	v_add_u32_e32 v3, 10, v44
	v_xor_b32_e32 v2, 8, v14
	v_and_b32_e32 v3, 15, v3
	v_lshl_or_b32 v2, v2, 3, v15
	v_lshl_or_b32 v6, v3, 3, v15
	ds_read_b64 v[2:3], v2
	ds_read_b64 v[4:5], v4
	;; [unrolled: 1-line block ×3, first 2 shown]
	s_waitcnt lgkmcnt(4)
	v_add_f64 v[0:1], v[0:1], v[8:9]
	s_waitcnt lgkmcnt(3)
	v_add_f64 v[0:1], v[0:1], v[10:11]
	v_add_u32_e32 v8, 11, v44
	s_waitcnt lgkmcnt(2)
	v_add_f64 v[0:1], v[0:1], v[2:3]
	v_add_u32_e32 v3, 13, v44
	v_and_b32_e32 v8, 15, v8
	v_and_b32_e32 v3, 15, v3
	v_lshl_or_b32 v8, v8, 3, v15
	s_waitcnt lgkmcnt(1)
	v_add_f64 v[0:1], v[0:1], v[4:5]
	v_lshl_or_b32 v4, v3, 3, v15
	v_add_u32_e32 v3, 14, v44
	ds_read_b64 v[8:9], v8
	v_and_b32_e32 v3, 15, v3
	s_waitcnt lgkmcnt(1)
	v_add_f64 v[0:1], v[0:1], v[6:7]
	v_add_u32_e32 v2, 12, v44
	v_lshl_or_b32 v6, v3, 3, v15
	v_add_u32_e32 v3, -1, v44
	s_mul_i32 s0, s26, s23
	s_mul_hi_u32 s1, s26, s22
	v_and_b32_e32 v2, 15, v2
	v_and_b32_e32 v3, 15, v3
	s_add_i32 s0, s1, s0
	s_mul_i32 s1, s27, s22
	v_lshl_or_b32 v2, v2, 3, v15
	v_lshl_or_b32 v10, v3, 3, v15
	s_add_i32 s1, s0, s1
	s_mul_i32 s0, s26, s22
	ds_read_b64 v[2:3], v2
	ds_read_b64 v[4:5], v4
	;; [unrolled: 1-line block ×4, first 2 shown]
	s_lshl_b64 s[0:1], s[0:1], 3
	s_waitcnt lgkmcnt(4)
	v_add_f64 v[0:1], v[0:1], v[8:9]
	s_add_u32 s0, s3, s0
	s_waitcnt lgkmcnt(3)
	v_add_f64 v[0:1], v[0:1], v[2:3]
	v_mad_u64_u32 v[2:3], s[2:3], s26, v44, 0
	s_waitcnt lgkmcnt(2)
	v_add_f64 v[0:1], v[0:1], v[4:5]
	v_mov_b32_e32 v4, v3
	s_waitcnt lgkmcnt(1)
	v_add_f64 v[0:1], v[0:1], v[6:7]
	v_mad_u64_u32 v[4:5], s[2:3], s27, v44, v[4:5]
	s_addc_u32 s1, s47, s1
	s_waitcnt lgkmcnt(0)
	v_add_f64 v[0:1], v[0:1], v[10:11]
	v_mov_b32_e32 v3, v4
	v_lshl_add_u64 v[2:3], v[2:3], 3, s[0:1]
	v_mul_f64 v[0:1], v[12:13], v[0:1]
	global_atomic_add_f64 v[2:3], v[0:1], off
.LBB93_73:
	s_endpgm
	.section	.rodata,"a",@progbits
	.p2align	6, 0x0
	.amdhsa_kernel _ZL62rocblas_symv_kernel_upper_double_buffered_non_diagonal_genericILi32ELi8ELi2ELi1E24rocblas_internal_val_ptrIdEPKdPdEvbiT3_lT4_lllS6_lllT5_lllii
		.amdhsa_group_segment_fixed_size 8448
		.amdhsa_private_segment_fixed_size 0
		.amdhsa_kernarg_size 384
		.amdhsa_user_sgpr_count 2
		.amdhsa_user_sgpr_dispatch_ptr 0
		.amdhsa_user_sgpr_queue_ptr 0
		.amdhsa_user_sgpr_kernarg_segment_ptr 1
		.amdhsa_user_sgpr_dispatch_id 0
		.amdhsa_user_sgpr_kernarg_preload_length 0
		.amdhsa_user_sgpr_kernarg_preload_offset 0
		.amdhsa_user_sgpr_private_segment_size 0
		.amdhsa_uses_dynamic_stack 0
		.amdhsa_enable_private_segment 0
		.amdhsa_system_sgpr_workgroup_id_x 1
		.amdhsa_system_sgpr_workgroup_id_y 1
		.amdhsa_system_sgpr_workgroup_id_z 1
		.amdhsa_system_sgpr_workgroup_info 0
		.amdhsa_system_vgpr_workitem_id 1
		.amdhsa_next_free_vgpr 61
		.amdhsa_next_free_sgpr 52
		.amdhsa_accum_offset 64
		.amdhsa_reserve_vcc 1
		.amdhsa_float_round_mode_32 0
		.amdhsa_float_round_mode_16_64 0
		.amdhsa_float_denorm_mode_32 3
		.amdhsa_float_denorm_mode_16_64 3
		.amdhsa_dx10_clamp 1
		.amdhsa_ieee_mode 1
		.amdhsa_fp16_overflow 0
		.amdhsa_tg_split 0
		.amdhsa_exception_fp_ieee_invalid_op 0
		.amdhsa_exception_fp_denorm_src 0
		.amdhsa_exception_fp_ieee_div_zero 0
		.amdhsa_exception_fp_ieee_overflow 0
		.amdhsa_exception_fp_ieee_underflow 0
		.amdhsa_exception_fp_ieee_inexact 0
		.amdhsa_exception_int_div_zero 0
	.end_amdhsa_kernel
	.section	.text._ZL62rocblas_symv_kernel_upper_double_buffered_non_diagonal_genericILi32ELi8ELi2ELi1E24rocblas_internal_val_ptrIdEPKdPdEvbiT3_lT4_lllS6_lllT5_lllii,"axG",@progbits,_ZL62rocblas_symv_kernel_upper_double_buffered_non_diagonal_genericILi32ELi8ELi2ELi1E24rocblas_internal_val_ptrIdEPKdPdEvbiT3_lT4_lllS6_lllT5_lllii,comdat
.Lfunc_end93:
	.size	_ZL62rocblas_symv_kernel_upper_double_buffered_non_diagonal_genericILi32ELi8ELi2ELi1E24rocblas_internal_val_ptrIdEPKdPdEvbiT3_lT4_lllS6_lllT5_lllii, .Lfunc_end93-_ZL62rocblas_symv_kernel_upper_double_buffered_non_diagonal_genericILi32ELi8ELi2ELi1E24rocblas_internal_val_ptrIdEPKdPdEvbiT3_lT4_lllS6_lllT5_lllii
                                        ; -- End function
	.set _ZL62rocblas_symv_kernel_upper_double_buffered_non_diagonal_genericILi32ELi8ELi2ELi1E24rocblas_internal_val_ptrIdEPKdPdEvbiT3_lT4_lllS6_lllT5_lllii.num_vgpr, 61
	.set _ZL62rocblas_symv_kernel_upper_double_buffered_non_diagonal_genericILi32ELi8ELi2ELi1E24rocblas_internal_val_ptrIdEPKdPdEvbiT3_lT4_lllS6_lllT5_lllii.num_agpr, 0
	.set _ZL62rocblas_symv_kernel_upper_double_buffered_non_diagonal_genericILi32ELi8ELi2ELi1E24rocblas_internal_val_ptrIdEPKdPdEvbiT3_lT4_lllS6_lllT5_lllii.numbered_sgpr, 52
	.set _ZL62rocblas_symv_kernel_upper_double_buffered_non_diagonal_genericILi32ELi8ELi2ELi1E24rocblas_internal_val_ptrIdEPKdPdEvbiT3_lT4_lllS6_lllT5_lllii.num_named_barrier, 0
	.set _ZL62rocblas_symv_kernel_upper_double_buffered_non_diagonal_genericILi32ELi8ELi2ELi1E24rocblas_internal_val_ptrIdEPKdPdEvbiT3_lT4_lllS6_lllT5_lllii.private_seg_size, 0
	.set _ZL62rocblas_symv_kernel_upper_double_buffered_non_diagonal_genericILi32ELi8ELi2ELi1E24rocblas_internal_val_ptrIdEPKdPdEvbiT3_lT4_lllS6_lllT5_lllii.uses_vcc, 1
	.set _ZL62rocblas_symv_kernel_upper_double_buffered_non_diagonal_genericILi32ELi8ELi2ELi1E24rocblas_internal_val_ptrIdEPKdPdEvbiT3_lT4_lllS6_lllT5_lllii.uses_flat_scratch, 0
	.set _ZL62rocblas_symv_kernel_upper_double_buffered_non_diagonal_genericILi32ELi8ELi2ELi1E24rocblas_internal_val_ptrIdEPKdPdEvbiT3_lT4_lllS6_lllT5_lllii.has_dyn_sized_stack, 0
	.set _ZL62rocblas_symv_kernel_upper_double_buffered_non_diagonal_genericILi32ELi8ELi2ELi1E24rocblas_internal_val_ptrIdEPKdPdEvbiT3_lT4_lllS6_lllT5_lllii.has_recursion, 0
	.set _ZL62rocblas_symv_kernel_upper_double_buffered_non_diagonal_genericILi32ELi8ELi2ELi1E24rocblas_internal_val_ptrIdEPKdPdEvbiT3_lT4_lllS6_lllT5_lllii.has_indirect_call, 0
	.section	.AMDGPU.csdata,"",@progbits
; Kernel info:
; codeLenInByte = 3820
; TotalNumSgprs: 58
; NumVgprs: 61
; NumAgprs: 0
; TotalNumVgprs: 61
; ScratchSize: 0
; MemoryBound: 1
; FloatMode: 240
; IeeeMode: 1
; LDSByteSize: 8448 bytes/workgroup (compile time only)
; SGPRBlocks: 7
; VGPRBlocks: 7
; NumSGPRsForWavesPerEU: 58
; NumVGPRsForWavesPerEU: 61
; AccumOffset: 64
; Occupancy: 8
; WaveLimiterHint : 0
; COMPUTE_PGM_RSRC2:SCRATCH_EN: 0
; COMPUTE_PGM_RSRC2:USER_SGPR: 2
; COMPUTE_PGM_RSRC2:TRAP_HANDLER: 0
; COMPUTE_PGM_RSRC2:TGID_X_EN: 1
; COMPUTE_PGM_RSRC2:TGID_Y_EN: 1
; COMPUTE_PGM_RSRC2:TGID_Z_EN: 1
; COMPUTE_PGM_RSRC2:TIDIG_COMP_CNT: 1
; COMPUTE_PGM_RSRC3_GFX90A:ACCUM_OFFSET: 15
; COMPUTE_PGM_RSRC3_GFX90A:TG_SPLIT: 0
	.section	.text._ZL26rocblas_hemvn_kernel_upperILb0ELi64ELi4ELi33ELi32ELi16ElPKdS1_PdEviT6_lT7_lT5_lS4_lS5_lS3_lT8_i,"axG",@progbits,_ZL26rocblas_hemvn_kernel_upperILb0ELi64ELi4ELi33ELi32ELi16ElPKdS1_PdEviT6_lT7_lT5_lS4_lS5_lS3_lT8_i,comdat
	.globl	_ZL26rocblas_hemvn_kernel_upperILb0ELi64ELi4ELi33ELi32ELi16ElPKdS1_PdEviT6_lT7_lT5_lS4_lS5_lS3_lT8_i ; -- Begin function _ZL26rocblas_hemvn_kernel_upperILb0ELi64ELi4ELi33ELi32ELi16ElPKdS1_PdEviT6_lT7_lT5_lS4_lS5_lS3_lT8_i
	.p2align	8
	.type	_ZL26rocblas_hemvn_kernel_upperILb0ELi64ELi4ELi33ELi32ELi16ElPKdS1_PdEviT6_lT7_lT5_lS4_lS5_lS3_lT8_i,@function
_ZL26rocblas_hemvn_kernel_upperILb0ELi64ELi4ELi33ELi32ELi16ElPKdS1_PdEviT6_lT7_lT5_lS4_lS5_lS3_lT8_i: ; @_ZL26rocblas_hemvn_kernel_upperILb0ELi64ELi4ELi33ELi32ELi16ElPKdS1_PdEviT6_lT7_lT5_lS4_lS5_lS3_lT8_i
; %bb.0:
	s_load_dwordx2 s[6:7], s[0:1], 0x84
	s_add_u32 s4, s0, 0x78
	s_addc_u32 s5, s1, 0
	s_waitcnt lgkmcnt(0)
	s_lshr_b32 s8, s6, 16
	s_and_b32 s6, s6, 0xffff
	s_and_b32 s7, s7, 0xffff
	s_mul_i32 s6, s8, s6
	s_mul_i32 s6, s6, s7
	s_cmpk_lg_i32 s6, 0x100
	s_cbranch_scc1 .LBB94_128
; %bb.1:
	s_load_dwordx16 s[8:23], s[0:1], 0x8
	s_load_dwordx8 s[24:31], s[0:1], 0x48
	s_waitcnt lgkmcnt(0)
	s_mul_i32 s7, s11, s3
	s_mul_hi_u32 s11, s10, s3
	s_mul_i32 s6, s10, s3
	s_add_i32 s7, s11, s7
	s_lshl_b64 s[6:7], s[6:7], 3
	s_mul_i32 s10, s31, s3
	s_add_u32 s6, s8, s6
	s_mul_hi_u32 s8, s30, s3
	s_addc_u32 s7, s9, s7
	s_add_i32 s9, s8, s10
	s_mul_i32 s8, s30, s3
	s_lshl_b64 s[8:9], s[8:9], 3
	s_add_u32 s8, s28, s8
	s_addc_u32 s9, s29, s9
	s_load_dwordx2 s[6:7], s[6:7], 0x0
	s_waitcnt lgkmcnt(0)
	v_cmp_eq_f64_e64 s[6:7], s[6:7], 0
	s_load_dwordx2 s[8:9], s[8:9], 0x0
	s_waitcnt lgkmcnt(0)
	v_cmp_eq_f64_e64 s[8:9], s[8:9], 1.0
	s_and_b64 s[8:9], s[6:7], s[8:9]
	s_and_b64 vcc, exec, s[8:9]
	s_cbranch_vccnz .LBB94_128
; %bb.2:
	s_and_b64 vcc, exec, s[6:7]
	s_cbranch_vccnz .LBB94_128
; %bb.3:
	s_load_dword s33, s[4:5], 0x0
	s_load_dwordx2 s[28:29], s[0:1], 0x68
	s_load_dword s35, s[0:1], 0x0
	s_mul_i32 s0, s27, s3
	s_mul_hi_u32 s1, s26, s3
	s_add_i32 s1, s1, s0
	s_mul_i32 s0, s26, s3
	s_lshl_b64 s[0:1], s[0:1], 3
	s_add_u32 s4, s20, s0
	s_addc_u32 s5, s21, s1
	s_lshl_b64 s[0:1], s[22:23], 3
	s_add_u32 s0, s4, s0
	s_addc_u32 s1, s5, s1
	s_waitcnt lgkmcnt(0)
	s_ashr_i32 s36, s35, 31
	s_lshr_b32 s5, s36, 26
	v_and_b32_e32 v122, 0x3ff, v0
	s_lshl_b32 s22, s2, 6
	s_add_i32 s5, s35, s5
	s_andn2_b32 s5, s5, 63
	v_add_u32_e32 v48, s22, v122
	s_add_i32 s4, s33, -1
	s_sub_i32 s34, s35, s5
	v_ashrrev_i32_e32 v49, 31, v48
	v_bfe_u32 v123, v0, 10, 10
	s_cmp_eq_u32 s2, s4
	v_mul_lo_u32 v2, s24, v49
	v_mul_lo_u32 v3, s25, v48
	v_mad_u64_u32 v[0:1], s[4:5], s24, v48, 0
	v_add3_u32 v1, v1, v2, v3
	s_cselect_b32 s20, s34, 0
	v_lshl_add_u64 v[12:13], v[0:1], 3, s[0:1]
	v_cmp_eq_u32_e64 s[0:1], 0, v123
	s_and_saveexec_b64 s[4:5], s[0:1]
	s_cbranch_execz .LBB94_7
; %bb.4:
	s_cmp_eq_u32 s20, 0
	s_cselect_b64 s[6:7], -1, 0
	v_cmp_gt_i32_e32 vcc, s20, v122
	s_or_b64 s[8:9], s[6:7], vcc
	v_mov_b64_e32 v[0:1], 0
	s_and_saveexec_b64 s[6:7], s[8:9]
	s_cbranch_execz .LBB94_6
; %bb.5:
	global_load_dwordx2 v[0:1], v[12:13], off
.LBB94_6:
	s_or_b64 exec, exec, s[6:7]
	v_lshlrev_b32_e32 v2, 3, v122
	s_waitcnt vmcnt(0)
	ds_write_b64 v2, v[0:1] offset:9088
.LBB94_7:
	s_or_b64 exec, exec, s[4:5]
	s_mul_i32 s4, s19, s3
	s_mul_hi_u32 s5, s18, s3
	s_add_i32 s5, s5, s4
	s_mul_i32 s4, s18, s3
	s_lshl_b64 s[4:5], s[4:5], 3
	s_add_u32 s6, s12, s4
	s_addc_u32 s7, s13, s5
	s_lshl_b64 s[4:5], s[14:15], 3
	s_add_u32 s6, s6, s4
	s_addc_u32 s7, s7, s5
	s_ashr_i32 s23, s22, 31
	v_lshl_add_u32 v22, v123, 6, v122
	s_lshl_b64 s[4:5], s[22:23], 3
	v_and_b32_e32 v2, 31, v122
	v_lshrrev_b32_e32 v10, 5, v22
	s_add_u32 s4, s6, s4
	v_mov_b32_e32 v3, 0
	s_addc_u32 s5, s7, s5
	v_mad_u64_u32 v[14:15], s[6:7], s16, v10, v[2:3]
	v_mov_b32_e32 v0, v15
	v_mad_u64_u32 v[0:1], s[6:7], s17, v10, v[0:1]
	v_mov_b32_e32 v15, v0
	v_lshl_add_u64 v[0:1], v[14:15], 3, s[4:5]
	s_mul_hi_u32 s4, s16, s22
	s_mul_i32 s5, s16, s23
	s_add_i32 s4, s4, s5
	s_mul_i32 s5, s17, s22
	s_add_i32 s5, s4, s5
	s_cmp_eq_u32 s20, 0
	s_cselect_b64 s[18:19], -1, 0
	s_cmp_lg_u32 s20, 0
	s_mul_i32 s4, s16, s22
	s_cselect_b64 s[26:27], -1, 0
	v_lshl_add_u64 v[6:7], s[4:5], 3, v[0:1]
	s_and_b64 vcc, exec, s[26:27]
	v_cmp_gt_i32_e64 s[4:5], s20, v2
	v_lshlrev_b32_e32 v0, 3, v2
	s_cbranch_vccz .LBB94_17
; %bb.8:
	v_sub_co_u32_e32 v4, vcc, v6, v0
	s_ashr_i32 s21, s20, 31
	s_nop 0
	v_subbrev_co_u32_e32 v5, vcc, 0, v7, vcc
	v_lshl_add_u64 v[4:5], s[20:21], 3, v[4:5]
	v_lshl_add_u64 v[4:5], v[4:5], 0, -8
	v_cndmask_b32_e64 v5, v5, v7, s[4:5]
	v_cndmask_b32_e64 v4, v4, v6, s[4:5]
	v_cmp_gt_i32_e32 vcc, s20, v10
	v_mov_b64_e32 v[8:9], 0
	v_mov_b64_e32 v[16:17], 0
	s_and_saveexec_b64 s[6:7], vcc
	s_cbranch_execz .LBB94_10
; %bb.9:
	global_load_dwordx2 v[16:17], v[4:5], off
.LBB94_10:
	s_or_b64 exec, exec, s[6:7]
	v_lshlrev_b32_e32 v1, 3, v2
	s_movk_i32 s6, 0x108
	v_mad_u32_u24 v11, v10, s6, v1
	s_waitcnt vmcnt(0)
	ds_write_b64 v11, v[16:17]
	v_add_u32_e32 v11, 8, v10
	v_mul_u32_u24_e32 v3, 0x108, v10
	v_cmp_gt_i32_e32 vcc, s20, v11
	s_and_saveexec_b64 s[6:7], vcc
	s_cbranch_execz .LBB94_12
; %bb.11:
	s_lshl_b64 s[8:9], s[16:17], 6
	v_lshl_add_u64 v[8:9], v[4:5], 0, s[8:9]
	global_load_dwordx2 v[8:9], v[8:9], off
.LBB94_12:
	s_or_b64 exec, exec, s[6:7]
	v_add_u32_e32 v1, v3, v1
	v_add_u32_e32 v3, 16, v10
	s_waitcnt vmcnt(0)
	ds_write_b64 v1, v[8:9] offset:2112
	v_cmp_gt_i32_e32 vcc, s20, v3
	v_mov_b64_e32 v[8:9], 0
	v_mov_b64_e32 v[16:17], 0
	s_and_saveexec_b64 s[6:7], vcc
	s_cbranch_execz .LBB94_14
; %bb.13:
	s_lshl_b64 s[8:9], s[16:17], 7
	v_lshl_add_u64 v[16:17], v[4:5], 0, s[8:9]
	global_load_dwordx2 v[16:17], v[16:17], off
.LBB94_14:
	s_or_b64 exec, exec, s[6:7]
	v_add_u32_e32 v3, 24, v10
	v_cmp_gt_i32_e32 vcc, s20, v3
	s_waitcnt vmcnt(0)
	ds_write_b64 v1, v[16:17] offset:4224
	s_and_saveexec_b64 s[6:7], vcc
	s_cbranch_execz .LBB94_16
; %bb.15:
	v_mov_b32_e32 v3, 0xc0
	v_mad_u64_u32 v[8:9], s[8:9], s16, v3, v[4:5]
	s_mul_i32 s8, s17, 0xc0
	s_nop 0
	v_add_u32_e32 v9, s8, v9
	global_load_dwordx2 v[8:9], v[8:9], off
.LBB94_16:
	s_or_b64 exec, exec, s[6:7]
	s_waitcnt vmcnt(0)
	ds_write_b64 v1, v[8:9] offset:6336
	v_mov_b32_e32 v1, 0
	v_lshl_add_u64 v[4:5], v[4:5], 0, v[0:1]
	s_lshl_b64 s[6:7], s[20:21], 3
	v_mov_b32_e32 v1, s7
	v_subrev_co_u32_e32 v4, vcc, s6, v4
	s_nop 1
	v_subb_co_u32_e32 v5, vcc, v5, v1, vcc
	v_lshl_add_u64 v[4:5], v[4:5], 0, 8
	v_cndmask_b32_e64 v5, v5, v7, s[4:5]
	v_cndmask_b32_e64 v4, v4, v6, s[4:5]
	s_branch .LBB94_19
.LBB94_17:
                                        ; implicit-def: $vgpr4_vgpr5
	s_cbranch_execz .LBB94_19
; %bb.18:
	s_lshl_b64 s[4:5], s[16:17], 6
	v_lshl_add_u64 v[4:5], v[6:7], 0, s[4:5]
	v_lshl_add_u64 v[8:9], v[4:5], 0, s[4:5]
	;; [unrolled: 1-line block ×3, first 2 shown]
	global_load_dwordx2 v[18:19], v[6:7], off
	global_load_dwordx2 v[20:21], v[4:5], off
	;; [unrolled: 1-line block ×4, first 2 shown]
	v_mul_u32_u24_e32 v1, 0x108, v10
	v_lshl_add_u32 v1, v2, 3, v1
	v_mov_b64_e32 v[4:5], v[6:7]
	s_waitcnt vmcnt(3)
	ds_write_b64 v1, v[18:19]
	s_waitcnt vmcnt(2)
	ds_write_b64 v1, v[20:21] offset:2112
	s_waitcnt vmcnt(1)
	ds_write_b64 v1, v[24:25] offset:4224
	;; [unrolled: 2-line block ×3, first 2 shown]
.LBB94_19:
	v_lshlrev_b32_e32 v11, 3, v2
	v_lshlrev_b32_e32 v3, 2, v10
	v_lshl_or_b32 v1, v2, 8, v11
	v_cmp_gt_u32_e64 s[4:5], v3, v2
	v_lshl_add_u32 v1, v3, 3, v1
	s_waitcnt lgkmcnt(0)
	s_barrier
	s_and_saveexec_b64 s[6:7], s[4:5]
	s_cbranch_execz .LBB94_21
; %bb.20:
	s_movk_i32 s8, 0x420
	v_mad_u32_u24 v6, v10, s8, v11
	ds_read_b64 v[6:7], v6
	s_waitcnt lgkmcnt(0)
	ds_write_b64 v1, v[6:7]
.LBB94_21:
	s_or_b64 exec, exec, s[6:7]
	v_or_b32_e32 v16, 1, v3
	v_cmp_ge_u32_e64 s[6:7], v3, v2
	s_and_saveexec_b64 s[8:9], s[6:7]
	s_cbranch_execz .LBB94_23
; %bb.22:
	s_movk_i32 s10, 0x108
	v_mad_u32_u24 v6, v16, s10, v11
	ds_read_b64 v[6:7], v6
	s_waitcnt lgkmcnt(0)
	ds_write_b64 v1, v[6:7] offset:8
.LBB94_23:
	s_or_b64 exec, exec, s[8:9]
	v_or_b32_e32 v6, 2, v3
	v_cmp_gt_u32_e64 s[8:9], v6, v2
	s_and_saveexec_b64 s[10:11], s[8:9]
	s_cbranch_execz .LBB94_25
; %bb.24:
	s_movk_i32 s12, 0x108
	v_mad_u32_u24 v6, v6, s12, v11
	ds_read_b64 v[6:7], v6
	s_waitcnt lgkmcnt(0)
	ds_write_b64 v1, v[6:7] offset:16
.LBB94_25:
	s_or_b64 exec, exec, s[10:11]
	v_or_b32_e32 v7, 3, v3
	v_cmp_gt_u32_e64 s[10:11], v7, v2
	v_cmp_le_u32_e32 vcc, v7, v2
                                        ; implicit-def: $vgpr6
	s_and_saveexec_b64 s[12:13], vcc
	s_xor_b64 s[12:13], exec, s[12:13]
; %bb.26:
	v_mul_u32_u24_e32 v6, 0x108, v7
                                        ; implicit-def: $vgpr7
                                        ; implicit-def: $vgpr1
; %bb.27:
	s_andn2_saveexec_b64 s[12:13], s[12:13]
	s_cbranch_execz .LBB94_29
; %bb.28:
	s_movk_i32 s14, 0x108
	v_mad_u32_u24 v6, v7, s14, v11
	ds_read_b64 v[8:9], v6
	v_mul_u32_u24_e32 v6, 0x108, v7
	s_waitcnt lgkmcnt(0)
	ds_write_b64 v1, v[8:9] offset:24
.LBB94_29:
	s_or_b64 exec, exec, s[12:13]
	s_movk_i32 s12, 0x420
	v_mad_u32_u24 v1, v10, s12, v11
	s_movk_i32 s12, 0x108
	s_waitcnt lgkmcnt(0)
	s_barrier
	v_lshlrev_b32_e32 v17, 3, v3
	ds_read_b64 v[20:21], v1
	ds_read_b128 v[24:27], v17 offset:9088
	v_mad_u32_u24 v1, v16, s12, v11
	ds_read2_b64 v[28:31], v1 offset1:33
	v_add_u32_e32 v18, v11, v6
	ds_read_b128 v[6:9], v17 offset:9104
	ds_read_b64 v[32:33], v18
	s_waitcnt lgkmcnt(3)
	v_fma_f64 v[20:21], v[20:21], v[24:25], 0
	v_mul_u32_u24_e32 v1, 33, v2
	s_waitcnt lgkmcnt(2)
	v_fmac_f64_e32 v[20:21], v[28:29], v[26:27]
	s_waitcnt lgkmcnt(1)
	v_fmac_f64_e32 v[20:21], v[30:31], v[6:7]
	v_lshlrev_b32_e32 v23, 3, v1
	v_mov_b64_e32 v[50:51], 0
	s_waitcnt lgkmcnt(0)
	v_fmac_f64_e32 v[20:21], v[32:33], v[8:9]
	v_lshl_add_u32 v24, v10, 3, v23
	v_cmp_gt_u32_e64 s[12:13], 32, v22
	s_barrier
	ds_write_b64 v24, v[20:21]
	s_waitcnt lgkmcnt(0)
	s_barrier
	s_and_saveexec_b64 s[14:15], s[12:13]
	s_cbranch_execz .LBB94_31
; %bb.30:
	ds_read2_b64 v[6:9], v23 offset1:1
	ds_read2_b64 v[26:29], v23 offset0:2 offset1:3
	ds_read2_b64 v[30:33], v23 offset0:4 offset1:5
	s_waitcnt lgkmcnt(2)
	v_add_f64 v[20:21], v[6:7], v[8:9]
	ds_read2_b64 v[6:9], v23 offset0:6 offset1:7
	s_waitcnt lgkmcnt(2)
	v_add_f64 v[20:21], v[20:21], v[26:27]
	v_add_f64 v[20:21], v[20:21], v[28:29]
	s_waitcnt lgkmcnt(1)
	v_add_f64 v[20:21], v[20:21], v[30:31]
	v_add_f64 v[20:21], v[20:21], v[32:33]
	;; [unrolled: 3-line block ×3, first 2 shown]
.LBB94_31:
	s_or_b64 exec, exec, s[14:15]
	s_lshl_b64 s[14:15], s[16:17], 8
	v_lshl_add_u64 v[8:9], v[4:5], 0, s[14:15]
	s_mov_b64 s[14:15], 0x100
	v_lshl_add_u64 v[6:7], v[8:9], 0, s[14:15]
	s_and_b64 vcc, exec, s[26:27]
	s_barrier
	s_cbranch_vccz .LBB94_41
; %bb.32:
	v_sub_co_u32_e32 v4, vcc, v8, v0
	s_ashr_i32 s21, s20, 31
	s_nop 0
	v_subbrev_co_u32_e32 v5, vcc, 0, v9, vcc
	v_or_b32_e32 v1, 32, v2
	v_lshl_add_u64 v[4:5], s[20:21], 3, v[4:5]
	v_lshl_add_u64 v[4:5], v[4:5], 0, -8
	v_cmp_gt_i32_e32 vcc, s20, v1
	s_sub_i32 s37, s20, 32
	v_cmp_gt_i32_e64 s[14:15], s37, v10
	v_cndmask_b32_e32 v5, v5, v7, vcc
	v_cndmask_b32_e32 v4, v4, v6, vcc
	v_mov_b64_e32 v[20:21], 0
	v_mov_b64_e32 v[26:27], 0
	s_and_saveexec_b64 s[30:31], s[14:15]
	s_cbranch_execz .LBB94_34
; %bb.33:
	global_load_dwordx2 v[26:27], v[4:5], off
.LBB94_34:
	s_or_b64 exec, exec, s[30:31]
	s_movk_i32 s14, 0x108
	v_mad_u32_u24 v19, v10, s14, v11
	s_waitcnt vmcnt(0)
	ds_write_b64 v19, v[26:27]
	v_add_u32_e32 v19, 8, v10
	v_mul_u32_u24_e32 v1, 0x108, v10
	v_cmp_gt_i32_e64 s[14:15], s37, v19
	s_and_saveexec_b64 s[30:31], s[14:15]
	s_cbranch_execz .LBB94_36
; %bb.35:
	s_lshl_b64 s[14:15], s[16:17], 6
	v_lshl_add_u64 v[20:21], v[4:5], 0, s[14:15]
	global_load_dwordx2 v[20:21], v[20:21], off
.LBB94_36:
	s_or_b64 exec, exec, s[30:31]
	v_add_u32_e32 v1, v1, v11
	v_add_u32_e32 v19, 16, v10
	s_waitcnt vmcnt(0)
	ds_write_b64 v1, v[20:21] offset:2112
	v_cmp_gt_i32_e64 s[14:15], s37, v19
	v_mov_b64_e32 v[20:21], 0
	v_mov_b64_e32 v[26:27], 0
	s_and_saveexec_b64 s[30:31], s[14:15]
	s_cbranch_execz .LBB94_38
; %bb.37:
	s_lshl_b64 s[14:15], s[16:17], 7
	v_lshl_add_u64 v[26:27], v[4:5], 0, s[14:15]
	global_load_dwordx2 v[26:27], v[26:27], off
.LBB94_38:
	s_or_b64 exec, exec, s[30:31]
	v_add_u32_e32 v19, 24, v10
	v_cmp_gt_i32_e64 s[14:15], s37, v19
	s_waitcnt vmcnt(0)
	ds_write_b64 v1, v[26:27] offset:4224
	s_and_saveexec_b64 s[30:31], s[14:15]
	s_cbranch_execz .LBB94_40
; %bb.39:
	v_mov_b32_e32 v19, 0xc0
	v_mad_u64_u32 v[20:21], s[14:15], s16, v19, v[4:5]
	s_mul_i32 s14, s17, 0xc0
	s_nop 0
	v_add_u32_e32 v21, s14, v21
	global_load_dwordx2 v[20:21], v[20:21], off
.LBB94_40:
	s_or_b64 exec, exec, s[30:31]
	s_waitcnt vmcnt(0)
	ds_write_b64 v1, v[20:21] offset:6336
	v_mov_b32_e32 v1, 0
	v_lshl_add_u64 v[4:5], v[4:5], 0, v[0:1]
	s_lshl_b64 s[14:15], s[20:21], 3
	v_mov_b32_e32 v1, s15
	v_subrev_co_u32_e64 v4, s[14:15], s14, v4
	s_nop 1
	v_subb_co_u32_e64 v5, s[14:15], v5, v1, s[14:15]
	s_mov_b64 s[14:15], 0x108
	s_nop 0
	v_lshl_add_u64 v[4:5], v[4:5], 0, s[14:15]
	v_cndmask_b32_e32 v5, v5, v7, vcc
	v_cndmask_b32_e32 v4, v4, v6, vcc
	v_mul_u32_u24_e32 v1, 0x420, v10
	s_branch .LBB94_43
.LBB94_41:
                                        ; implicit-def: $vgpr4_vgpr5
	v_mul_u32_u24_e32 v1, 0x420, v10
	s_cbranch_execz .LBB94_43
; %bb.42:
	s_lshl_b64 s[14:15], s[16:17], 6
	v_lshl_add_u64 v[4:5], v[8:9], 0, s[14:15]
	v_lshl_add_u64 v[20:21], v[4:5], 0, s[14:15]
	;; [unrolled: 1-line block ×3, first 2 shown]
	global_load_dwordx2 v[28:29], v[8:9], off offset:256
	global_load_dwordx2 v[30:31], v[4:5], off offset:256
	global_load_dwordx2 v[32:33], v[20:21], off offset:256
	global_load_dwordx2 v[34:35], v[26:27], off offset:256
	s_movk_i32 s14, 0x108
	v_mad_u32_u24 v4, v10, s14, v11
	s_waitcnt vmcnt(3)
	ds_write_b64 v4, v[28:29]
	s_waitcnt vmcnt(2)
	ds_write_b64 v4, v[30:31] offset:2112
	s_waitcnt vmcnt(1)
	ds_write_b64 v4, v[32:33] offset:4224
	;; [unrolled: 2-line block ×3, first 2 shown]
	v_mov_b64_e32 v[4:5], v[6:7]
.LBB94_43:
	v_mul_u32_u24_e32 v6, 0x108, v16
	v_add_u32_e32 v8, v11, v1
	v_lshl_add_u32 v1, v3, 3, v23
	s_waitcnt lgkmcnt(0)
	s_barrier
	s_and_saveexec_b64 s[14:15], s[4:5]
	s_cbranch_execnz .LBB94_60
; %bb.44:
	s_or_b64 exec, exec, s[14:15]
	v_add_u32_e32 v19, v11, v6
	s_and_saveexec_b64 s[4:5], s[6:7]
	s_cbranch_execnz .LBB94_61
.LBB94_45:
	s_or_b64 exec, exec, s[4:5]
	s_and_saveexec_b64 s[4:5], s[8:9]
	s_cbranch_execnz .LBB94_62
.LBB94_46:
	s_or_b64 exec, exec, s[4:5]
	v_add_u32_e32 v25, 0x2380, v17
	s_and_saveexec_b64 s[4:5], s[10:11]
	s_cbranch_execz .LBB94_48
.LBB94_47:
	ds_read_b64 v[6:7], v18
	s_waitcnt lgkmcnt(0)
	ds_write_b64 v1, v[6:7] offset:24
.LBB94_48:
	s_or_b64 exec, exec, s[4:5]
	s_waitcnt lgkmcnt(0)
	s_barrier
	ds_read_b64 v[6:7], v8
	ds_read_b128 v[26:29], v25 offset:256
	ds_read2_b64 v[30:33], v19 offset1:33
	ds_read_b128 v[34:37], v25 offset:272
	ds_read_b64 v[16:17], v18
	v_cmp_eq_u32_e64 s[4:5], 1, v10
	s_waitcnt lgkmcnt(3)
	v_fma_f64 v[6:7], v[6:7], v[26:27], 0
	s_waitcnt lgkmcnt(2)
	v_fmac_f64_e32 v[6:7], v[30:31], v[28:29]
	s_waitcnt lgkmcnt(1)
	v_fmac_f64_e32 v[6:7], v[32:33], v[34:35]
	s_waitcnt lgkmcnt(0)
	v_fmac_f64_e32 v[6:7], v[16:17], v[36:37]
	s_barrier
	ds_write_b64 v24, v[6:7]
	s_waitcnt lgkmcnt(0)
	s_barrier
	s_and_saveexec_b64 s[6:7], s[4:5]
	s_cbranch_execz .LBB94_50
; %bb.49:
	ds_read2_b64 v[26:29], v23 offset1:1
	ds_read2_b64 v[30:33], v23 offset0:2 offset1:3
	ds_read2_b64 v[34:37], v23 offset0:4 offset1:5
	s_waitcnt lgkmcnt(2)
	v_add_f64 v[6:7], v[26:27], v[28:29]
	ds_read2_b64 v[26:29], v23 offset0:6 offset1:7
	s_waitcnt lgkmcnt(2)
	v_add_f64 v[6:7], v[6:7], v[30:31]
	v_add_f64 v[6:7], v[6:7], v[32:33]
	s_waitcnt lgkmcnt(1)
	v_add_f64 v[6:7], v[6:7], v[34:35]
	v_add_f64 v[6:7], v[6:7], v[36:37]
	;; [unrolled: 3-line block ×3, first 2 shown]
.LBB94_50:
	s_or_b64 exec, exec, s[6:7]
	s_movk_i32 s6, 0xff00
	s_mov_b32 s7, -1
	v_lshl_add_u64 v[6:7], v[4:5], 0, s[6:7]
	s_and_b64 vcc, exec, s[26:27]
	s_barrier
	s_cbranch_vccz .LBB94_63
; %bb.51:
	v_sub_co_u32_e32 v16, vcc, v4, v0
	s_ashr_i32 s21, s20, 31
	s_nop 0
	v_subbrev_co_u32_e32 v17, vcc, 0, v5, vcc
	s_movk_i32 s6, 0xfef8
	v_lshl_add_u64 v[16:17], s[20:21], 3, v[16:17]
	s_mov_b32 s7, -1
	v_lshl_add_u64 v[16:17], v[16:17], 0, s[6:7]
	v_cmp_gt_i32_e32 vcc, s20, v2
	s_sub_i32 s10, s20, 32
	v_cmp_gt_i32_e64 s[6:7], s10, v10
	v_cndmask_b32_e32 v3, v17, v7, vcc
	v_cndmask_b32_e32 v2, v16, v6, vcc
	v_mov_b64_e32 v[16:17], 0
	v_mov_b64_e32 v[20:21], 0
	s_and_saveexec_b64 s[8:9], s[6:7]
	s_cbranch_execz .LBB94_53
; %bb.52:
	global_load_dwordx2 v[20:21], v[2:3], off
.LBB94_53:
	s_or_b64 exec, exec, s[8:9]
	s_movk_i32 s6, 0x108
	v_mad_u32_u24 v9, v10, s6, v11
	s_waitcnt vmcnt(0)
	ds_write_b64 v9, v[20:21]
	v_add_u32_e32 v9, 8, v10
	v_mul_u32_u24_e32 v1, 0x108, v10
	v_cmp_gt_i32_e64 s[6:7], s10, v9
	s_and_saveexec_b64 s[8:9], s[6:7]
	s_cbranch_execz .LBB94_55
; %bb.54:
	s_lshl_b64 s[6:7], s[16:17], 6
	v_lshl_add_u64 v[16:17], v[2:3], 0, s[6:7]
	global_load_dwordx2 v[16:17], v[16:17], off
.LBB94_55:
	s_or_b64 exec, exec, s[8:9]
	v_add_u32_e32 v1, v1, v11
	v_add_u32_e32 v20, 16, v10
	s_waitcnt vmcnt(0)
	ds_write_b64 v1, v[16:17] offset:2112
	v_cmp_gt_i32_e64 s[6:7], s10, v20
	v_mov_b64_e32 v[16:17], 0
	v_mov_b64_e32 v[26:27], 0
	s_and_saveexec_b64 s[8:9], s[6:7]
	s_cbranch_execz .LBB94_57
; %bb.56:
	s_lshl_b64 s[6:7], s[16:17], 7
	v_lshl_add_u64 v[26:27], v[2:3], 0, s[6:7]
	global_load_dwordx2 v[26:27], v[26:27], off
.LBB94_57:
	s_or_b64 exec, exec, s[8:9]
	v_add_u32_e32 v21, 24, v10
	v_cmp_gt_i32_e64 s[6:7], s10, v21
	s_waitcnt vmcnt(0)
	ds_write_b64 v1, v[26:27] offset:4224
	s_and_saveexec_b64 s[8:9], s[6:7]
	s_cbranch_execz .LBB94_59
; %bb.58:
	v_mov_b32_e32 v16, 0xc0
	v_mad_u64_u32 v[16:17], s[6:7], s16, v16, v[2:3]
	s_mul_i32 s6, s17, 0xc0
	s_nop 0
	v_add_u32_e32 v17, s6, v17
	global_load_dwordx2 v[16:17], v[16:17], off
.LBB94_59:
	s_or_b64 exec, exec, s[8:9]
	s_waitcnt vmcnt(0)
	ds_write_b64 v1, v[16:17] offset:6336
	v_mov_b32_e32 v1, 0
	v_lshl_add_u64 v[0:1], v[2:3], 0, v[0:1]
	s_lshl_b64 s[6:7], s[20:21], 3
	v_mov_b32_e32 v2, s7
	v_subrev_co_u32_e64 v0, s[6:7], s6, v0
	s_nop 1
	v_subb_co_u32_e64 v1, s[6:7], v1, v2, s[6:7]
	v_lshl_add_u64 v[0:1], v[0:1], 0, 8
	v_cndmask_b32_e32 v17, v1, v7, vcc
	v_cndmask_b32_e32 v16, v0, v6, vcc
	s_branch .LBB94_65
.LBB94_60:
	ds_read_b64 v[20:21], v8
	s_waitcnt lgkmcnt(0)
	ds_write_b64 v1, v[20:21]
	s_or_b64 exec, exec, s[14:15]
	v_add_u32_e32 v19, v11, v6
	s_and_saveexec_b64 s[4:5], s[6:7]
	s_cbranch_execz .LBB94_45
.LBB94_61:
	ds_read_b64 v[6:7], v19
	s_waitcnt lgkmcnt(0)
	ds_write_b64 v1, v[6:7] offset:8
	s_or_b64 exec, exec, s[4:5]
	s_and_saveexec_b64 s[4:5], s[8:9]
	s_cbranch_execz .LBB94_46
.LBB94_62:
	ds_read_b64 v[6:7], v19 offset:264
	s_waitcnt lgkmcnt(0)
	ds_write_b64 v1, v[6:7] offset:16
	s_or_b64 exec, exec, s[4:5]
	v_add_u32_e32 v25, 0x2380, v17
	s_and_saveexec_b64 s[4:5], s[10:11]
	s_cbranch_execnz .LBB94_47
	s_branch .LBB94_48
.LBB94_63:
                                        ; implicit-def: $vgpr16_vgpr17
                                        ; implicit-def: $vgpr9
                                        ; implicit-def: $vgpr20
                                        ; implicit-def: $vgpr21
	s_cbranch_execz .LBB94_65
; %bb.64:
	s_lshl_b64 s[6:7], s[16:17], 6
	v_lshl_add_u64 v[0:1], v[4:5], 0, s[6:7]
	v_lshl_add_u64 v[2:3], v[0:1], 0, s[6:7]
	;; [unrolled: 1-line block ×3, first 2 shown]
	global_load_dwordx2 v[26:27], v[4:5], off offset:-256
	global_load_dwordx2 v[28:29], v[0:1], off offset:-256
	;; [unrolled: 1-line block ×4, first 2 shown]
	s_movk_i32 s6, 0x108
	v_add_u32_e32 v9, 8, v10
	v_add_u32_e32 v20, 16, v10
	;; [unrolled: 1-line block ×3, first 2 shown]
	v_mad_u32_u24 v0, v10, s6, v11
	v_mov_b64_e32 v[16:17], v[6:7]
	s_waitcnt vmcnt(3)
	ds_write_b64 v0, v[26:27]
	s_waitcnt vmcnt(2)
	ds_write_b64 v0, v[28:29] offset:2112
	s_waitcnt vmcnt(1)
	ds_write_b64 v0, v[30:31] offset:4224
	s_waitcnt vmcnt(0)
	ds_write_b64 v0, v[32:33] offset:6336
.LBB94_65:
	v_lshlrev_b32_e32 v0, 3, v10
	v_add_u32_e32 v1, v23, v0
	s_waitcnt lgkmcnt(0)
	s_barrier
	v_lshlrev_b32_e32 v2, 3, v9
	ds_read_b64 v[26:27], v1
	ds_read_b64 v[28:29], v2 offset:9088
	ds_read_b64 v[30:31], v0 offset:9088
	v_add_u32_e32 v0, v23, v2
	v_lshlrev_b32_e32 v1, 3, v20
	v_add_u32_e32 v2, v23, v1
	v_lshlrev_b32_e32 v3, 3, v21
	ds_read_b64 v[32:33], v0
	ds_read_b64 v[34:35], v2
	ds_read_b64 v[36:37], v3 offset:9088
	ds_read_b64 v[38:39], v1 offset:9088
	s_waitcnt lgkmcnt(4)
	v_fma_f64 v[26:27], v[26:27], v[30:31], 0
	s_waitcnt lgkmcnt(3)
	v_fmac_f64_e32 v[26:27], v[32:33], v[28:29]
	v_add_u32_e32 v0, v23, v3
	ds_read_b64 v[40:41], v0
	ds_read_b64 v[20:21], v8
	ds_read_b128 v[8:11], v25 offset:256
	ds_read_b128 v[0:3], v25 offset:272
	ds_read2_b64 v[4:7], v19 offset1:33
	ds_read_b64 v[18:19], v18
	s_waitcnt lgkmcnt(6)
	v_fmac_f64_e32 v[26:27], v[34:35], v[38:39]
	s_waitcnt lgkmcnt(5)
	v_fmac_f64_e32 v[26:27], v[40:41], v[36:37]
	s_waitcnt lgkmcnt(0)
	s_barrier
	ds_write_b64 v24, v[26:27]
	s_waitcnt lgkmcnt(0)
	s_barrier
	s_and_saveexec_b64 s[6:7], s[4:5]
	s_cbranch_execz .LBB94_67
; %bb.66:
	ds_read2_b64 v[26:29], v23 offset1:1
	ds_read2_b64 v[30:33], v23 offset0:2 offset1:3
	ds_read2_b64 v[34:37], v23 offset0:4 offset1:5
	s_waitcnt lgkmcnt(2)
	v_add_f64 v[26:27], v[50:51], v[26:27]
	v_add_f64 v[38:39], v[26:27], v[28:29]
	ds_read2_b64 v[26:29], v23 offset0:6 offset1:7
	s_waitcnt lgkmcnt(2)
	v_add_f64 v[30:31], v[38:39], v[30:31]
	v_add_f64 v[30:31], v[30:31], v[32:33]
	s_waitcnt lgkmcnt(1)
	v_add_f64 v[30:31], v[30:31], v[34:35]
	v_add_f64 v[30:31], v[30:31], v[36:37]
	;; [unrolled: 3-line block ×3, first 2 shown]
.LBB94_67:
	s_or_b64 exec, exec, s[6:7]
	v_fma_f64 v[8:9], v[20:21], v[8:9], 0
	v_fmac_f64_e32 v[8:9], v[4:5], v[10:11]
	v_fmac_f64_e32 v[8:9], v[6:7], v[0:1]
	v_fmac_f64_e32 v[8:9], v[18:19], v[2:3]
	s_barrier
	ds_write_b64 v24, v[8:9]
	s_waitcnt lgkmcnt(0)
	s_barrier
	s_and_saveexec_b64 s[4:5], s[12:13]
	s_cbranch_execz .LBB94_69
; %bb.68:
	ds_read2_b64 v[0:3], v23 offset1:1
	ds_read2_b64 v[4:7], v23 offset0:2 offset1:3
	ds_read2_b64 v[8:11], v23 offset0:4 offset1:5
	s_waitcnt lgkmcnt(2)
	v_add_f64 v[0:1], v[50:51], v[0:1]
	v_add_f64 v[18:19], v[0:1], v[2:3]
	ds_read2_b64 v[0:3], v23 offset0:6 offset1:7
	s_waitcnt lgkmcnt(2)
	v_add_f64 v[4:5], v[18:19], v[4:5]
	v_add_f64 v[4:5], v[4:5], v[6:7]
	s_waitcnt lgkmcnt(1)
	v_add_f64 v[4:5], v[4:5], v[8:9]
	v_add_f64 v[4:5], v[4:5], v[10:11]
	;; [unrolled: 3-line block ×3, first 2 shown]
.LBB94_69:
	s_or_b64 exec, exec, s[4:5]
	s_mul_hi_u32 s4, s35, s3
	s_mul_i32 s36, s36, s3
	s_add_i32 s4, s4, s36
	s_mul_i32 s3, s35, s3
	s_mul_i32 s4, s4, s33
	s_mul_hi_u32 s5, s3, s33
	s_add_i32 s5, s5, s4
	s_mul_i32 s4, s3, s33
	s_lshl_b64 s[4:5], s[4:5], 3
	s_add_u32 s3, s28, s4
	s_addc_u32 s6, s29, s5
	s_mul_hi_i32 s5, s35, s2
	s_mul_i32 s4, s35, s2
	s_lshl_b64 s[4:5], s[4:5], 3
	s_add_u32 s8, s3, s4
	s_addc_u32 s9, s6, s5
	s_add_i32 s3, s2, 1
	s_cmp_ge_u32 s3, s33
	v_lshlrev_b32_e32 v52, 3, v122
	s_barrier
	s_cbranch_scc1 .LBB94_126
; %bb.70:
	s_mul_i32 s3, s24, s23
	s_mul_hi_u32 s4, s24, s22
	s_add_i32 s3, s4, s3
	s_mul_i32 s4, s25, s22
	s_add_i32 s5, s3, s4
	s_mul_i32 s4, s24, s22
	s_lshl_b64 s[4:5], s[4:5], 3
	v_mov_b32_e32 v0, s5
	v_subrev_co_u32_e32 v54, vcc, s4, v12
	s_movk_i32 s4, 0x860
	s_nop 0
	v_subb_co_u32_e32 v55, vcc, v13, v0, vcc
	v_lshrrev_b32_e32 v0, 4, v22
	v_lshlrev_b32_e32 v2, 5, v0
	v_mul_i32_i24_e32 v38, 0xffffffe8, v0
	v_and_b32_e32 v0, 48, v122
	v_and_b32_e32 v1, 15, v122
	v_lshlrev_b32_e32 v36, 5, v123
	v_mad_u32_u24 v128, v123, s4, v52
	s_movk_i32 s4, 0x218
	v_lshlrev_b32_e32 v0, 3, v0
	v_mad_u32_u24 v130, v1, s4, v0
	v_or_b32_e32 v0, 0x78, v52
	v_add_u32_e32 v3, 0x100, v36
	v_mad_u32_u24 v129, v1, s4, v2
	v_mad_u32_u24 v131, v1, s4, v0
	v_mad_u64_u32 v[0:1], s[4:5], s16, v3, 0
	v_mov_b32_e32 v2, v1
	v_lshlrev_b64 v[4:5], 3, v[14:15]
	v_mad_u64_u32 v[2:3], s[4:5], s17, v3, v[2:3]
	v_sub_co_u32_e32 v0, vcc, v0, v4
	v_add_u32_e32 v7, 0x110, v36
	s_nop 0
	v_subb_co_u32_e32 v1, vcc, v2, v5, vcc
	v_mad_u64_u32 v[2:3], s[4:5], s16, v7, 0
	v_mov_b32_e32 v6, v3
	v_mad_u64_u32 v[6:7], s[4:5], s17, v7, v[6:7]
	v_sub_co_u32_e32 v2, vcc, v2, v4
	v_add_u32_e32 v9, 0x118, v36
	s_nop 0
	v_subb_co_u32_e32 v3, vcc, v6, v5, vcc
	v_mad_u64_u32 v[6:7], s[4:5], s16, v9, 0
	v_mov_b32_e32 v8, v7
	;; [unrolled: 7-line block ×7, first 2 shown]
	v_mad_u64_u32 v[20:21], s[4:5], s17, v21, v[20:21]
	v_sub_co_u32_e32 v18, vcc, v18, v4
	v_add_u32_e32 v23, 0x200, v36
	s_nop 0
	v_subb_co_u32_e32 v19, vcc, v20, v5, vcc
	v_mad_u64_u32 v[20:21], s[4:5], s16, v23, 0
	v_cmp_gt_u32_e64 s[6:7], 64, v22
	v_mov_b32_e32 v22, v21
	v_mad_u64_u32 v[22:23], s[4:5], s17, v23, v[22:23]
	v_sub_co_u32_e32 v20, vcc, v20, v4
	v_add_u32_e32 v25, 0x208, v36
	s_nop 0
	v_subb_co_u32_e32 v21, vcc, v22, v5, vcc
	v_mad_u64_u32 v[22:23], s[4:5], s16, v25, 0
	v_mov_b32_e32 v24, v23
	v_mad_u64_u32 v[24:25], s[4:5], s17, v25, v[24:25]
	v_sub_co_u32_e32 v22, vcc, v22, v4
	v_add_u32_e32 v27, 0x210, v36
	s_nop 0
	v_subb_co_u32_e32 v23, vcc, v24, v5, vcc
	v_mad_u64_u32 v[24:25], s[4:5], s16, v27, 0
	;; [unrolled: 7-line block ×7, first 2 shown]
	v_add_u32_e32 v126, 0x2180, v36
	v_mov_b32_e32 v36, v35
	v_mad_u64_u32 v[36:37], s[4:5], s17, v37, v[36:37]
	v_sub_co_u32_e32 v4, vcc, v34, v4
	v_lshlrev_b32_e32 v124, 2, v123
	s_nop 0
	v_subb_co_u32_e32 v5, vcc, v36, v5, vcc
	s_add_i32 s3, s33, -2
	v_add_u32_e32 v125, 0x2180, v52
	v_add_u32_e32 v127, 0x2380, v52
	v_or_b32_e32 v132, 1, v124
	v_or_b32_e32 v133, 2, v124
	;; [unrolled: 1-line block ×3, first 2 shown]
	v_add_u32_e32 v135, 16, v124
	v_add_u32_e32 v136, 17, v124
	;; [unrolled: 1-line block ×8, first 2 shown]
	v_lshl_add_u64 v[56:57], v[16:17], 0, v[0:1]
	v_lshl_add_u64 v[58:59], v[16:17], 0, v[2:3]
	;; [unrolled: 1-line block ×16, first 2 shown]
	v_add_u32_e32 v143, 48, v124
	v_add_u32_e32 v144, 49, v124
	s_add_i32 s21, s22, 64
	v_mov_b32_e32 v53, 0
	s_lshl_b64 s[10:11], s[16:17], 9
	v_add_u32_e32 v145, v129, v38
	v_add_u32_e32 v146, 50, v124
	;; [unrolled: 1-line block ×3, first 2 shown]
	s_cmp_eq_u32 s3, s2
	s_cselect_b32 s16, s34, 0
	s_and_saveexec_b64 s[4:5], s[0:1]
	s_cbranch_execz .LBB94_74
.LBB94_71:
	s_cmp_eq_u32 s16, 0
	s_cselect_b64 s[12:13], -1, 0
	v_cmp_gt_i32_e32 vcc, s16, v122
	s_or_b64 s[14:15], s[12:13], vcc
	v_mov_b64_e32 v[0:1], 0
	s_and_saveexec_b64 s[12:13], s[14:15]
	s_cbranch_execz .LBB94_73
; %bb.72:
	s_ashr_i32 s14, s21, 31
	s_mul_hi_u32 s15, s24, s21
	s_mul_i32 s14, s24, s14
	s_add_i32 s14, s15, s14
	s_mul_i32 s15, s25, s21
	s_add_i32 s15, s14, s15
	s_mul_i32 s14, s24, s21
	v_lshl_add_u64 v[0:1], s[14:15], 3, v[54:55]
	global_load_dwordx2 v[0:1], v[0:1], off
.LBB94_73:
	s_or_b64 exec, exec, s[12:13]
	s_waitcnt vmcnt(0)
	ds_write_b64 v125, v[0:1]
.LBB94_74:                              ; =>This Inner Loop Header: Depth=1
	s_or_b64 exec, exec, s[4:5]
	s_cmp_eq_u32 s16, 0
	s_cselect_b64 s[12:13], -1, 0
	s_cmp_lg_u32 s16, 0
	s_cselect_b64 s[14:15], -1, 0
	v_lshl_add_u64 v[0:1], v[56:57], 0, v[52:53]
	s_mov_b64 s[4:5], -1
	s_and_b64 vcc, exec, s[14:15]
	s_waitcnt lgkmcnt(0)
	s_barrier
                                        ; implicit-def: $vgpr92_vgpr93
                                        ; implicit-def: $vgpr94_vgpr95
                                        ; implicit-def: $vgpr88_vgpr89
                                        ; implicit-def: $vgpr90_vgpr91
	s_cbranch_vccz .LBB94_84
; %bb.75:                               ;   in Loop: Header=BB94_74 Depth=1
	v_cmp_gt_i32_e32 vcc, s16, v124
	v_mov_b64_e32 v[88:89], 0
	v_mov_b64_e32 v[90:91], 0
	s_and_saveexec_b64 s[4:5], vcc
	s_cbranch_execz .LBB94_77
; %bb.76:                               ;   in Loop: Header=BB94_74 Depth=1
	global_load_dwordx2 v[90:91], v[0:1], off
.LBB94_77:                              ;   in Loop: Header=BB94_74 Depth=1
	s_or_b64 exec, exec, s[4:5]
	v_cmp_gt_i32_e32 vcc, s16, v132
	s_and_saveexec_b64 s[4:5], vcc
	s_cbranch_execz .LBB94_79
; %bb.78:                               ;   in Loop: Header=BB94_74 Depth=1
	v_lshl_add_u64 v[2:3], v[62:63], 0, v[52:53]
	global_load_dwordx2 v[88:89], v[2:3], off
.LBB94_79:                              ;   in Loop: Header=BB94_74 Depth=1
	s_or_b64 exec, exec, s[4:5]
	v_cmp_gt_i32_e32 vcc, s16, v133
	v_mov_b64_e32 v[92:93], 0
	v_mov_b64_e32 v[94:95], 0
	s_and_saveexec_b64 s[4:5], vcc
	s_cbranch_execz .LBB94_81
; %bb.80:                               ;   in Loop: Header=BB94_74 Depth=1
	v_lshl_add_u64 v[2:3], v[58:59], 0, v[52:53]
	global_load_dwordx2 v[94:95], v[2:3], off
.LBB94_81:                              ;   in Loop: Header=BB94_74 Depth=1
	s_or_b64 exec, exec, s[4:5]
	v_cmp_gt_i32_e32 vcc, s16, v134
	s_and_saveexec_b64 s[4:5], vcc
	s_cbranch_execz .LBB94_83
; %bb.82:                               ;   in Loop: Header=BB94_74 Depth=1
	v_lshl_add_u64 v[2:3], v[60:61], 0, v[52:53]
	global_load_dwordx2 v[92:93], v[2:3], off
.LBB94_83:                              ;   in Loop: Header=BB94_74 Depth=1
	s_or_b64 exec, exec, s[4:5]
	s_mov_b64 s[4:5], 0
.LBB94_84:                              ;   in Loop: Header=BB94_74 Depth=1
	s_and_b64 vcc, exec, s[4:5]
	s_cbranch_vccz .LBB94_86
; %bb.85:                               ;   in Loop: Header=BB94_74 Depth=1
	global_load_dwordx2 v[90:91], v[0:1], off
	v_lshl_add_u64 v[0:1], v[62:63], 0, v[52:53]
	global_load_dwordx2 v[88:89], v[0:1], off
	v_lshl_add_u64 v[0:1], v[58:59], 0, v[52:53]
	;; [unrolled: 2-line block ×3, first 2 shown]
	global_load_dwordx2 v[92:93], v[0:1], off
.LBB94_86:                              ;   in Loop: Header=BB94_74 Depth=1
	ds_read_b64 v[8:9], v127
	ds_read_b128 v[4:7], v126
	ds_read_b128 v[0:3], v126 offset:16
	s_andn2_b64 vcc, exec, s[14:15]
                                        ; implicit-def: $vgpr100_vgpr101
                                        ; implicit-def: $vgpr102_vgpr103
                                        ; implicit-def: $vgpr96_vgpr97
                                        ; implicit-def: $vgpr98_vgpr99
	s_waitcnt vmcnt(0) lgkmcnt(2)
	v_mul_f64 v[10:11], v[90:91], v[8:9]
	v_mul_f64 v[12:13], v[88:89], v[8:9]
	;; [unrolled: 1-line block ×4, first 2 shown]
	ds_write2_b64 v128, v[10:11], v[12:13] offset1:67
	ds_write2_b64 v128, v[14:15], v[8:9] offset0:134 offset1:201
	s_waitcnt lgkmcnt(0)
	s_barrier
	ds_read2_b64 v[20:23], v129 offset1:1
	ds_read2_b64 v[16:19], v129 offset0:2 offset1:3
	v_cndmask_b32_e64 v10, 0, 1, s[14:15]
	v_lshl_add_u64 v[8:9], v[64:65], 0, v[52:53]
	v_cmp_ne_u32_e64 s[4:5], 1, v10
	s_mov_b64 s[14:15], -1
	s_waitcnt lgkmcnt(0)
	s_barrier
	s_cbranch_vccnz .LBB94_96
; %bb.87:                               ;   in Loop: Header=BB94_74 Depth=1
	v_cmp_gt_i32_e32 vcc, s16, v135
	v_mov_b64_e32 v[96:97], 0
	v_mov_b64_e32 v[98:99], 0
	s_and_saveexec_b64 s[14:15], vcc
	s_cbranch_execz .LBB94_89
; %bb.88:                               ;   in Loop: Header=BB94_74 Depth=1
	global_load_dwordx2 v[98:99], v[8:9], off
.LBB94_89:                              ;   in Loop: Header=BB94_74 Depth=1
	s_or_b64 exec, exec, s[14:15]
	v_cmp_gt_i32_e32 vcc, s16, v136
	s_and_saveexec_b64 s[14:15], vcc
	s_cbranch_execz .LBB94_91
; %bb.90:                               ;   in Loop: Header=BB94_74 Depth=1
	v_lshl_add_u64 v[10:11], v[66:67], 0, v[52:53]
	global_load_dwordx2 v[96:97], v[10:11], off
.LBB94_91:                              ;   in Loop: Header=BB94_74 Depth=1
	s_or_b64 exec, exec, s[14:15]
	v_cmp_gt_i32_e32 vcc, s16, v137
	v_mov_b64_e32 v[100:101], 0
	v_mov_b64_e32 v[102:103], 0
	s_and_saveexec_b64 s[14:15], vcc
	s_cbranch_execz .LBB94_93
; %bb.92:                               ;   in Loop: Header=BB94_74 Depth=1
	v_lshl_add_u64 v[10:11], v[68:69], 0, v[52:53]
	global_load_dwordx2 v[102:103], v[10:11], off
.LBB94_93:                              ;   in Loop: Header=BB94_74 Depth=1
	s_or_b64 exec, exec, s[14:15]
	v_cmp_gt_i32_e32 vcc, s16, v138
	s_and_saveexec_b64 s[14:15], vcc
	s_cbranch_execz .LBB94_95
; %bb.94:                               ;   in Loop: Header=BB94_74 Depth=1
	v_lshl_add_u64 v[10:11], v[70:71], 0, v[52:53]
	global_load_dwordx2 v[100:101], v[10:11], off
.LBB94_95:                              ;   in Loop: Header=BB94_74 Depth=1
	s_or_b64 exec, exec, s[14:15]
	s_mov_b64 s[14:15], 0
.LBB94_96:                              ;   in Loop: Header=BB94_74 Depth=1
	s_and_b64 vcc, exec, s[14:15]
	s_cbranch_vccz .LBB94_98
; %bb.97:                               ;   in Loop: Header=BB94_74 Depth=1
	global_load_dwordx2 v[98:99], v[8:9], off
	v_lshl_add_u64 v[8:9], v[66:67], 0, v[52:53]
	global_load_dwordx2 v[96:97], v[8:9], off
	v_lshl_add_u64 v[8:9], v[68:69], 0, v[52:53]
	;; [unrolled: 2-line block ×3, first 2 shown]
	global_load_dwordx2 v[100:101], v[8:9], off
.LBB94_98:                              ;   in Loop: Header=BB94_74 Depth=1
	ds_read_b64 v[24:25], v127
	ds_read_b128 v[12:15], v126 offset:128
	ds_read_b128 v[8:11], v126 offset:144
	s_and_b64 vcc, exec, s[4:5]
	s_mov_b64 s[14:15], -1
	s_waitcnt vmcnt(0) lgkmcnt(2)
	v_mul_f64 v[26:27], v[98:99], v[24:25]
	v_mul_f64 v[28:29], v[96:97], v[24:25]
	;; [unrolled: 1-line block ×4, first 2 shown]
	ds_write2_b64 v128, v[26:27], v[28:29] offset1:67
	ds_write2_b64 v128, v[30:31], v[24:25] offset0:134 offset1:201
	s_waitcnt lgkmcnt(0)
	s_barrier
	ds_read2_b64 v[36:39], v129 offset1:1
	ds_read2_b64 v[32:35], v129 offset0:2 offset1:3
	v_lshl_add_u64 v[24:25], v[72:73], 0, v[52:53]
	s_waitcnt lgkmcnt(0)
	s_barrier
                                        ; implicit-def: $vgpr108_vgpr109
                                        ; implicit-def: $vgpr110_vgpr111
                                        ; implicit-def: $vgpr104_vgpr105
                                        ; implicit-def: $vgpr106_vgpr107
	s_cbranch_vccnz .LBB94_108
; %bb.99:                               ;   in Loop: Header=BB94_74 Depth=1
	v_cmp_gt_i32_e32 vcc, s16, v139
	v_mov_b64_e32 v[104:105], 0
	v_mov_b64_e32 v[106:107], 0
	s_and_saveexec_b64 s[14:15], vcc
	s_cbranch_execz .LBB94_101
; %bb.100:                              ;   in Loop: Header=BB94_74 Depth=1
	global_load_dwordx2 v[106:107], v[24:25], off
.LBB94_101:                             ;   in Loop: Header=BB94_74 Depth=1
	s_or_b64 exec, exec, s[14:15]
	v_cmp_gt_i32_e32 vcc, s16, v140
	s_and_saveexec_b64 s[14:15], vcc
	s_cbranch_execz .LBB94_103
; %bb.102:                              ;   in Loop: Header=BB94_74 Depth=1
	v_lshl_add_u64 v[26:27], v[74:75], 0, v[52:53]
	global_load_dwordx2 v[104:105], v[26:27], off
.LBB94_103:                             ;   in Loop: Header=BB94_74 Depth=1
	s_or_b64 exec, exec, s[14:15]
	v_cmp_gt_i32_e32 vcc, s16, v141
	v_mov_b64_e32 v[108:109], 0
	v_mov_b64_e32 v[110:111], 0
	s_and_saveexec_b64 s[14:15], vcc
	s_cbranch_execz .LBB94_105
; %bb.104:                              ;   in Loop: Header=BB94_74 Depth=1
	v_lshl_add_u64 v[26:27], v[76:77], 0, v[52:53]
	global_load_dwordx2 v[110:111], v[26:27], off
.LBB94_105:                             ;   in Loop: Header=BB94_74 Depth=1
	s_or_b64 exec, exec, s[14:15]
	v_cmp_gt_i32_e32 vcc, s16, v142
	s_and_saveexec_b64 s[14:15], vcc
	s_cbranch_execz .LBB94_107
; %bb.106:                              ;   in Loop: Header=BB94_74 Depth=1
	v_lshl_add_u64 v[26:27], v[78:79], 0, v[52:53]
	global_load_dwordx2 v[108:109], v[26:27], off
.LBB94_107:                             ;   in Loop: Header=BB94_74 Depth=1
	s_or_b64 exec, exec, s[14:15]
	s_mov_b64 s[14:15], 0
.LBB94_108:                             ;   in Loop: Header=BB94_74 Depth=1
	s_and_b64 vcc, exec, s[14:15]
	s_cbranch_vccz .LBB94_110
; %bb.109:                              ;   in Loop: Header=BB94_74 Depth=1
	global_load_dwordx2 v[106:107], v[24:25], off
	v_lshl_add_u64 v[24:25], v[74:75], 0, v[52:53]
	global_load_dwordx2 v[104:105], v[24:25], off
	v_lshl_add_u64 v[24:25], v[76:77], 0, v[52:53]
	;; [unrolled: 2-line block ×3, first 2 shown]
	global_load_dwordx2 v[108:109], v[24:25], off
.LBB94_110:                             ;   in Loop: Header=BB94_74 Depth=1
	ds_read_b64 v[40:41], v127
	ds_read_b128 v[28:31], v126 offset:256
	ds_read_b128 v[24:27], v126 offset:272
	v_lshl_add_u64 v[120:121], v[80:81], 0, v[52:53]
	s_and_b64 vcc, exec, s[4:5]
	s_waitcnt vmcnt(0) lgkmcnt(2)
	v_mul_f64 v[42:43], v[106:107], v[40:41]
	v_mul_f64 v[44:45], v[104:105], v[40:41]
	;; [unrolled: 1-line block ×4, first 2 shown]
	ds_write2_b64 v128, v[42:43], v[44:45] offset1:67
	ds_write2_b64 v128, v[46:47], v[40:41] offset0:134 offset1:201
	s_waitcnt lgkmcnt(0)
	s_barrier
	ds_read2_b64 v[44:47], v129 offset1:1
	ds_read2_b64 v[40:43], v129 offset0:2 offset1:3
	s_mov_b64 s[4:5], -1
	s_waitcnt lgkmcnt(0)
	s_barrier
                                        ; implicit-def: $vgpr116_vgpr117
                                        ; implicit-def: $vgpr118_vgpr119
                                        ; implicit-def: $vgpr112_vgpr113
                                        ; implicit-def: $vgpr114_vgpr115
	s_cbranch_vccnz .LBB94_120
; %bb.111:                              ;   in Loop: Header=BB94_74 Depth=1
	v_cmp_gt_i32_e32 vcc, s16, v143
	v_mov_b64_e32 v[112:113], 0
	v_mov_b64_e32 v[114:115], 0
	s_and_saveexec_b64 s[4:5], vcc
	s_cbranch_execz .LBB94_113
; %bb.112:                              ;   in Loop: Header=BB94_74 Depth=1
	global_load_dwordx2 v[114:115], v[120:121], off
.LBB94_113:                             ;   in Loop: Header=BB94_74 Depth=1
	s_or_b64 exec, exec, s[4:5]
	v_cmp_gt_i32_e32 vcc, s16, v144
	s_and_saveexec_b64 s[4:5], vcc
	s_cbranch_execz .LBB94_115
; %bb.114:                              ;   in Loop: Header=BB94_74 Depth=1
	v_lshl_add_u64 v[112:113], v[82:83], 0, v[52:53]
	global_load_dwordx2 v[112:113], v[112:113], off
.LBB94_115:                             ;   in Loop: Header=BB94_74 Depth=1
	s_or_b64 exec, exec, s[4:5]
	v_cmp_gt_i32_e32 vcc, s16, v146
	v_mov_b64_e32 v[116:117], 0
	v_mov_b64_e32 v[118:119], 0
	s_and_saveexec_b64 s[4:5], vcc
	s_cbranch_execz .LBB94_117
; %bb.116:                              ;   in Loop: Header=BB94_74 Depth=1
	v_lshl_add_u64 v[118:119], v[84:85], 0, v[52:53]
	global_load_dwordx2 v[118:119], v[118:119], off
.LBB94_117:                             ;   in Loop: Header=BB94_74 Depth=1
	s_or_b64 exec, exec, s[4:5]
	v_cmp_gt_i32_e32 vcc, s16, v147
	s_and_saveexec_b64 s[4:5], vcc
	s_cbranch_execz .LBB94_119
; %bb.118:                              ;   in Loop: Header=BB94_74 Depth=1
	v_lshl_add_u64 v[116:117], v[86:87], 0, v[52:53]
	global_load_dwordx2 v[116:117], v[116:117], off
.LBB94_119:                             ;   in Loop: Header=BB94_74 Depth=1
	s_or_b64 exec, exec, s[4:5]
	s_mov_b64 s[4:5], 0
.LBB94_120:                             ;   in Loop: Header=BB94_74 Depth=1
	s_and_b64 vcc, exec, s[4:5]
	s_cbranch_vccz .LBB94_122
; %bb.121:                              ;   in Loop: Header=BB94_74 Depth=1
	s_waitcnt vmcnt(0)
	v_lshl_add_u64 v[116:117], v[84:85], 0, v[52:53]
	v_lshl_add_u64 v[112:113], v[82:83], 0, v[52:53]
	global_load_dwordx2 v[118:119], v[116:117], off
	v_lshl_add_u64 v[116:117], v[86:87], 0, v[52:53]
	global_load_dwordx2 v[114:115], v[120:121], off
	s_nop 0
	global_load_dwordx2 v[112:113], v[112:113], off
	s_nop 0
	global_load_dwordx2 v[116:117], v[116:117], off
.LBB94_122:                             ;   in Loop: Header=BB94_74 Depth=1
	v_add_f64 v[44:45], v[44:45], 0
	v_add_f64 v[44:45], v[44:45], v[46:47]
	;; [unrolled: 1-line block ×4, first 2 shown]
	ds_read_b64 v[40:41], v127
	v_add_f64 v[36:37], v[36:37], 0
	v_add_f64 v[36:37], v[36:37], v[38:39]
	;; [unrolled: 1-line block ×4, first 2 shown]
	s_waitcnt vmcnt(0) lgkmcnt(0)
	v_mul_f64 v[42:43], v[114:115], v[40:41]
	v_mul_f64 v[120:121], v[112:113], v[40:41]
	ds_read_b128 v[36:39], v126 offset:384
	ds_read_b128 v[32:35], v126 offset:400
	ds_write2_b64 v128, v[42:43], v[120:121] offset1:67
	v_mul_f64 v[42:43], v[118:119], v[40:41]
	v_mul_f64 v[40:41], v[116:117], v[40:41]
	ds_write2_b64 v128, v[42:43], v[40:41] offset0:134 offset1:201
	s_waitcnt lgkmcnt(0)
	s_barrier
	ds_read2_b64 v[40:43], v129 offset1:1
	v_add_f64 v[20:21], v[20:21], 0
	v_add_f64 v[120:121], v[20:21], v[22:23]
	ds_read2_b64 v[20:23], v129 offset0:2 offset1:3
	v_add_f64 v[16:17], v[120:121], v[16:17]
	v_add_f64 v[16:17], v[16:17], v[18:19]
	s_waitcnt lgkmcnt(1)
	v_add_f64 v[18:19], v[40:41], 0
	v_cmp_gt_i32_e32 vcc, s16, v122
	v_add_f64 v[18:19], v[18:19], v[42:43]
	s_or_b64 s[4:5], s[12:13], vcc
	s_waitcnt lgkmcnt(0)
	v_add_f64 v[18:19], v[18:19], v[20:21]
	s_and_b64 s[12:13], s[6:7], s[4:5]
	v_add_f64 v[18:19], v[18:19], v[22:23]
	s_barrier
	ds_write2_b64 v145, v[16:17], v[46:47] offset1:16
	ds_write2_b64 v145, v[44:45], v[18:19] offset0:32 offset1:48
	s_waitcnt lgkmcnt(0)
	s_barrier
	s_and_saveexec_b64 s[4:5], s[12:13]
	s_cbranch_execz .LBB94_124
; %bb.123:                              ;   in Loop: Header=BB94_74 Depth=1
	ds_read2_b64 v[16:19], v130 offset1:1
	ds_read2_b64 v[20:23], v130 offset0:2 offset1:3
	ds_read2_b64 v[40:43], v130 offset0:4 offset1:5
	ds_read2_b64 v[44:47], v130 offset0:6 offset1:7
	ds_read2_b64 v[148:151], v130 offset0:8 offset1:9
	s_waitcnt lgkmcnt(4)
	v_add_f64 v[16:17], v[16:17], v[18:19]
	s_waitcnt lgkmcnt(3)
	v_add_f64 v[16:17], v[16:17], v[20:21]
	v_add_f64 v[16:17], v[16:17], v[22:23]
	s_waitcnt lgkmcnt(2)
	v_add_f64 v[16:17], v[16:17], v[40:41]
	;; [unrolled: 3-line block ×3, first 2 shown]
	ds_read2_b64 v[16:19], v130 offset0:10 offset1:11
	v_add_f64 v[20:21], v[20:21], v[46:47]
	s_waitcnt lgkmcnt(1)
	v_add_f64 v[20:21], v[20:21], v[148:149]
	v_add_f64 v[40:41], v[20:21], v[150:151]
	ds_read2_b64 v[20:23], v130 offset0:12 offset1:13
	s_waitcnt lgkmcnt(1)
	v_add_f64 v[16:17], v[40:41], v[16:17]
	ds_read_b64 v[40:41], v130 offset:112
	ds_read_b64 v[42:43], v131
	v_add_f64 v[16:17], v[16:17], v[18:19]
	v_add_u32_e32 v18, s21, v122
	s_waitcnt lgkmcnt(2)
	v_add_f64 v[16:17], v[16:17], v[20:21]
	v_add_f64 v[16:17], v[16:17], v[22:23]
	s_waitcnt lgkmcnt(1)
	v_add_f64 v[16:17], v[16:17], v[40:41]
	v_ashrrev_i32_e32 v19, 31, v18
	s_waitcnt lgkmcnt(0)
	v_add_f64 v[16:17], v[16:17], v[42:43]
	v_lshl_add_u64 v[18:19], v[18:19], 3, s[8:9]
	global_store_dwordx2 v[18:19], v[16:17], off
.LBB94_124:                             ;   in Loop: Header=BB94_74 Depth=1
	s_or_b64 exec, exec, s[4:5]
	v_fmac_f64_e32 v[50:51], v[90:91], v[4:5]
	v_fmac_f64_e32 v[50:51], v[88:89], v[6:7]
	;; [unrolled: 1-line block ×15, first 2 shown]
	s_add_i32 s4, s2, 1
	s_add_i32 s21, s21, 64
	;; [unrolled: 1-line block ×3, first 2 shown]
	v_fmac_f64_e32 v[50:51], v[116:117], v[34:35]
	v_lshl_add_u64 v[56:57], v[56:57], 0, s[10:11]
	v_lshl_add_u64 v[58:59], v[58:59], 0, s[10:11]
	;; [unrolled: 1-line block ×15, first 2 shown]
	s_cmp_ge_u32 s2, s33
	v_lshl_add_u64 v[86:87], v[86:87], 0, s[10:11]
	s_barrier
	s_cbranch_scc1 .LBB94_126
; %bb.125:                              ;   in Loop: Header=BB94_74 Depth=1
	s_mov_b32 s2, s4
	s_cmp_eq_u32 s3, s2
	s_cselect_b32 s16, s34, 0
	s_and_saveexec_b64 s[4:5], s[0:1]
	s_cbranch_execnz .LBB94_71
	s_branch .LBB94_74
.LBB94_126:
	s_movk_i32 s2, 0x218
	v_cmp_gt_i32_e32 vcc, s20, v122
	v_mad_u32_u24 v0, v123, s2, v52
	s_or_b64 s[2:3], s[18:19], vcc
	s_and_b64 s[0:1], s[0:1], s[2:3]
	ds_write_b64 v0, v[50:51]
	s_waitcnt lgkmcnt(0)
	s_barrier
	s_and_saveexec_b64 s[2:3], s[0:1]
	s_cbranch_execz .LBB94_128
; %bb.127:
	ds_read2_b64 v[0:3], v52 offset1:67
	ds_read2_b64 v[4:7], v52 offset0:134 offset1:201
	s_waitcnt lgkmcnt(1)
	v_add_f64 v[0:1], v[0:1], v[2:3]
	s_waitcnt lgkmcnt(0)
	v_add_f64 v[0:1], v[0:1], v[4:5]
	v_add_f64 v[0:1], v[0:1], v[6:7]
	v_lshl_add_u64 v[2:3], v[48:49], 3, s[8:9]
	global_store_dwordx2 v[2:3], v[0:1], off
.LBB94_128:
	s_endpgm
	.section	.rodata,"a",@progbits
	.p2align	6, 0x0
	.amdhsa_kernel _ZL26rocblas_hemvn_kernel_upperILb0ELi64ELi4ELi33ELi32ELi16ElPKdS1_PdEviT6_lT7_lT5_lS4_lS5_lS3_lT8_i
		.amdhsa_group_segment_fixed_size 9600
		.amdhsa_private_segment_fixed_size 0
		.amdhsa_kernarg_size 376
		.amdhsa_user_sgpr_count 2
		.amdhsa_user_sgpr_dispatch_ptr 0
		.amdhsa_user_sgpr_queue_ptr 0
		.amdhsa_user_sgpr_kernarg_segment_ptr 1
		.amdhsa_user_sgpr_dispatch_id 0
		.amdhsa_user_sgpr_kernarg_preload_length 0
		.amdhsa_user_sgpr_kernarg_preload_offset 0
		.amdhsa_user_sgpr_private_segment_size 0
		.amdhsa_uses_dynamic_stack 0
		.amdhsa_enable_private_segment 0
		.amdhsa_system_sgpr_workgroup_id_x 1
		.amdhsa_system_sgpr_workgroup_id_y 0
		.amdhsa_system_sgpr_workgroup_id_z 1
		.amdhsa_system_sgpr_workgroup_info 0
		.amdhsa_system_vgpr_workitem_id 1
		.amdhsa_next_free_vgpr 152
		.amdhsa_next_free_sgpr 38
		.amdhsa_accum_offset 152
		.amdhsa_reserve_vcc 1
		.amdhsa_float_round_mode_32 0
		.amdhsa_float_round_mode_16_64 0
		.amdhsa_float_denorm_mode_32 3
		.amdhsa_float_denorm_mode_16_64 3
		.amdhsa_dx10_clamp 1
		.amdhsa_ieee_mode 1
		.amdhsa_fp16_overflow 0
		.amdhsa_tg_split 0
		.amdhsa_exception_fp_ieee_invalid_op 0
		.amdhsa_exception_fp_denorm_src 0
		.amdhsa_exception_fp_ieee_div_zero 0
		.amdhsa_exception_fp_ieee_overflow 0
		.amdhsa_exception_fp_ieee_underflow 0
		.amdhsa_exception_fp_ieee_inexact 0
		.amdhsa_exception_int_div_zero 0
	.end_amdhsa_kernel
	.section	.text._ZL26rocblas_hemvn_kernel_upperILb0ELi64ELi4ELi33ELi32ELi16ElPKdS1_PdEviT6_lT7_lT5_lS4_lS5_lS3_lT8_i,"axG",@progbits,_ZL26rocblas_hemvn_kernel_upperILb0ELi64ELi4ELi33ELi32ELi16ElPKdS1_PdEviT6_lT7_lT5_lS4_lS5_lS3_lT8_i,comdat
.Lfunc_end94:
	.size	_ZL26rocblas_hemvn_kernel_upperILb0ELi64ELi4ELi33ELi32ELi16ElPKdS1_PdEviT6_lT7_lT5_lS4_lS5_lS3_lT8_i, .Lfunc_end94-_ZL26rocblas_hemvn_kernel_upperILb0ELi64ELi4ELi33ELi32ELi16ElPKdS1_PdEviT6_lT7_lT5_lS4_lS5_lS3_lT8_i
                                        ; -- End function
	.set _ZL26rocblas_hemvn_kernel_upperILb0ELi64ELi4ELi33ELi32ELi16ElPKdS1_PdEviT6_lT7_lT5_lS4_lS5_lS3_lT8_i.num_vgpr, 152
	.set _ZL26rocblas_hemvn_kernel_upperILb0ELi64ELi4ELi33ELi32ELi16ElPKdS1_PdEviT6_lT7_lT5_lS4_lS5_lS3_lT8_i.num_agpr, 0
	.set _ZL26rocblas_hemvn_kernel_upperILb0ELi64ELi4ELi33ELi32ELi16ElPKdS1_PdEviT6_lT7_lT5_lS4_lS5_lS3_lT8_i.numbered_sgpr, 38
	.set _ZL26rocblas_hemvn_kernel_upperILb0ELi64ELi4ELi33ELi32ELi16ElPKdS1_PdEviT6_lT7_lT5_lS4_lS5_lS3_lT8_i.num_named_barrier, 0
	.set _ZL26rocblas_hemvn_kernel_upperILb0ELi64ELi4ELi33ELi32ELi16ElPKdS1_PdEviT6_lT7_lT5_lS4_lS5_lS3_lT8_i.private_seg_size, 0
	.set _ZL26rocblas_hemvn_kernel_upperILb0ELi64ELi4ELi33ELi32ELi16ElPKdS1_PdEviT6_lT7_lT5_lS4_lS5_lS3_lT8_i.uses_vcc, 1
	.set _ZL26rocblas_hemvn_kernel_upperILb0ELi64ELi4ELi33ELi32ELi16ElPKdS1_PdEviT6_lT7_lT5_lS4_lS5_lS3_lT8_i.uses_flat_scratch, 0
	.set _ZL26rocblas_hemvn_kernel_upperILb0ELi64ELi4ELi33ELi32ELi16ElPKdS1_PdEviT6_lT7_lT5_lS4_lS5_lS3_lT8_i.has_dyn_sized_stack, 0
	.set _ZL26rocblas_hemvn_kernel_upperILb0ELi64ELi4ELi33ELi32ELi16ElPKdS1_PdEviT6_lT7_lT5_lS4_lS5_lS3_lT8_i.has_recursion, 0
	.set _ZL26rocblas_hemvn_kernel_upperILb0ELi64ELi4ELi33ELi32ELi16ElPKdS1_PdEviT6_lT7_lT5_lS4_lS5_lS3_lT8_i.has_indirect_call, 0
	.section	.AMDGPU.csdata,"",@progbits
; Kernel info:
; codeLenInByte = 7116
; TotalNumSgprs: 44
; NumVgprs: 152
; NumAgprs: 0
; TotalNumVgprs: 152
; ScratchSize: 0
; MemoryBound: 0
; FloatMode: 240
; IeeeMode: 1
; LDSByteSize: 9600 bytes/workgroup (compile time only)
; SGPRBlocks: 5
; VGPRBlocks: 18
; NumSGPRsForWavesPerEU: 44
; NumVGPRsForWavesPerEU: 152
; AccumOffset: 152
; Occupancy: 3
; WaveLimiterHint : 0
; COMPUTE_PGM_RSRC2:SCRATCH_EN: 0
; COMPUTE_PGM_RSRC2:USER_SGPR: 2
; COMPUTE_PGM_RSRC2:TRAP_HANDLER: 0
; COMPUTE_PGM_RSRC2:TGID_X_EN: 1
; COMPUTE_PGM_RSRC2:TGID_Y_EN: 0
; COMPUTE_PGM_RSRC2:TGID_Z_EN: 1
; COMPUTE_PGM_RSRC2:TIDIG_COMP_CNT: 1
; COMPUTE_PGM_RSRC3_GFX90A:ACCUM_OFFSET: 37
; COMPUTE_PGM_RSRC3_GFX90A:TG_SPLIT: 0
	.section	.text._ZL36rocblas_hemvn_kernel_upper_block_sumILi64ElPKdPddEviT1_lS3_lT2_lT0_lPT3_i,"axG",@progbits,_ZL36rocblas_hemvn_kernel_upper_block_sumILi64ElPKdPddEviT1_lS3_lT2_lT0_lPT3_i,comdat
	.globl	_ZL36rocblas_hemvn_kernel_upper_block_sumILi64ElPKdPddEviT1_lS3_lT2_lT0_lPT3_i ; -- Begin function _ZL36rocblas_hemvn_kernel_upper_block_sumILi64ElPKdPddEviT1_lS3_lT2_lT0_lPT3_i
	.p2align	8
	.type	_ZL36rocblas_hemvn_kernel_upper_block_sumILi64ElPKdPddEviT1_lS3_lT2_lT0_lPT3_i,@function
_ZL36rocblas_hemvn_kernel_upper_block_sumILi64ElPKdPddEviT1_lS3_lT2_lT0_lPT3_i: ; @_ZL36rocblas_hemvn_kernel_upper_block_sumILi64ElPKdPddEviT1_lS3_lT2_lT0_lPT3_i
; %bb.0:
	s_load_dwordx8 s[4:11], s[0:1], 0x8
	s_waitcnt lgkmcnt(0)
	s_mul_i32 s7, s7, s3
	s_mul_hi_u32 s12, s6, s3
	s_add_i32 s7, s12, s7
	s_mul_i32 s6, s6, s3
	s_lshl_b64 s[6:7], s[6:7], 3
	s_add_u32 s4, s4, s6
	s_addc_u32 s5, s5, s7
	s_load_dwordx2 s[12:13], s[4:5], 0x0
	s_mul_i32 s4, s11, s3
	s_mul_hi_u32 s5, s10, s3
	s_add_i32 s5, s5, s4
	s_mul_i32 s4, s10, s3
	s_lshl_b64 s[4:5], s[4:5], 3
	s_add_u32 s4, s8, s4
	s_addc_u32 s5, s9, s5
	s_load_dwordx2 s[14:15], s[4:5], 0x0
	s_waitcnt lgkmcnt(0)
	v_cmp_eq_f64_e64 s[4:5], s[12:13], 0
	v_cmp_eq_f64_e64 s[6:7], s[14:15], 1.0
	s_and_b64 s[4:5], s[4:5], s[6:7]
	s_and_b64 vcc, exec, s[4:5]
	s_cbranch_vccnz .LBB95_19
; %bb.1:
	s_load_dwordx8 s[4:11], s[0:1], 0x30
	s_load_dwordx2 s[16:17], s[0:1], 0x28
	s_load_dword s18, s[0:1], 0x0
	v_lshl_or_b32 v0, s2, 6, v0
	s_waitcnt lgkmcnt(0)
	s_mul_i32 s9, s9, s3
	s_mul_hi_u32 s19, s8, s3
	s_mul_i32 s8, s8, s3
	s_add_i32 s9, s19, s9
	s_lshl_b64 s[8:9], s[8:9], 3
	s_add_u32 s8, s16, s8
	s_addc_u32 s9, s17, s9
	s_lshl_b64 s[4:5], s[4:5], 3
	s_add_u32 s8, s8, s4
	s_addc_u32 s9, s9, s5
	v_cmp_neq_f64_e64 s[4:5], s[12:13], 0
	s_mov_b64 s[16:17], 0
	s_and_b64 vcc, exec, s[4:5]
	v_cmp_gt_i32_e64 s[4:5], s18, v0
	s_cbranch_vccnz .LBB95_6
; %bb.2:
	s_mov_b64 s[20:21], 0
                                        ; implicit-def: $vgpr2_vgpr3
                                        ; implicit-def: $vgpr4_vgpr5
	s_and_saveexec_b64 s[22:23], s[4:5]
	s_cbranch_execz .LBB95_7
; %bb.3:
	v_ashrrev_i32_e32 v1, 31, v0
	v_cmp_eq_f64_e64 s[4:5], s[14:15], 0
	v_mul_lo_u32 v6, s7, v0
	v_mul_lo_u32 v1, s6, v1
	v_mad_u64_u32 v[4:5], s[16:17], s6, v0, 0
	v_mov_b64_e32 v[2:3], 0
	v_add3_u32 v5, v5, v1, v6
	s_and_b64 vcc, exec, s[4:5]
	s_cbranch_vccnz .LBB95_5
; %bb.4:
	v_lshl_add_u64 v[2:3], v[4:5], 3, s[8:9]
	global_load_dwordx2 v[2:3], v[2:3], off
	s_waitcnt vmcnt(0)
	v_mul_f64 v[2:3], s[14:15], v[2:3]
.LBB95_5:
	s_mov_b64 s[16:17], exec
	s_or_b64 exec, exec, s[22:23]
	s_and_b64 vcc, exec, s[20:21]
	s_cbranch_vccnz .LBB95_8
	s_branch .LBB95_17
.LBB95_6:
                                        ; implicit-def: $vgpr2_vgpr3
                                        ; implicit-def: $vgpr4_vgpr5
	s_cbranch_execnz .LBB95_8
	s_branch .LBB95_17
.LBB95_7:
	s_or_b64 exec, exec, s[22:23]
	s_and_b64 vcc, exec, s[20:21]
	s_cbranch_vccz .LBB95_17
.LBB95_8:
	v_cmp_gt_i32_e32 vcc, s18, v0
                                        ; implicit-def: $vgpr2_vgpr3
                                        ; implicit-def: $vgpr4_vgpr5
	s_and_saveexec_b64 s[4:5], vcc
	s_cbranch_execz .LBB95_16
; %bb.9:
	v_ashrrev_i32_e32 v1, 31, v0
	s_cmp_lt_i32 s2, 0
	v_mov_b64_e32 v[6:7], 0
	s_cbranch_scc1 .LBB95_12
; %bb.10:
	s_load_dword s0, s[0:1], 0x58
	s_ashr_i32 s19, s18, 31
	s_mul_hi_u32 s1, s18, s3
	s_mul_i32 s20, s19, s3
	s_add_i32 s1, s1, s20
	s_mul_i32 s3, s18, s3
	s_waitcnt lgkmcnt(0)
	s_mul_i32 s1, s1, s0
	s_mul_hi_u32 s20, s3, s0
	s_add_i32 s1, s20, s1
	s_mul_i32 s0, s3, s0
	s_lshl_b64 s[0:1], s[0:1], 3
	s_add_u32 s0, s10, s0
	s_addc_u32 s1, s11, s1
	v_lshl_add_u64 v[2:3], v[0:1], 3, s[0:1]
	s_add_i32 s2, s2, 1
	s_lshl_b64 s[0:1], s[18:19], 3
	v_mov_b64_e32 v[6:7], 0
.LBB95_11:                              ; =>This Inner Loop Header: Depth=1
	global_load_dwordx2 v[4:5], v[2:3], off
	s_add_i32 s2, s2, -1
	v_lshl_add_u64 v[2:3], v[2:3], 0, s[0:1]
	s_cmp_eq_u32 s2, 0
	s_waitcnt vmcnt(0)
	v_add_f64 v[6:7], v[6:7], v[4:5]
	s_cbranch_scc0 .LBB95_11
.LBB95_12:
	v_cmp_eq_f64_e64 s[2:3], s[14:15], 0
	s_mov_b64 s[0:1], 0
	s_and_b64 vcc, exec, s[2:3]
	v_mul_lo_u32 v8, s7, v0
	v_mul_lo_u32 v1, s6, v1
	s_cbranch_vccz .LBB95_20
; %bb.13:
	v_mad_u64_u32 v[4:5], s[2:3], s6, v0, 0
	v_mul_f64 v[2:3], s[12:13], v[6:7]
	v_add3_u32 v5, v5, v1, v8
	s_andn2_b64 vcc, exec, s[0:1]
	s_cbranch_vccnz .LBB95_15
.LBB95_14:
	v_mad_u64_u32 v[4:5], s[0:1], s6, v0, 0
	v_add3_u32 v5, v5, v1, v8
	v_lshl_add_u64 v[0:1], v[4:5], 3, s[8:9]
	global_load_dwordx2 v[0:1], v[0:1], off
	s_waitcnt vmcnt(0)
	v_mul_f64 v[2:3], s[14:15], v[0:1]
	v_fmac_f64_e32 v[2:3], s[12:13], v[6:7]
.LBB95_15:
	s_or_b64 s[16:17], s[16:17], exec
.LBB95_16:
	s_or_b64 exec, exec, s[4:5]
.LBB95_17:
	s_and_saveexec_b64 s[0:1], s[16:17]
	s_cbranch_execz .LBB95_19
; %bb.18:
	v_lshl_add_u64 v[0:1], v[4:5], 3, s[8:9]
	global_store_dwordx2 v[0:1], v[2:3], off
.LBB95_19:
	s_endpgm
.LBB95_20:
                                        ; implicit-def: $vgpr2_vgpr3
                                        ; implicit-def: $vgpr4_vgpr5
	s_branch .LBB95_14
	.section	.rodata,"a",@progbits
	.p2align	6, 0x0
	.amdhsa_kernel _ZL36rocblas_hemvn_kernel_upper_block_sumILi64ElPKdPddEviT1_lS3_lT2_lT0_lPT3_i
		.amdhsa_group_segment_fixed_size 0
		.amdhsa_private_segment_fixed_size 0
		.amdhsa_kernarg_size 344
		.amdhsa_user_sgpr_count 2
		.amdhsa_user_sgpr_dispatch_ptr 0
		.amdhsa_user_sgpr_queue_ptr 0
		.amdhsa_user_sgpr_kernarg_segment_ptr 1
		.amdhsa_user_sgpr_dispatch_id 0
		.amdhsa_user_sgpr_kernarg_preload_length 0
		.amdhsa_user_sgpr_kernarg_preload_offset 0
		.amdhsa_user_sgpr_private_segment_size 0
		.amdhsa_uses_dynamic_stack 0
		.amdhsa_enable_private_segment 0
		.amdhsa_system_sgpr_workgroup_id_x 1
		.amdhsa_system_sgpr_workgroup_id_y 0
		.amdhsa_system_sgpr_workgroup_id_z 1
		.amdhsa_system_sgpr_workgroup_info 0
		.amdhsa_system_vgpr_workitem_id 0
		.amdhsa_next_free_vgpr 9
		.amdhsa_next_free_sgpr 24
		.amdhsa_accum_offset 12
		.amdhsa_reserve_vcc 1
		.amdhsa_float_round_mode_32 0
		.amdhsa_float_round_mode_16_64 0
		.amdhsa_float_denorm_mode_32 3
		.amdhsa_float_denorm_mode_16_64 3
		.amdhsa_dx10_clamp 1
		.amdhsa_ieee_mode 1
		.amdhsa_fp16_overflow 0
		.amdhsa_tg_split 0
		.amdhsa_exception_fp_ieee_invalid_op 0
		.amdhsa_exception_fp_denorm_src 0
		.amdhsa_exception_fp_ieee_div_zero 0
		.amdhsa_exception_fp_ieee_overflow 0
		.amdhsa_exception_fp_ieee_underflow 0
		.amdhsa_exception_fp_ieee_inexact 0
		.amdhsa_exception_int_div_zero 0
	.end_amdhsa_kernel
	.section	.text._ZL36rocblas_hemvn_kernel_upper_block_sumILi64ElPKdPddEviT1_lS3_lT2_lT0_lPT3_i,"axG",@progbits,_ZL36rocblas_hemvn_kernel_upper_block_sumILi64ElPKdPddEviT1_lS3_lT2_lT0_lPT3_i,comdat
.Lfunc_end95:
	.size	_ZL36rocblas_hemvn_kernel_upper_block_sumILi64ElPKdPddEviT1_lS3_lT2_lT0_lPT3_i, .Lfunc_end95-_ZL36rocblas_hemvn_kernel_upper_block_sumILi64ElPKdPddEviT1_lS3_lT2_lT0_lPT3_i
                                        ; -- End function
	.set _ZL36rocblas_hemvn_kernel_upper_block_sumILi64ElPKdPddEviT1_lS3_lT2_lT0_lPT3_i.num_vgpr, 9
	.set _ZL36rocblas_hemvn_kernel_upper_block_sumILi64ElPKdPddEviT1_lS3_lT2_lT0_lPT3_i.num_agpr, 0
	.set _ZL36rocblas_hemvn_kernel_upper_block_sumILi64ElPKdPddEviT1_lS3_lT2_lT0_lPT3_i.numbered_sgpr, 24
	.set _ZL36rocblas_hemvn_kernel_upper_block_sumILi64ElPKdPddEviT1_lS3_lT2_lT0_lPT3_i.num_named_barrier, 0
	.set _ZL36rocblas_hemvn_kernel_upper_block_sumILi64ElPKdPddEviT1_lS3_lT2_lT0_lPT3_i.private_seg_size, 0
	.set _ZL36rocblas_hemvn_kernel_upper_block_sumILi64ElPKdPddEviT1_lS3_lT2_lT0_lPT3_i.uses_vcc, 1
	.set _ZL36rocblas_hemvn_kernel_upper_block_sumILi64ElPKdPddEviT1_lS3_lT2_lT0_lPT3_i.uses_flat_scratch, 0
	.set _ZL36rocblas_hemvn_kernel_upper_block_sumILi64ElPKdPddEviT1_lS3_lT2_lT0_lPT3_i.has_dyn_sized_stack, 0
	.set _ZL36rocblas_hemvn_kernel_upper_block_sumILi64ElPKdPddEviT1_lS3_lT2_lT0_lPT3_i.has_recursion, 0
	.set _ZL36rocblas_hemvn_kernel_upper_block_sumILi64ElPKdPddEviT1_lS3_lT2_lT0_lPT3_i.has_indirect_call, 0
	.section	.AMDGPU.csdata,"",@progbits
; Kernel info:
; codeLenInByte = 660
; TotalNumSgprs: 30
; NumVgprs: 9
; NumAgprs: 0
; TotalNumVgprs: 9
; ScratchSize: 0
; MemoryBound: 0
; FloatMode: 240
; IeeeMode: 1
; LDSByteSize: 0 bytes/workgroup (compile time only)
; SGPRBlocks: 3
; VGPRBlocks: 1
; NumSGPRsForWavesPerEU: 30
; NumVGPRsForWavesPerEU: 9
; AccumOffset: 12
; Occupancy: 8
; WaveLimiterHint : 0
; COMPUTE_PGM_RSRC2:SCRATCH_EN: 0
; COMPUTE_PGM_RSRC2:USER_SGPR: 2
; COMPUTE_PGM_RSRC2:TRAP_HANDLER: 0
; COMPUTE_PGM_RSRC2:TGID_X_EN: 1
; COMPUTE_PGM_RSRC2:TGID_Y_EN: 0
; COMPUTE_PGM_RSRC2:TGID_Z_EN: 1
; COMPUTE_PGM_RSRC2:TIDIG_COMP_CNT: 0
; COMPUTE_PGM_RSRC3_GFX90A:ACCUM_OFFSET: 2
; COMPUTE_PGM_RSRC3_GFX90A:TG_SPLIT: 0
	.section	.text._ZL26rocblas_hemvn_kernel_upperILb0ELi64ELi4ELi33ELi32ELi16EiPKdS1_PdEviT6_lT7_lT5_lS4_lS5_lS3_lT8_i,"axG",@progbits,_ZL26rocblas_hemvn_kernel_upperILb0ELi64ELi4ELi33ELi32ELi16EiPKdS1_PdEviT6_lT7_lT5_lS4_lS5_lS3_lT8_i,comdat
	.globl	_ZL26rocblas_hemvn_kernel_upperILb0ELi64ELi4ELi33ELi32ELi16EiPKdS1_PdEviT6_lT7_lT5_lS4_lS5_lS3_lT8_i ; -- Begin function _ZL26rocblas_hemvn_kernel_upperILb0ELi64ELi4ELi33ELi32ELi16EiPKdS1_PdEviT6_lT7_lT5_lS4_lS5_lS3_lT8_i
	.p2align	8
	.type	_ZL26rocblas_hemvn_kernel_upperILb0ELi64ELi4ELi33ELi32ELi16EiPKdS1_PdEviT6_lT7_lT5_lS4_lS5_lS3_lT8_i,@function
_ZL26rocblas_hemvn_kernel_upperILb0ELi64ELi4ELi33ELi32ELi16EiPKdS1_PdEviT6_lT7_lT5_lS4_lS5_lS3_lT8_i: ; @_ZL26rocblas_hemvn_kernel_upperILb0ELi64ELi4ELi33ELi32ELi16EiPKdS1_PdEviT6_lT7_lT5_lS4_lS5_lS3_lT8_i
; %bb.0:
	s_load_dwordx2 s[4:5], s[0:1], 0x84
	s_add_u32 s20, s0, 0x78
	s_addc_u32 s21, s1, 0
	s_waitcnt lgkmcnt(0)
	s_lshr_b32 s6, s4, 16
	s_and_b32 s4, s4, 0xffff
	s_and_b32 s5, s5, 0xffff
	s_mul_i32 s4, s6, s4
	s_mul_i32 s4, s4, s5
	s_cmpk_lg_i32 s4, 0x100
	s_cbranch_scc1 .LBB96_128
; %bb.1:
	s_load_dwordx8 s[4:11], s[0:1], 0x8
	s_load_dwordx8 s[12:19], s[0:1], 0x50
	s_waitcnt lgkmcnt(0)
	s_mul_i32 s7, s7, s3
	s_mul_hi_u32 s22, s6, s3
	s_mul_i32 s6, s6, s3
	s_add_i32 s7, s22, s7
	s_lshl_b64 s[6:7], s[6:7], 3
	s_mul_i32 s17, s17, s3
	s_add_u32 s4, s4, s6
	s_mul_hi_u32 s6, s16, s3
	s_addc_u32 s5, s5, s7
	s_add_i32 s7, s6, s17
	s_mul_i32 s6, s16, s3
	s_lshl_b64 s[6:7], s[6:7], 3
	s_add_u32 s6, s14, s6
	s_addc_u32 s7, s15, s7
	s_load_dwordx2 s[4:5], s[4:5], 0x0
	s_waitcnt lgkmcnt(0)
	v_cmp_eq_f64_e64 s[4:5], s[4:5], 0
	s_load_dwordx2 s[6:7], s[6:7], 0x0
	s_waitcnt lgkmcnt(0)
	v_cmp_eq_f64_e64 s[6:7], s[6:7], 1.0
	s_and_b64 s[6:7], s[4:5], s[6:7]
	s_and_b64 vcc, exec, s[6:7]
	s_cbranch_vccnz .LBB96_128
; %bb.2:
	s_and_b64 vcc, exec, s[4:5]
	s_cbranch_vccnz .LBB96_128
; %bb.3:
	s_load_dword s33, s[20:21], 0x0
	s_load_dword s36, s[0:1], 0x0
	s_load_dwordx4 s[4:7], s[0:1], 0x30
	s_load_dwordx2 s[14:15], s[0:1], 0x40
	s_load_dword s35, s[0:1], 0x48
	s_mul_i32 s13, s13, s3
	s_mul_hi_u32 s16, s12, s3
	s_add_i32 s13, s16, s13
	s_mul_i32 s12, s12, s3
	s_lshl_b64 s[12:13], s[12:13], 3
	s_waitcnt lgkmcnt(0)
	s_add_u32 s12, s6, s12
	s_addc_u32 s13, s7, s13
	s_lshl_b64 s[6:7], s[14:15], 3
	s_add_u32 s6, s12, s6
	s_addc_u32 s7, s13, s7
	s_ashr_i32 s37, s36, 31
	s_lshr_b32 s13, s37, 26
	v_and_b32_e32 v50, 0x3ff, v0
	s_lshl_b32 s24, s2, 6
	s_add_i32 s13, s36, s13
	s_andn2_b32 s13, s13, 63
	v_add_u32_e32 v48, s24, v50
	v_bfe_u32 v49, v0, 10, 10
	s_add_i32 s12, s33, -1
	s_sub_i32 s34, s36, s13
	v_mul_lo_u32 v0, s35, v48
	s_cmp_eq_u32 s2, s12
	v_ashrrev_i32_e32 v1, 31, v0
	s_cselect_b32 s16, s34, 0
	v_lshl_add_u64 v[14:15], v[0:1], 3, s[6:7]
	v_cmp_eq_u32_e64 s[12:13], 0, v49
	s_and_saveexec_b64 s[6:7], s[12:13]
	s_cbranch_execz .LBB96_7
; %bb.4:
	s_cmp_eq_u32 s16, 0
	s_cselect_b64 s[14:15], -1, 0
	v_cmp_gt_i32_e32 vcc, s16, v50
	s_or_b64 s[20:21], s[14:15], vcc
	v_mov_b64_e32 v[0:1], 0
	s_and_saveexec_b64 s[14:15], s[20:21]
	s_cbranch_execz .LBB96_6
; %bb.5:
	global_load_dwordx2 v[0:1], v[14:15], off
.LBB96_6:
	s_or_b64 exec, exec, s[14:15]
	v_lshlrev_b32_e32 v2, 3, v50
	s_waitcnt vmcnt(0)
	ds_write_b64 v2, v[0:1] offset:9088
.LBB96_7:
	s_or_b64 exec, exec, s[6:7]
	s_mul_i32 s5, s5, s3
	s_mul_hi_u32 s6, s4, s3
	s_add_i32 s5, s6, s5
	s_mul_i32 s4, s4, s3
	s_lshl_b64 s[4:5], s[4:5], 3
	s_add_u32 s6, s8, s4
	s_addc_u32 s7, s9, s5
	s_lshl_b64 s[4:5], s[10:11], 3
	s_load_dword s22, s[0:1], 0x28
	s_add_u32 s4, s6, s4
	s_addc_u32 s5, s7, s5
	s_ashr_i32 s25, s24, 31
	v_lshl_add_u32 v22, v49, 6, v50
	s_lshl_b64 s[0:1], s[24:25], 3
	v_and_b32_e32 v2, 31, v50
	v_lshrrev_b32_e32 v10, 5, v22
	s_add_u32 s0, s4, s0
	s_addc_u32 s1, s5, s1
	s_waitcnt lgkmcnt(0)
	v_mad_u64_u32 v[12:13], s[4:5], s22, v10, v[2:3]
	v_ashrrev_i32_e32 v13, 31, v12
	v_lshl_add_u64 v[0:1], v[12:13], 3, s[0:1]
	s_mul_i32 s0, s22, s24
	s_ashr_i32 s1, s0, 31
	s_cmp_eq_u32 s16, 0
	s_cselect_b64 s[20:21], -1, 0
	s_cmp_lg_u32 s16, 0
	s_cselect_b64 s[28:29], -1, 0
	v_lshl_add_u64 v[6:7], s[0:1], 3, v[0:1]
	s_and_b64 vcc, exec, s[28:29]
	v_cmp_gt_i32_e64 s[0:1], s16, v2
	v_lshlrev_b32_e32 v0, 3, v2
	s_cbranch_vccz .LBB96_17
; %bb.8:
	v_sub_co_u32_e32 v4, vcc, v6, v0
	s_ashr_i32 s17, s16, 31
	s_nop 0
	v_subbrev_co_u32_e32 v5, vcc, 0, v7, vcc
	v_lshl_add_u64 v[4:5], s[16:17], 3, v[4:5]
	v_lshl_add_u64 v[4:5], v[4:5], 0, -8
	v_cndmask_b32_e64 v5, v5, v7, s[0:1]
	v_cndmask_b32_e64 v4, v4, v6, s[0:1]
	v_cmp_gt_i32_e32 vcc, s16, v10
	v_mov_b64_e32 v[8:9], 0
	v_mov_b64_e32 v[16:17], 0
	s_and_saveexec_b64 s[4:5], vcc
	s_cbranch_execz .LBB96_10
; %bb.9:
	global_load_dwordx2 v[16:17], v[4:5], off
.LBB96_10:
	s_or_b64 exec, exec, s[4:5]
	s_movk_i32 s4, 0x108
	v_mad_u32_u24 v3, v10, s4, v0
	s_waitcnt vmcnt(0)
	ds_write_b64 v3, v[16:17]
	v_add_u32_e32 v3, 8, v10
	v_mul_u32_u24_e32 v1, 0x108, v10
	v_cmp_gt_i32_e32 vcc, s16, v3
	s_and_saveexec_b64 s[4:5], vcc
	s_cbranch_execz .LBB96_12
; %bb.11:
	s_lshl_b32 s6, s22, 3
	s_ashr_i32 s7, s6, 31
	v_lshl_add_u64 v[8:9], s[6:7], 3, v[4:5]
	global_load_dwordx2 v[8:9], v[8:9], off
.LBB96_12:
	s_or_b64 exec, exec, s[4:5]
	v_add_u32_e32 v1, v1, v0
	v_add_u32_e32 v3, 16, v10
	s_waitcnt vmcnt(0)
	ds_write_b64 v1, v[8:9] offset:2112
	v_cmp_gt_i32_e32 vcc, s16, v3
	v_mov_b64_e32 v[8:9], 0
	v_mov_b64_e32 v[16:17], 0
	s_and_saveexec_b64 s[4:5], vcc
	s_cbranch_execz .LBB96_14
; %bb.13:
	s_lshl_b32 s6, s22, 4
	s_ashr_i32 s7, s6, 31
	v_lshl_add_u64 v[16:17], s[6:7], 3, v[4:5]
	global_load_dwordx2 v[16:17], v[16:17], off
.LBB96_14:
	s_or_b64 exec, exec, s[4:5]
	v_add_u32_e32 v3, 24, v10
	v_cmp_gt_i32_e32 vcc, s16, v3
	s_waitcnt vmcnt(0)
	ds_write_b64 v1, v[16:17] offset:4224
	s_and_saveexec_b64 s[4:5], vcc
	s_cbranch_execz .LBB96_16
; %bb.15:
	s_mul_i32 s6, s22, 24
	s_ashr_i32 s7, s6, 31
	v_lshl_add_u64 v[8:9], s[6:7], 3, v[4:5]
	global_load_dwordx2 v[8:9], v[8:9], off
.LBB96_16:
	s_or_b64 exec, exec, s[4:5]
	s_waitcnt vmcnt(0)
	ds_write_b64 v1, v[8:9] offset:6336
	v_mov_b32_e32 v1, 0
	v_lshl_add_u64 v[4:5], v[4:5], 0, v[0:1]
	s_lshl_b64 s[4:5], s[16:17], 3
	v_mov_b32_e32 v1, s5
	v_subrev_co_u32_e32 v4, vcc, s4, v4
	s_nop 1
	v_subb_co_u32_e32 v5, vcc, v5, v1, vcc
	v_lshl_add_u64 v[4:5], v[4:5], 0, 8
	v_cndmask_b32_e64 v5, v5, v7, s[0:1]
	v_cndmask_b32_e64 v4, v4, v6, s[0:1]
	s_branch .LBB96_19
.LBB96_17:
                                        ; implicit-def: $vgpr4_vgpr5
	s_cbranch_execz .LBB96_19
; %bb.18:
	s_lshl_b32 s0, s22, 3
	s_ashr_i32 s1, s0, 31
	s_ashr_i32 s23, s22, 31
	v_lshl_add_u64 v[4:5], s[0:1], 3, v[6:7]
	s_lshl_b64 s[0:1], s[22:23], 6
	v_lshl_add_u64 v[8:9], v[4:5], 0, s[0:1]
	v_lshl_add_u64 v[16:17], v[8:9], 0, s[0:1]
	global_load_dwordx2 v[18:19], v[6:7], off
	global_load_dwordx2 v[20:21], v[4:5], off
	;; [unrolled: 1-line block ×4, first 2 shown]
	v_mul_u32_u24_e32 v1, 0x108, v10
	v_lshl_add_u32 v1, v2, 3, v1
	v_mov_b64_e32 v[4:5], v[6:7]
	s_waitcnt vmcnt(3)
	ds_write_b64 v1, v[18:19]
	s_waitcnt vmcnt(2)
	ds_write_b64 v1, v[20:21] offset:2112
	s_waitcnt vmcnt(1)
	ds_write_b64 v1, v[24:25] offset:4224
	;; [unrolled: 2-line block ×3, first 2 shown]
.LBB96_19:
	v_lshlrev_b32_e32 v3, 2, v10
	v_lshl_or_b32 v1, v2, 8, v0
	v_cmp_gt_u32_e64 s[4:5], v3, v2
	v_lshl_add_u32 v1, v3, 3, v1
	s_waitcnt lgkmcnt(0)
	s_barrier
	s_and_saveexec_b64 s[0:1], s[4:5]
	s_cbranch_execz .LBB96_21
; %bb.20:
	s_movk_i32 s6, 0x420
	v_mad_u32_u24 v6, v10, s6, v0
	ds_read_b64 v[6:7], v6
	s_waitcnt lgkmcnt(0)
	ds_write_b64 v1, v[6:7]
.LBB96_21:
	s_or_b64 exec, exec, s[0:1]
	v_or_b32_e32 v11, 1, v3
	v_cmp_ge_u32_e64 s[6:7], v3, v2
	s_and_saveexec_b64 s[0:1], s[6:7]
	s_cbranch_execz .LBB96_23
; %bb.22:
	s_movk_i32 s8, 0x108
	v_mad_u32_u24 v6, v11, s8, v0
	ds_read_b64 v[6:7], v6
	s_waitcnt lgkmcnt(0)
	ds_write_b64 v1, v[6:7] offset:8
.LBB96_23:
	s_or_b64 exec, exec, s[0:1]
	v_or_b32_e32 v6, 2, v3
	v_cmp_gt_u32_e64 s[8:9], v6, v2
	s_and_saveexec_b64 s[0:1], s[8:9]
	s_cbranch_execz .LBB96_25
; %bb.24:
	s_movk_i32 s10, 0x108
	v_mad_u32_u24 v6, v6, s10, v0
	ds_read_b64 v[6:7], v6
	s_waitcnt lgkmcnt(0)
	ds_write_b64 v1, v[6:7] offset:16
.LBB96_25:
	s_or_b64 exec, exec, s[0:1]
	v_or_b32_e32 v7, 3, v3
	v_cmp_gt_u32_e64 s[10:11], v7, v2
	v_cmp_le_u32_e32 vcc, v7, v2
                                        ; implicit-def: $vgpr6
	s_and_saveexec_b64 s[0:1], vcc
	s_xor_b64 s[0:1], exec, s[0:1]
; %bb.26:
	v_mul_u32_u24_e32 v6, 0x108, v7
                                        ; implicit-def: $vgpr7
                                        ; implicit-def: $vgpr1
; %bb.27:
	s_andn2_saveexec_b64 s[0:1], s[0:1]
	s_cbranch_execz .LBB96_29
; %bb.28:
	s_movk_i32 s14, 0x108
	v_mad_u32_u24 v6, v7, s14, v0
	ds_read_b64 v[8:9], v6
	v_mul_u32_u24_e32 v6, 0x108, v7
	s_waitcnt lgkmcnt(0)
	ds_write_b64 v1, v[8:9] offset:24
.LBB96_29:
	s_or_b64 exec, exec, s[0:1]
	s_movk_i32 s0, 0x420
	v_mad_u32_u24 v1, v10, s0, v0
	s_movk_i32 s0, 0x108
	s_waitcnt lgkmcnt(0)
	s_barrier
	v_lshlrev_b32_e32 v16, 3, v3
	ds_read_b64 v[20:21], v1
	ds_read_b128 v[24:27], v16 offset:9088
	v_mad_u32_u24 v1, v11, s0, v0
	ds_read2_b64 v[28:31], v1 offset1:33
	v_add_u32_e32 v18, v0, v6
	ds_read_b128 v[6:9], v16 offset:9104
	ds_read_b64 v[32:33], v18
	s_waitcnt lgkmcnt(3)
	v_fma_f64 v[20:21], v[20:21], v[24:25], 0
	v_mul_u32_u24_e32 v1, 33, v2
	s_waitcnt lgkmcnt(2)
	v_fmac_f64_e32 v[20:21], v[28:29], v[26:27]
	s_waitcnt lgkmcnt(1)
	v_fmac_f64_e32 v[20:21], v[30:31], v[6:7]
	v_lshlrev_b32_e32 v23, 3, v1
	v_mov_b64_e32 v[52:53], 0
	s_waitcnt lgkmcnt(0)
	v_fmac_f64_e32 v[20:21], v[32:33], v[8:9]
	v_lshl_add_u32 v24, v10, 3, v23
	v_cmp_gt_u32_e64 s[0:1], 32, v22
	s_barrier
	ds_write_b64 v24, v[20:21]
	s_waitcnt lgkmcnt(0)
	s_barrier
	s_and_saveexec_b64 s[14:15], s[0:1]
	s_cbranch_execz .LBB96_31
; %bb.30:
	ds_read2_b64 v[6:9], v23 offset1:1
	ds_read2_b64 v[26:29], v23 offset0:2 offset1:3
	ds_read2_b64 v[30:33], v23 offset0:4 offset1:5
	s_waitcnt lgkmcnt(2)
	v_add_f64 v[20:21], v[6:7], v[8:9]
	ds_read2_b64 v[6:9], v23 offset0:6 offset1:7
	s_waitcnt lgkmcnt(2)
	v_add_f64 v[20:21], v[20:21], v[26:27]
	v_add_f64 v[20:21], v[20:21], v[28:29]
	s_waitcnt lgkmcnt(1)
	v_add_f64 v[20:21], v[20:21], v[30:31]
	v_add_f64 v[20:21], v[20:21], v[32:33]
	;; [unrolled: 3-line block ×3, first 2 shown]
.LBB96_31:
	s_or_b64 exec, exec, s[14:15]
	s_lshl_b32 s26, s22, 5
	s_ashr_i32 s27, s26, 31
	v_lshl_add_u64 v[8:9], s[26:27], 3, v[4:5]
	s_mov_b64 s[14:15], 0x100
	v_lshl_add_u64 v[6:7], v[8:9], 0, s[14:15]
	s_and_b64 vcc, exec, s[28:29]
	s_barrier
	s_cbranch_vccz .LBB96_41
; %bb.32:
	v_sub_co_u32_e32 v4, vcc, v8, v0
	s_ashr_i32 s17, s16, 31
	s_nop 0
	v_subbrev_co_u32_e32 v5, vcc, 0, v9, vcc
	v_or_b32_e32 v1, 32, v2
	v_lshl_add_u64 v[4:5], s[16:17], 3, v[4:5]
	v_lshl_add_u64 v[4:5], v[4:5], 0, -8
	v_cmp_gt_i32_e32 vcc, s16, v1
	s_sub_i32 s23, s16, 32
	v_cmp_gt_i32_e64 s[14:15], s23, v10
	v_cndmask_b32_e32 v5, v5, v7, vcc
	v_cndmask_b32_e32 v4, v4, v6, vcc
	v_mov_b64_e32 v[20:21], 0
	v_mov_b64_e32 v[26:27], 0
	s_and_saveexec_b64 s[30:31], s[14:15]
	s_cbranch_execz .LBB96_34
; %bb.33:
	global_load_dwordx2 v[26:27], v[4:5], off
.LBB96_34:
	s_or_b64 exec, exec, s[30:31]
	s_movk_i32 s14, 0x108
	v_mad_u32_u24 v17, v10, s14, v0
	s_waitcnt vmcnt(0)
	ds_write_b64 v17, v[26:27]
	v_add_u32_e32 v17, 8, v10
	v_mul_u32_u24_e32 v1, 0x108, v10
	v_cmp_gt_i32_e64 s[14:15], s23, v17
	s_and_saveexec_b64 s[30:31], s[14:15]
	s_cbranch_execz .LBB96_36
; %bb.35:
	s_lshl_b32 s14, s22, 3
	s_ashr_i32 s15, s14, 31
	v_lshl_add_u64 v[20:21], s[14:15], 3, v[4:5]
	global_load_dwordx2 v[20:21], v[20:21], off
.LBB96_36:
	s_or_b64 exec, exec, s[30:31]
	v_add_u32_e32 v1, v1, v0
	v_add_u32_e32 v17, 16, v10
	s_waitcnt vmcnt(0)
	ds_write_b64 v1, v[20:21] offset:2112
	v_cmp_gt_i32_e64 s[14:15], s23, v17
	v_mov_b64_e32 v[20:21], 0
	v_mov_b64_e32 v[26:27], 0
	s_and_saveexec_b64 s[30:31], s[14:15]
	s_cbranch_execz .LBB96_38
; %bb.37:
	s_lshl_b32 s14, s22, 4
	s_ashr_i32 s15, s14, 31
	v_lshl_add_u64 v[26:27], s[14:15], 3, v[4:5]
	global_load_dwordx2 v[26:27], v[26:27], off
.LBB96_38:
	s_or_b64 exec, exec, s[30:31]
	v_add_u32_e32 v17, 24, v10
	v_cmp_gt_i32_e64 s[14:15], s23, v17
	s_waitcnt vmcnt(0)
	ds_write_b64 v1, v[26:27] offset:4224
	s_and_saveexec_b64 s[30:31], s[14:15]
	s_cbranch_execz .LBB96_40
; %bb.39:
	s_mul_i32 s14, s22, 24
	s_ashr_i32 s15, s14, 31
	v_lshl_add_u64 v[20:21], s[14:15], 3, v[4:5]
	global_load_dwordx2 v[20:21], v[20:21], off
.LBB96_40:
	s_or_b64 exec, exec, s[30:31]
	s_waitcnt vmcnt(0)
	ds_write_b64 v1, v[20:21] offset:6336
	v_mov_b32_e32 v1, 0
	v_lshl_add_u64 v[4:5], v[4:5], 0, v[0:1]
	s_lshl_b64 s[14:15], s[16:17], 3
	v_mov_b32_e32 v1, s15
	v_subrev_co_u32_e64 v4, s[14:15], s14, v4
	s_nop 1
	v_subb_co_u32_e64 v5, s[14:15], v5, v1, s[14:15]
	s_mov_b64 s[14:15], 0x108
	s_nop 0
	v_lshl_add_u64 v[4:5], v[4:5], 0, s[14:15]
	v_cndmask_b32_e32 v5, v5, v7, vcc
	v_cndmask_b32_e32 v4, v4, v6, vcc
	v_mul_u32_u24_e32 v1, 0x420, v10
	s_branch .LBB96_43
.LBB96_41:
                                        ; implicit-def: $vgpr4_vgpr5
	v_mul_u32_u24_e32 v1, 0x420, v10
	s_cbranch_execz .LBB96_43
; %bb.42:
	s_lshl_b32 s14, s22, 3
	s_ashr_i32 s15, s14, 31
	s_ashr_i32 s23, s22, 31
	v_lshl_add_u64 v[4:5], s[14:15], 3, v[8:9]
	s_lshl_b64 s[14:15], s[22:23], 6
	v_lshl_add_u64 v[20:21], v[4:5], 0, s[14:15]
	v_lshl_add_u64 v[26:27], v[20:21], 0, s[14:15]
	global_load_dwordx2 v[28:29], v[8:9], off offset:256
	global_load_dwordx2 v[30:31], v[4:5], off offset:256
	;; [unrolled: 1-line block ×4, first 2 shown]
	s_movk_i32 s14, 0x108
	v_mad_u32_u24 v4, v10, s14, v0
	s_waitcnt vmcnt(3)
	ds_write_b64 v4, v[28:29]
	s_waitcnt vmcnt(2)
	ds_write_b64 v4, v[30:31] offset:2112
	s_waitcnt vmcnt(1)
	ds_write_b64 v4, v[32:33] offset:4224
	;; [unrolled: 2-line block ×3, first 2 shown]
	v_mov_b64_e32 v[4:5], v[6:7]
.LBB96_43:
	v_mul_u32_u24_e32 v6, 0x108, v11
	v_add_u32_e32 v8, v0, v1
	v_lshl_add_u32 v1, v3, 3, v23
	s_waitcnt lgkmcnt(0)
	s_barrier
	s_and_saveexec_b64 s[14:15], s[4:5]
	s_cbranch_execnz .LBB96_60
; %bb.44:
	s_or_b64 exec, exec, s[14:15]
	v_add_u32_e32 v19, v0, v6
	s_and_saveexec_b64 s[4:5], s[6:7]
	s_cbranch_execnz .LBB96_61
.LBB96_45:
	s_or_b64 exec, exec, s[4:5]
	s_and_saveexec_b64 s[4:5], s[8:9]
	s_cbranch_execnz .LBB96_62
.LBB96_46:
	s_or_b64 exec, exec, s[4:5]
	v_add_u32_e32 v25, 0x2380, v16
	s_and_saveexec_b64 s[4:5], s[10:11]
	s_cbranch_execz .LBB96_48
.LBB96_47:
	ds_read_b64 v[6:7], v18
	s_waitcnt lgkmcnt(0)
	ds_write_b64 v1, v[6:7] offset:24
.LBB96_48:
	s_or_b64 exec, exec, s[4:5]
	s_waitcnt lgkmcnt(0)
	s_barrier
	ds_read_b64 v[6:7], v8
	ds_read_b128 v[26:29], v25 offset:256
	ds_read2_b64 v[30:33], v19 offset1:33
	ds_read_b128 v[34:37], v25 offset:272
	ds_read_b64 v[16:17], v18
	v_cmp_eq_u32_e64 s[4:5], 1, v10
	s_waitcnt lgkmcnt(3)
	v_fma_f64 v[6:7], v[6:7], v[26:27], 0
	s_waitcnt lgkmcnt(2)
	v_fmac_f64_e32 v[6:7], v[30:31], v[28:29]
	s_waitcnt lgkmcnt(1)
	v_fmac_f64_e32 v[6:7], v[32:33], v[34:35]
	;; [unrolled: 2-line block ×3, first 2 shown]
	s_barrier
	ds_write_b64 v24, v[6:7]
	s_waitcnt lgkmcnt(0)
	s_barrier
	s_and_saveexec_b64 s[6:7], s[4:5]
	s_cbranch_execz .LBB96_50
; %bb.49:
	ds_read2_b64 v[26:29], v23 offset1:1
	ds_read2_b64 v[30:33], v23 offset0:2 offset1:3
	ds_read2_b64 v[34:37], v23 offset0:4 offset1:5
	s_waitcnt lgkmcnt(2)
	v_add_f64 v[6:7], v[26:27], v[28:29]
	ds_read2_b64 v[26:29], v23 offset0:6 offset1:7
	s_waitcnt lgkmcnt(2)
	v_add_f64 v[6:7], v[6:7], v[30:31]
	v_add_f64 v[6:7], v[6:7], v[32:33]
	s_waitcnt lgkmcnt(1)
	v_add_f64 v[6:7], v[6:7], v[34:35]
	v_add_f64 v[6:7], v[6:7], v[36:37]
	;; [unrolled: 3-line block ×3, first 2 shown]
.LBB96_50:
	s_or_b64 exec, exec, s[6:7]
	s_movk_i32 s6, 0xff00
	s_mov_b32 s7, -1
	v_lshl_add_u64 v[6:7], v[4:5], 0, s[6:7]
	s_and_b64 vcc, exec, s[28:29]
	s_barrier
	s_cbranch_vccz .LBB96_63
; %bb.51:
	v_sub_co_u32_e32 v16, vcc, v4, v0
	s_ashr_i32 s17, s16, 31
	s_nop 0
	v_subbrev_co_u32_e32 v17, vcc, 0, v5, vcc
	s_movk_i32 s6, 0xfef8
	v_lshl_add_u64 v[16:17], s[16:17], 3, v[16:17]
	s_mov_b32 s7, -1
	v_lshl_add_u64 v[16:17], v[16:17], 0, s[6:7]
	v_cmp_gt_i32_e32 vcc, s16, v2
	s_sub_i32 s10, s16, 32
	v_cmp_gt_i32_e64 s[6:7], s10, v10
	v_cndmask_b32_e32 v3, v17, v7, vcc
	v_cndmask_b32_e32 v2, v16, v6, vcc
	v_mov_b64_e32 v[16:17], 0
	v_mov_b64_e32 v[20:21], 0
	s_and_saveexec_b64 s[8:9], s[6:7]
	s_cbranch_execz .LBB96_53
; %bb.52:
	global_load_dwordx2 v[20:21], v[2:3], off
.LBB96_53:
	s_or_b64 exec, exec, s[8:9]
	s_movk_i32 s6, 0x108
	v_mad_u32_u24 v9, v10, s6, v0
	s_waitcnt vmcnt(0)
	ds_write_b64 v9, v[20:21]
	v_add_u32_e32 v9, 8, v10
	v_mul_u32_u24_e32 v1, 0x108, v10
	v_cmp_gt_i32_e64 s[6:7], s10, v9
	s_and_saveexec_b64 s[8:9], s[6:7]
	s_cbranch_execz .LBB96_55
; %bb.54:
	s_lshl_b32 s6, s22, 3
	s_ashr_i32 s7, s6, 31
	v_lshl_add_u64 v[16:17], s[6:7], 3, v[2:3]
	global_load_dwordx2 v[16:17], v[16:17], off
.LBB96_55:
	s_or_b64 exec, exec, s[8:9]
	v_add_u32_e32 v1, v1, v0
	v_add_u32_e32 v11, 16, v10
	s_waitcnt vmcnt(0)
	ds_write_b64 v1, v[16:17] offset:2112
	v_cmp_gt_i32_e64 s[6:7], s10, v11
	v_mov_b64_e32 v[16:17], 0
	v_mov_b64_e32 v[20:21], 0
	s_and_saveexec_b64 s[8:9], s[6:7]
	s_cbranch_execz .LBB96_57
; %bb.56:
	s_lshl_b32 s6, s22, 4
	s_ashr_i32 s7, s6, 31
	v_lshl_add_u64 v[20:21], s[6:7], 3, v[2:3]
	global_load_dwordx2 v[20:21], v[20:21], off
.LBB96_57:
	s_or_b64 exec, exec, s[8:9]
	s_waitcnt vmcnt(0)
	ds_write_b64 v1, v[20:21] offset:4224
	v_add_u32_e32 v20, 24, v10
	v_cmp_gt_i32_e64 s[6:7], s10, v20
	s_and_saveexec_b64 s[8:9], s[6:7]
	s_cbranch_execz .LBB96_59
; %bb.58:
	s_mul_i32 s6, s22, 24
	s_ashr_i32 s7, s6, 31
	v_lshl_add_u64 v[16:17], s[6:7], 3, v[2:3]
	global_load_dwordx2 v[16:17], v[16:17], off
.LBB96_59:
	s_or_b64 exec, exec, s[8:9]
	s_waitcnt vmcnt(0)
	ds_write_b64 v1, v[16:17] offset:6336
	v_mov_b32_e32 v1, 0
	v_lshl_add_u64 v[2:3], v[2:3], 0, v[0:1]
	s_lshl_b64 s[6:7], s[16:17], 3
	v_mov_b32_e32 v1, s7
	v_subrev_co_u32_e64 v2, s[6:7], s6, v2
	s_nop 1
	v_subb_co_u32_e64 v3, s[6:7], v3, v1, s[6:7]
	v_lshl_add_u64 v[2:3], v[2:3], 0, 8
	v_cndmask_b32_e32 v17, v3, v7, vcc
	v_cndmask_b32_e32 v16, v2, v6, vcc
	s_branch .LBB96_65
.LBB96_60:
	ds_read_b64 v[20:21], v8
	s_waitcnt lgkmcnt(0)
	ds_write_b64 v1, v[20:21]
	s_or_b64 exec, exec, s[14:15]
	v_add_u32_e32 v19, v0, v6
	s_and_saveexec_b64 s[4:5], s[6:7]
	s_cbranch_execz .LBB96_45
.LBB96_61:
	ds_read_b64 v[6:7], v19
	s_waitcnt lgkmcnt(0)
	ds_write_b64 v1, v[6:7] offset:8
	s_or_b64 exec, exec, s[4:5]
	s_and_saveexec_b64 s[4:5], s[8:9]
	s_cbranch_execz .LBB96_46
.LBB96_62:
	ds_read_b64 v[6:7], v19 offset:264
	s_waitcnt lgkmcnt(0)
	ds_write_b64 v1, v[6:7] offset:16
	s_or_b64 exec, exec, s[4:5]
	v_add_u32_e32 v25, 0x2380, v16
	s_and_saveexec_b64 s[4:5], s[10:11]
	s_cbranch_execnz .LBB96_47
	s_branch .LBB96_48
.LBB96_63:
                                        ; implicit-def: $vgpr16_vgpr17
                                        ; implicit-def: $vgpr9
                                        ; implicit-def: $vgpr11
                                        ; implicit-def: $vgpr20
	s_cbranch_execz .LBB96_65
; %bb.64:
	s_lshl_b32 s6, s22, 3
	s_ashr_i32 s7, s6, 31
	s_ashr_i32 s23, s22, 31
	v_lshl_add_u64 v[2:3], s[6:7], 3, v[4:5]
	s_lshl_b64 s[6:7], s[22:23], 6
	v_lshl_add_u64 v[16:17], v[2:3], 0, s[6:7]
	v_lshl_add_u64 v[20:21], v[16:17], 0, s[6:7]
	global_load_dwordx2 v[26:27], v[4:5], off offset:-256
	global_load_dwordx2 v[28:29], v[2:3], off offset:-256
	;; [unrolled: 1-line block ×4, first 2 shown]
	s_movk_i32 s6, 0x108
	v_add_u32_e32 v9, 8, v10
	v_add_u32_e32 v11, 16, v10
	;; [unrolled: 1-line block ×3, first 2 shown]
	v_mad_u32_u24 v0, v10, s6, v0
	v_mov_b64_e32 v[16:17], v[6:7]
	s_waitcnt vmcnt(3)
	ds_write_b64 v0, v[26:27]
	s_waitcnt vmcnt(2)
	ds_write_b64 v0, v[28:29] offset:2112
	s_waitcnt vmcnt(1)
	ds_write_b64 v0, v[30:31] offset:4224
	;; [unrolled: 2-line block ×3, first 2 shown]
.LBB96_65:
	v_lshlrev_b32_e32 v0, 3, v10
	v_add_u32_e32 v1, v23, v0
	s_waitcnt lgkmcnt(0)
	s_barrier
	v_lshlrev_b32_e32 v2, 3, v9
	ds_read_b64 v[26:27], v1
	ds_read_b64 v[28:29], v2 offset:9088
	ds_read_b64 v[30:31], v0 offset:9088
	v_add_u32_e32 v0, v23, v2
	v_lshlrev_b32_e32 v1, 3, v11
	v_add_u32_e32 v2, v23, v1
	v_lshlrev_b32_e32 v3, 3, v20
	ds_read_b64 v[32:33], v0
	ds_read_b64 v[34:35], v2
	ds_read_b64 v[36:37], v3 offset:9088
	ds_read_b64 v[38:39], v1 offset:9088
	s_waitcnt lgkmcnt(4)
	v_fma_f64 v[26:27], v[26:27], v[30:31], 0
	s_waitcnt lgkmcnt(3)
	v_fmac_f64_e32 v[26:27], v[32:33], v[28:29]
	v_add_u32_e32 v0, v23, v3
	ds_read_b64 v[40:41], v0
	ds_read_b64 v[20:21], v8
	ds_read_b128 v[8:11], v25 offset:256
	ds_read_b128 v[0:3], v25 offset:272
	ds_read2_b64 v[4:7], v19 offset1:33
	ds_read_b64 v[18:19], v18
	s_waitcnt lgkmcnt(6)
	v_fmac_f64_e32 v[26:27], v[34:35], v[38:39]
	s_waitcnt lgkmcnt(5)
	v_fmac_f64_e32 v[26:27], v[40:41], v[36:37]
	s_waitcnt lgkmcnt(0)
	s_barrier
	ds_write_b64 v24, v[26:27]
	s_waitcnt lgkmcnt(0)
	s_barrier
	s_and_saveexec_b64 s[6:7], s[4:5]
	s_cbranch_execz .LBB96_67
; %bb.66:
	ds_read2_b64 v[26:29], v23 offset1:1
	ds_read2_b64 v[30:33], v23 offset0:2 offset1:3
	ds_read2_b64 v[34:37], v23 offset0:4 offset1:5
	s_waitcnt lgkmcnt(2)
	v_add_f64 v[26:27], v[52:53], v[26:27]
	v_add_f64 v[38:39], v[26:27], v[28:29]
	ds_read2_b64 v[26:29], v23 offset0:6 offset1:7
	s_waitcnt lgkmcnt(2)
	v_add_f64 v[30:31], v[38:39], v[30:31]
	v_add_f64 v[30:31], v[30:31], v[32:33]
	s_waitcnt lgkmcnt(1)
	v_add_f64 v[30:31], v[30:31], v[34:35]
	v_add_f64 v[30:31], v[30:31], v[36:37]
	;; [unrolled: 3-line block ×3, first 2 shown]
.LBB96_67:
	s_or_b64 exec, exec, s[6:7]
	v_fma_f64 v[8:9], v[20:21], v[8:9], 0
	v_fmac_f64_e32 v[8:9], v[4:5], v[10:11]
	v_fmac_f64_e32 v[8:9], v[6:7], v[0:1]
	v_fmac_f64_e32 v[8:9], v[18:19], v[2:3]
	s_barrier
	ds_write_b64 v24, v[8:9]
	s_waitcnt lgkmcnt(0)
	s_barrier
	s_and_saveexec_b64 s[4:5], s[0:1]
	s_cbranch_execz .LBB96_69
; %bb.68:
	ds_read2_b64 v[0:3], v23 offset1:1
	ds_read2_b64 v[4:7], v23 offset0:2 offset1:3
	ds_read2_b64 v[8:11], v23 offset0:4 offset1:5
	s_waitcnt lgkmcnt(2)
	v_add_f64 v[0:1], v[52:53], v[0:1]
	v_add_f64 v[18:19], v[0:1], v[2:3]
	ds_read2_b64 v[0:3], v23 offset0:6 offset1:7
	s_waitcnt lgkmcnt(2)
	v_add_f64 v[4:5], v[18:19], v[4:5]
	v_add_f64 v[4:5], v[4:5], v[6:7]
	s_waitcnt lgkmcnt(1)
	v_add_f64 v[4:5], v[4:5], v[8:9]
	v_add_f64 v[4:5], v[4:5], v[10:11]
	;; [unrolled: 3-line block ×3, first 2 shown]
.LBB96_69:
	s_or_b64 exec, exec, s[4:5]
	s_mul_hi_u32 s0, s36, s3
	s_mul_i32 s37, s37, s3
	s_add_i32 s0, s0, s37
	s_mul_i32 s3, s36, s3
	s_mul_i32 s0, s0, s33
	s_mul_hi_u32 s1, s3, s33
	s_add_i32 s1, s1, s0
	s_mul_i32 s0, s3, s33
	s_lshl_b64 s[0:1], s[0:1], 3
	s_add_u32 s3, s18, s0
	s_addc_u32 s4, s19, s1
	s_mul_hi_i32 s1, s36, s2
	s_mul_i32 s0, s36, s2
	s_lshl_b64 s[0:1], s[0:1], 3
	s_add_u32 s6, s3, s0
	s_addc_u32 s7, s4, s1
	s_add_i32 s8, s2, 1
	s_cmp_ge_u32 s8, s33
	v_lshlrev_b32_e32 v51, 3, v50
	s_barrier
	s_cbranch_scc1 .LBB96_126
; %bb.70:
	s_mul_i32 s0, s35, s24
	s_ashr_i32 s1, s0, 31
	s_lshl_b64 s[0:1], s[0:1], 3
	v_lshrrev_b32_e32 v2, 4, v22
	v_mov_b32_e32 v4, 0x2180
	v_lshlrev_b32_e32 v144, 2, v49
	v_mov_b32_e32 v0, s1
	v_subrev_co_u32_e32 v54, vcc, s0, v14
	v_lshl_add_u32 v145, v49, 5, v4
	v_lshlrev_b32_e32 v4, 5, v2
	v_mul_i32_i24_e32 v8, 0xffffffe8, v2
	v_and_b32_e32 v2, 48, v50
	v_subb_co_u32_e32 v55, vcc, v15, v0, vcc
	v_and_b32_e32 v3, 15, v50
	v_mad_u64_u32 v[0:1], s[0:1], s22, v144, v[50:51]
	s_movk_i32 s10, 0x218
	v_lshlrev_b32_e32 v2, 3, v2
	v_ashrrev_i32_e32 v1, 31, v0
	v_mad_u32_u24 v147, v3, s10, v2
	v_or_b32_e32 v2, 0x78, v51
	v_mad_u32_u24 v146, v3, s10, v4
	s_lshl_b32 s4, s22, 4
	v_mad_u32_u24 v148, v3, s10, v2
	v_lshlrev_b64 v[2:3], 3, v[0:1]
	s_lshl_b32 s17, s35, 6
	s_ashr_i32 s5, s4, 31
	s_ashr_i32 s23, s22, 31
	s_lshl_b32 s28, s22, 1
	s_mul_i32 s30, s22, 3
	s_mul_i32 s35, s35, s8
	v_mad_i64_i32 v[60:61], s[24:25], v12, -8, v[2:3]
	s_lshl_b64 s[14:15], s[26:27], 3
	s_add_i32 s3, s33, -2
	s_ashr_i32 s29, s28, 31
	s_ashr_i32 s31, s30, 31
	s_lshl_b64 s[18:19], s[22:23], 3
	s_lshl_b32 s8, s35, 6
	v_lshlrev_b64 v[4:5], 3, v[12:13]
	s_lshl_b64 s[10:11], s[4:5], 5
	s_lshl_b64 s[24:25], s[22:23], 4
	v_lshl_add_u64 v[2:3], s[26:27], 0, v[0:1]
	v_sub_co_u32_e32 v58, vcc, 0, v4
	s_add_u32 s36, s24, s14
	v_lshlrev_b64 v[2:3], 3, v[2:3]
	v_subb_co_u32_e32 v59, vcc, 0, v5, vcc
	s_addc_u32 s37, s25, s15
	v_mad_i64_i32 v[4:5], s[38:39], s22, 24, v[2:3]
	s_add_u32 s38, s18, s14
	s_addc_u32 s39, s19, s15
	s_lshl_b64 s[28:29], s[28:29], 3
	s_add_u32 s40, s14, s28
	s_addc_u32 s41, s15, s29
	s_lshl_b64 s[30:31], s[30:31], 3
	v_lshl_add_u64 v[68:69], v[16:17], 0, s[40:41]
	s_add_u32 s40, s14, s30
	s_addc_u32 s41, s15, s31
	v_lshl_add_u64 v[70:71], v[16:17], 0, s[40:41]
	s_lshl_b64 s[40:41], s[4:5], 3
	s_add_u32 s42, s14, s40
	s_addc_u32 s43, s15, s41
	v_lshl_add_u64 v[66:67], v[16:17], 0, s[38:39]
	s_add_u32 s38, s38, s40
	s_addc_u32 s39, s39, s41
	v_lshl_add_u64 v[74:75], v[16:17], 0, s[38:39]
	;; [unrolled: 3-line block ×4, first 2 shown]
	s_add_u32 s38, s36, s40
	s_addc_u32 s39, s37, s41
	s_add_u32 s26, s26, s4
	s_addc_u32 s27, s27, s5
	v_lshl_add_u64 v[0:1], s[26:27], 0, v[0:1]
	v_lshlrev_b64 v[0:1], 3, v[0:1]
	v_mad_i64_i32 v[0:1], s[26:27], s22, 24, v[0:1]
	s_lshl_b64 s[26:27], s[4:5], 4
	v_lshl_add_u64 v[56:57], v[16:17], 0, s[14:15]
	s_add_u32 s14, s26, s14
	s_addc_u32 s15, s27, s15
	v_lshl_add_u64 v[80:81], v[16:17], 0, s[38:39]
	s_add_u32 s38, s14, s18
	s_addc_u32 s39, s15, s19
	s_add_u32 s40, s14, s28
	s_addc_u32 s41, s15, s29
	v_lshl_add_u64 v[84:85], v[16:17], 0, s[14:15]
	s_add_u32 s14, s14, s30
	s_addc_u32 s15, s15, s31
	v_lshl_add_u64 v[62:63], v[16:17], 0, s[36:37]
	s_add_u32 s36, s36, s26
	s_mul_i32 s44, s22, 24
	s_addc_u32 s37, s37, s27
	s_mul_hi_i32 s35, s22, 24
	s_add_u32 s26, s44, s26
	s_addc_u32 s27, s35, s27
	v_lshl_add_u64 v[82:83], v[16:17], 0, v[0:1]
	v_lshl_add_u64 v[0:1], s[26:27], 0, v[2:3]
	;; [unrolled: 1-line block ×3, first 2 shown]
	s_mul_i32 s35, s22, 0x180
	v_mad_i64_i32 v[0:1], s[26:27], s4, 24, v[2:3]
	v_lshl_add_u64 v[64:65], v[16:17], 0, v[4:5]
	v_lshl_add_u64 v[72:73], v[16:17], 0, s[42:43]
	s_mul_hi_i32 s42, s4, 24
	v_lshl_add_u64 v[4:5], v[0:1], 0, s[18:19]
	s_add_u32 s18, s35, s24
	s_addc_u32 s19, s42, s25
	s_add_u32 s4, s22, s4
	v_lshl_add_u64 v[90:91], v[16:17], 0, v[4:5]
	s_addc_u32 s22, s23, s5
	v_mad_u64_u32 v[4:5], s[4:5], s4, 24, v[2:3]
	v_mov_b32_e32 v6, v5
	v_mad_u64_u32 v[6:7], s[4:5], s22, 24, v[6:7]
	v_lshl_add_u64 v[88:89], v[16:17], 0, v[0:1]
	v_mov_b32_e32 v5, v6
	v_lshl_add_u64 v[6:7], v[0:1], 0, s[28:29]
	v_lshl_add_u64 v[0:1], v[0:1], 0, s[30:31]
	s_movk_i32 s9, 0x860
	v_lshl_add_u64 v[94:95], v[16:17], 0, v[0:1]
	v_lshl_add_u64 v[0:1], s[18:19], 0, v[2:3]
	v_cmp_gt_u32_e64 s[0:1], 64, v22
	v_lshl_add_u64 v[92:93], v[16:17], 0, v[6:7]
	v_lshl_add_u64 v[96:97], v[16:17], 0, v[0:1]
	;; [unrolled: 1-line block ×7, first 2 shown]
	v_add_u32_e32 v149, v146, v8
	v_add_u32_e32 v150, 0x2380, v51
	v_mad_u32_u24 v151, v49, s9, v51
	v_or_b32_e32 v152, 3, v144
	v_add_u32_e32 v153, 16, v144
	v_add_u32_e32 v154, 17, v144
	v_add_u32_e32 v155, 18, v144
	v_add_u32_e32 v156, 19, v144
	v_add_u32_e32 v157, 32, v144
	v_add_u32_e32 v158, 33, v144
	v_add_u32_e32 v159, 34, v144
	v_add_u32_e32 v160, 35, v144
	v_add_u32_e32 v161, 48, v144
	v_add_u32_e32 v162, 49, v144
	v_add_u32_e32 v163, 50, v144
	v_add_u32_e32 v164, 51, v144
	v_add_u32_e32 v108, 64, v48
	s_cmp_eq_u32 s3, s2
	s_cselect_b32 s22, s34, 0
	s_and_saveexec_b64 s[4:5], s[12:13]
	s_cbranch_execz .LBB96_74
.LBB96_71:
	s_cmp_eq_u32 s22, 0
	s_cselect_b64 s[14:15], -1, 0
	v_cmp_gt_i32_e32 vcc, s22, v50
	s_or_b64 s[18:19], s[14:15], vcc
	v_mov_b64_e32 v[0:1], 0
	s_and_saveexec_b64 s[14:15], s[18:19]
	s_cbranch_execz .LBB96_73
; %bb.72:
	s_ashr_i32 s9, s8, 31
	v_lshl_add_u64 v[0:1], s[8:9], 3, v[54:55]
	global_load_dwordx2 v[0:1], v[0:1], off
.LBB96_73:
	s_or_b64 exec, exec, s[14:15]
	v_add_u32_e32 v2, 0x2180, v51
	s_waitcnt vmcnt(0)
	ds_write_b64 v2, v[0:1]
.LBB96_74:                              ; =>This Inner Loop Header: Depth=1
	s_or_b64 exec, exec, s[4:5]
	s_cmp_eq_u32 s22, 0
	s_cselect_b64 s[14:15], -1, 0
	s_cmp_lg_u32 s22, 0
	s_cselect_b64 s[18:19], -1, 0
	v_lshl_add_u64 v[0:1], v[56:57], 0, v[60:61]
	s_mov_b64 s[4:5], -1
	s_and_b64 vcc, exec, s[18:19]
	s_waitcnt lgkmcnt(0)
	s_barrier
                                        ; implicit-def: $vgpr114_vgpr115
                                        ; implicit-def: $vgpr116_vgpr117
                                        ; implicit-def: $vgpr110_vgpr111
                                        ; implicit-def: $vgpr112_vgpr113
	s_cbranch_vccz .LBB96_84
; %bb.75:                               ;   in Loop: Header=BB96_74 Depth=1
	v_cmp_gt_i32_e32 vcc, s22, v144
	v_mov_b64_e32 v[110:111], 0
	v_mov_b64_e32 v[112:113], 0
	s_and_saveexec_b64 s[4:5], vcc
	s_cbranch_execz .LBB96_77
; %bb.76:                               ;   in Loop: Header=BB96_74 Depth=1
	global_load_dwordx2 v[112:113], v[0:1], off
.LBB96_77:                              ;   in Loop: Header=BB96_74 Depth=1
	s_or_b64 exec, exec, s[4:5]
	v_or_b32_e32 v2, 1, v144
	v_cmp_gt_i32_e32 vcc, s22, v2
	s_and_saveexec_b64 s[4:5], vcc
	s_cbranch_execz .LBB96_79
; %bb.78:                               ;   in Loop: Header=BB96_74 Depth=1
	v_lshl_add_u64 v[2:3], v[66:67], 0, v[60:61]
	global_load_dwordx2 v[110:111], v[2:3], off
.LBB96_79:                              ;   in Loop: Header=BB96_74 Depth=1
	s_or_b64 exec, exec, s[4:5]
	v_or_b32_e32 v2, 2, v144
	v_cmp_gt_i32_e32 vcc, s22, v2
	v_mov_b64_e32 v[114:115], 0
	v_mov_b64_e32 v[116:117], 0
	s_and_saveexec_b64 s[4:5], vcc
	s_cbranch_execz .LBB96_81
; %bb.80:                               ;   in Loop: Header=BB96_74 Depth=1
	v_lshl_add_u64 v[2:3], v[68:69], 0, v[60:61]
	global_load_dwordx2 v[116:117], v[2:3], off
.LBB96_81:                              ;   in Loop: Header=BB96_74 Depth=1
	s_or_b64 exec, exec, s[4:5]
	v_cmp_gt_i32_e32 vcc, s22, v152
	s_and_saveexec_b64 s[4:5], vcc
	s_cbranch_execz .LBB96_83
; %bb.82:                               ;   in Loop: Header=BB96_74 Depth=1
	v_lshl_add_u64 v[2:3], v[70:71], 0, v[60:61]
	global_load_dwordx2 v[114:115], v[2:3], off
.LBB96_83:                              ;   in Loop: Header=BB96_74 Depth=1
	s_or_b64 exec, exec, s[4:5]
	s_mov_b64 s[4:5], 0
.LBB96_84:                              ;   in Loop: Header=BB96_74 Depth=1
	s_and_b64 vcc, exec, s[4:5]
	s_cbranch_vccz .LBB96_86
; %bb.85:                               ;   in Loop: Header=BB96_74 Depth=1
	global_load_dwordx2 v[112:113], v[0:1], off
	v_lshl_add_u64 v[0:1], v[66:67], 0, v[60:61]
	global_load_dwordx2 v[110:111], v[0:1], off
	v_lshl_add_u64 v[0:1], v[62:63], 0, v[60:61]
	;; [unrolled: 2-line block ×3, first 2 shown]
	global_load_dwordx2 v[114:115], v[0:1], off
.LBB96_86:                              ;   in Loop: Header=BB96_74 Depth=1
	ds_read_b64 v[8:9], v150
	ds_read_b128 v[4:7], v145
	ds_read_b128 v[0:3], v145 offset:16
	s_andn2_b64 vcc, exec, s[18:19]
                                        ; implicit-def: $vgpr122_vgpr123
                                        ; implicit-def: $vgpr124_vgpr125
                                        ; implicit-def: $vgpr118_vgpr119
                                        ; implicit-def: $vgpr120_vgpr121
	s_waitcnt vmcnt(0) lgkmcnt(2)
	v_mul_f64 v[10:11], v[112:113], v[8:9]
	v_mul_f64 v[12:13], v[110:111], v[8:9]
	;; [unrolled: 1-line block ×4, first 2 shown]
	ds_write2_b64 v151, v[10:11], v[12:13] offset1:67
	ds_write2_b64 v151, v[14:15], v[8:9] offset0:134 offset1:201
	s_waitcnt lgkmcnt(0)
	s_barrier
	ds_read2_b64 v[20:23], v146 offset1:1
	ds_read2_b64 v[16:19], v146 offset0:2 offset1:3
	v_cndmask_b32_e64 v10, 0, 1, s[18:19]
	v_lshl_add_u64 v[8:9], v[72:73], 0, v[60:61]
	v_cmp_ne_u32_e64 s[4:5], 1, v10
	s_mov_b64 s[18:19], -1
	s_waitcnt lgkmcnt(0)
	s_barrier
	s_cbranch_vccnz .LBB96_96
; %bb.87:                               ;   in Loop: Header=BB96_74 Depth=1
	v_cmp_gt_i32_e32 vcc, s22, v153
	v_mov_b64_e32 v[118:119], 0
	v_mov_b64_e32 v[120:121], 0
	s_and_saveexec_b64 s[18:19], vcc
	s_cbranch_execz .LBB96_89
; %bb.88:                               ;   in Loop: Header=BB96_74 Depth=1
	global_load_dwordx2 v[120:121], v[8:9], off
.LBB96_89:                              ;   in Loop: Header=BB96_74 Depth=1
	s_or_b64 exec, exec, s[18:19]
	v_cmp_gt_i32_e32 vcc, s22, v154
	s_and_saveexec_b64 s[18:19], vcc
	s_cbranch_execz .LBB96_91
; %bb.90:                               ;   in Loop: Header=BB96_74 Depth=1
	v_lshl_add_u64 v[10:11], v[74:75], 0, v[60:61]
	global_load_dwordx2 v[118:119], v[10:11], off
.LBB96_91:                              ;   in Loop: Header=BB96_74 Depth=1
	s_or_b64 exec, exec, s[18:19]
	v_cmp_gt_i32_e32 vcc, s22, v155
	v_mov_b64_e32 v[122:123], 0
	v_mov_b64_e32 v[124:125], 0
	s_and_saveexec_b64 s[18:19], vcc
	s_cbranch_execz .LBB96_93
; %bb.92:                               ;   in Loop: Header=BB96_74 Depth=1
	v_lshl_add_u64 v[10:11], v[76:77], 0, v[60:61]
	global_load_dwordx2 v[124:125], v[10:11], off
.LBB96_93:                              ;   in Loop: Header=BB96_74 Depth=1
	s_or_b64 exec, exec, s[18:19]
	v_cmp_gt_i32_e32 vcc, s22, v156
	s_and_saveexec_b64 s[18:19], vcc
	s_cbranch_execz .LBB96_95
; %bb.94:                               ;   in Loop: Header=BB96_74 Depth=1
	v_lshl_add_u64 v[10:11], v[78:79], 0, v[60:61]
	global_load_dwordx2 v[122:123], v[10:11], off
.LBB96_95:                              ;   in Loop: Header=BB96_74 Depth=1
	s_or_b64 exec, exec, s[18:19]
	s_mov_b64 s[18:19], 0
.LBB96_96:                              ;   in Loop: Header=BB96_74 Depth=1
	s_and_b64 vcc, exec, s[18:19]
	s_cbranch_vccz .LBB96_98
; %bb.97:                               ;   in Loop: Header=BB96_74 Depth=1
	global_load_dwordx2 v[120:121], v[8:9], off
	v_lshl_add_u64 v[8:9], v[74:75], 0, v[60:61]
	global_load_dwordx2 v[118:119], v[8:9], off
	v_lshl_add_u64 v[8:9], v[80:81], 0, v[60:61]
	;; [unrolled: 2-line block ×3, first 2 shown]
	global_load_dwordx2 v[122:123], v[8:9], off
.LBB96_98:                              ;   in Loop: Header=BB96_74 Depth=1
	ds_read_b64 v[24:25], v150
	ds_read_b128 v[12:15], v145 offset:128
	ds_read_b128 v[8:11], v145 offset:144
	s_and_b64 vcc, exec, s[4:5]
	s_mov_b64 s[18:19], -1
	s_waitcnt vmcnt(0) lgkmcnt(2)
	v_mul_f64 v[26:27], v[120:121], v[24:25]
	v_mul_f64 v[28:29], v[118:119], v[24:25]
	;; [unrolled: 1-line block ×4, first 2 shown]
	ds_write2_b64 v151, v[26:27], v[28:29] offset1:67
	ds_write2_b64 v151, v[30:31], v[24:25] offset0:134 offset1:201
	s_waitcnt lgkmcnt(0)
	s_barrier
	ds_read2_b64 v[36:39], v146 offset1:1
	ds_read2_b64 v[32:35], v146 offset0:2 offset1:3
	v_lshl_add_u64 v[24:25], v[84:85], 0, v[60:61]
	s_waitcnt lgkmcnt(0)
	s_barrier
                                        ; implicit-def: $vgpr130_vgpr131
                                        ; implicit-def: $vgpr132_vgpr133
                                        ; implicit-def: $vgpr126_vgpr127
                                        ; implicit-def: $vgpr128_vgpr129
	s_cbranch_vccnz .LBB96_108
; %bb.99:                               ;   in Loop: Header=BB96_74 Depth=1
	v_cmp_gt_i32_e32 vcc, s22, v157
	v_mov_b64_e32 v[126:127], 0
	v_mov_b64_e32 v[128:129], 0
	s_and_saveexec_b64 s[18:19], vcc
	s_cbranch_execz .LBB96_101
; %bb.100:                              ;   in Loop: Header=BB96_74 Depth=1
	global_load_dwordx2 v[128:129], v[24:25], off
.LBB96_101:                             ;   in Loop: Header=BB96_74 Depth=1
	s_or_b64 exec, exec, s[18:19]
	v_cmp_gt_i32_e32 vcc, s22, v158
	s_and_saveexec_b64 s[18:19], vcc
	s_cbranch_execz .LBB96_103
; %bb.102:                              ;   in Loop: Header=BB96_74 Depth=1
	v_lshl_add_u64 v[26:27], v[100:101], 0, v[60:61]
	global_load_dwordx2 v[126:127], v[26:27], off
.LBB96_103:                             ;   in Loop: Header=BB96_74 Depth=1
	s_or_b64 exec, exec, s[18:19]
	v_cmp_gt_i32_e32 vcc, s22, v159
	v_mov_b64_e32 v[130:131], 0
	v_mov_b64_e32 v[132:133], 0
	s_and_saveexec_b64 s[18:19], vcc
	s_cbranch_execz .LBB96_105
; %bb.104:                              ;   in Loop: Header=BB96_74 Depth=1
	v_lshl_add_u64 v[26:27], v[102:103], 0, v[60:61]
	global_load_dwordx2 v[132:133], v[26:27], off
.LBB96_105:                             ;   in Loop: Header=BB96_74 Depth=1
	s_or_b64 exec, exec, s[18:19]
	v_cmp_gt_i32_e32 vcc, s22, v160
	s_and_saveexec_b64 s[18:19], vcc
	s_cbranch_execz .LBB96_107
; %bb.106:                              ;   in Loop: Header=BB96_74 Depth=1
	v_lshl_add_u64 v[26:27], v[104:105], 0, v[60:61]
	global_load_dwordx2 v[130:131], v[26:27], off
.LBB96_107:                             ;   in Loop: Header=BB96_74 Depth=1
	s_or_b64 exec, exec, s[18:19]
	s_mov_b64 s[18:19], 0
.LBB96_108:                             ;   in Loop: Header=BB96_74 Depth=1
	s_and_b64 vcc, exec, s[18:19]
	s_cbranch_vccz .LBB96_110
; %bb.109:                              ;   in Loop: Header=BB96_74 Depth=1
	global_load_dwordx2 v[128:129], v[24:25], off
	v_lshl_add_u64 v[24:25], v[100:101], 0, v[60:61]
	global_load_dwordx2 v[126:127], v[24:25], off
	v_lshl_add_u64 v[24:25], v[106:107], 0, v[60:61]
	;; [unrolled: 2-line block ×3, first 2 shown]
	global_load_dwordx2 v[130:131], v[24:25], off
.LBB96_110:                             ;   in Loop: Header=BB96_74 Depth=1
	ds_read_b64 v[40:41], v150
	ds_read_b128 v[28:31], v145 offset:256
	ds_read_b128 v[24:27], v145 offset:272
	v_lshl_add_u64 v[142:143], v[88:89], 0, v[58:59]
	s_and_b64 vcc, exec, s[4:5]
	s_waitcnt vmcnt(0) lgkmcnt(2)
	v_mul_f64 v[42:43], v[128:129], v[40:41]
	v_mul_f64 v[44:45], v[126:127], v[40:41]
	;; [unrolled: 1-line block ×4, first 2 shown]
	ds_write2_b64 v151, v[42:43], v[44:45] offset1:67
	ds_write2_b64 v151, v[46:47], v[40:41] offset0:134 offset1:201
	s_waitcnt lgkmcnt(0)
	s_barrier
	ds_read2_b64 v[44:47], v146 offset1:1
	ds_read2_b64 v[40:43], v146 offset0:2 offset1:3
	s_mov_b64 s[4:5], -1
	s_waitcnt lgkmcnt(0)
	s_barrier
                                        ; implicit-def: $vgpr138_vgpr139
                                        ; implicit-def: $vgpr140_vgpr141
                                        ; implicit-def: $vgpr134_vgpr135
                                        ; implicit-def: $vgpr136_vgpr137
	s_cbranch_vccnz .LBB96_120
; %bb.111:                              ;   in Loop: Header=BB96_74 Depth=1
	v_cmp_gt_i32_e32 vcc, s22, v161
	v_mov_b64_e32 v[134:135], 0
	v_mov_b64_e32 v[136:137], 0
	s_and_saveexec_b64 s[4:5], vcc
	s_cbranch_execz .LBB96_113
; %bb.112:                              ;   in Loop: Header=BB96_74 Depth=1
	global_load_dwordx2 v[136:137], v[142:143], off
.LBB96_113:                             ;   in Loop: Header=BB96_74 Depth=1
	s_or_b64 exec, exec, s[4:5]
	v_cmp_gt_i32_e32 vcc, s22, v162
	s_and_saveexec_b64 s[4:5], vcc
	s_cbranch_execz .LBB96_115
; %bb.114:                              ;   in Loop: Header=BB96_74 Depth=1
	v_lshl_add_u64 v[134:135], v[90:91], 0, v[58:59]
	global_load_dwordx2 v[134:135], v[134:135], off
.LBB96_115:                             ;   in Loop: Header=BB96_74 Depth=1
	s_or_b64 exec, exec, s[4:5]
	v_cmp_gt_i32_e32 vcc, s22, v163
	v_mov_b64_e32 v[138:139], 0
	v_mov_b64_e32 v[140:141], 0
	s_and_saveexec_b64 s[4:5], vcc
	s_cbranch_execz .LBB96_117
; %bb.116:                              ;   in Loop: Header=BB96_74 Depth=1
	v_lshl_add_u64 v[140:141], v[92:93], 0, v[58:59]
	global_load_dwordx2 v[140:141], v[140:141], off
.LBB96_117:                             ;   in Loop: Header=BB96_74 Depth=1
	s_or_b64 exec, exec, s[4:5]
	v_cmp_gt_i32_e32 vcc, s22, v164
	s_and_saveexec_b64 s[4:5], vcc
	s_cbranch_execz .LBB96_119
; %bb.118:                              ;   in Loop: Header=BB96_74 Depth=1
	v_lshl_add_u64 v[138:139], v[94:95], 0, v[58:59]
	global_load_dwordx2 v[138:139], v[138:139], off
.LBB96_119:                             ;   in Loop: Header=BB96_74 Depth=1
	s_or_b64 exec, exec, s[4:5]
	s_mov_b64 s[4:5], 0
.LBB96_120:                             ;   in Loop: Header=BB96_74 Depth=1
	s_and_b64 vcc, exec, s[4:5]
	s_cbranch_vccz .LBB96_122
; %bb.121:                              ;   in Loop: Header=BB96_74 Depth=1
	s_waitcnt vmcnt(0)
	v_lshl_add_u64 v[138:139], v[96:97], 0, v[58:59]
	v_lshl_add_u64 v[134:135], v[90:91], 0, v[58:59]
	global_load_dwordx2 v[140:141], v[138:139], off
	v_lshl_add_u64 v[138:139], v[98:99], 0, v[58:59]
	global_load_dwordx2 v[136:137], v[142:143], off
	s_nop 0
	global_load_dwordx2 v[134:135], v[134:135], off
	s_nop 0
	global_load_dwordx2 v[138:139], v[138:139], off
.LBB96_122:                             ;   in Loop: Header=BB96_74 Depth=1
	v_add_f64 v[44:45], v[44:45], 0
	v_add_f64 v[44:45], v[44:45], v[46:47]
	;; [unrolled: 1-line block ×4, first 2 shown]
	ds_read_b64 v[40:41], v150
	v_add_f64 v[36:37], v[36:37], 0
	v_add_f64 v[36:37], v[36:37], v[38:39]
	v_add_f64 v[32:33], v[36:37], v[32:33]
	v_add_f64 v[46:47], v[32:33], v[34:35]
	s_waitcnt vmcnt(0) lgkmcnt(0)
	v_mul_f64 v[42:43], v[136:137], v[40:41]
	v_mul_f64 v[142:143], v[134:135], v[40:41]
	ds_read_b128 v[36:39], v145 offset:384
	ds_read_b128 v[32:35], v145 offset:400
	ds_write2_b64 v151, v[42:43], v[142:143] offset1:67
	v_mul_f64 v[42:43], v[140:141], v[40:41]
	v_mul_f64 v[40:41], v[138:139], v[40:41]
	ds_write2_b64 v151, v[42:43], v[40:41] offset0:134 offset1:201
	s_waitcnt lgkmcnt(0)
	s_barrier
	ds_read2_b64 v[40:43], v146 offset1:1
	v_add_f64 v[20:21], v[20:21], 0
	v_add_f64 v[142:143], v[20:21], v[22:23]
	ds_read2_b64 v[20:23], v146 offset0:2 offset1:3
	v_add_f64 v[16:17], v[142:143], v[16:17]
	v_add_f64 v[16:17], v[16:17], v[18:19]
	s_waitcnt lgkmcnt(1)
	v_add_f64 v[18:19], v[40:41], 0
	v_cmp_gt_i32_e32 vcc, s22, v50
	v_add_f64 v[18:19], v[18:19], v[42:43]
	s_or_b64 s[4:5], s[14:15], vcc
	s_waitcnt lgkmcnt(0)
	v_add_f64 v[18:19], v[18:19], v[20:21]
	s_and_b64 s[14:15], s[0:1], s[4:5]
	v_add_f64 v[18:19], v[18:19], v[22:23]
	s_barrier
	ds_write2_b64 v149, v[16:17], v[46:47] offset1:16
	ds_write2_b64 v149, v[44:45], v[18:19] offset0:32 offset1:48
	s_waitcnt lgkmcnt(0)
	s_barrier
	s_and_saveexec_b64 s[4:5], s[14:15]
	s_cbranch_execz .LBB96_124
; %bb.123:                              ;   in Loop: Header=BB96_74 Depth=1
	ds_read2_b64 v[16:19], v147 offset1:1
	ds_read2_b64 v[20:23], v147 offset0:2 offset1:3
	ds_read2_b64 v[40:43], v147 offset0:4 offset1:5
	;; [unrolled: 1-line block ×4, first 2 shown]
	s_waitcnt lgkmcnt(4)
	v_add_f64 v[16:17], v[16:17], v[18:19]
	s_waitcnt lgkmcnt(3)
	v_add_f64 v[16:17], v[16:17], v[20:21]
	v_add_f64 v[16:17], v[16:17], v[22:23]
	s_waitcnt lgkmcnt(2)
	v_add_f64 v[16:17], v[16:17], v[40:41]
	;; [unrolled: 3-line block ×3, first 2 shown]
	ds_read2_b64 v[16:19], v147 offset0:10 offset1:11
	v_add_f64 v[20:21], v[20:21], v[46:47]
	s_waitcnt lgkmcnt(1)
	v_add_f64 v[20:21], v[20:21], v[166:167]
	v_add_f64 v[40:41], v[20:21], v[168:169]
	ds_read2_b64 v[20:23], v147 offset0:12 offset1:13
	s_waitcnt lgkmcnt(1)
	v_add_f64 v[16:17], v[40:41], v[16:17]
	ds_read_b64 v[40:41], v147 offset:112
	ds_read_b64 v[42:43], v148
	v_add_f64 v[16:17], v[16:17], v[18:19]
	v_ashrrev_i32_e32 v109, 31, v108
	s_waitcnt lgkmcnt(2)
	v_add_f64 v[16:17], v[16:17], v[20:21]
	v_add_f64 v[16:17], v[16:17], v[22:23]
	s_waitcnt lgkmcnt(1)
	v_add_f64 v[16:17], v[16:17], v[40:41]
	s_waitcnt lgkmcnt(0)
	v_add_f64 v[16:17], v[16:17], v[42:43]
	v_lshl_add_u64 v[18:19], v[108:109], 3, s[6:7]
	global_store_dwordx2 v[18:19], v[16:17], off
.LBB96_124:                             ;   in Loop: Header=BB96_74 Depth=1
	s_or_b64 exec, exec, s[4:5]
	v_fmac_f64_e32 v[52:53], v[112:113], v[4:5]
	v_fmac_f64_e32 v[52:53], v[110:111], v[6:7]
	;; [unrolled: 1-line block ×15, first 2 shown]
	s_add_i32 s4, s2, 1
	s_add_i32 s8, s8, s17
	s_add_i32 s2, s2, 2
	v_fmac_f64_e32 v[52:53], v[138:139], v[34:35]
	v_add_u32_e32 v108, 64, v108
	v_lshl_add_u64 v[56:57], v[56:57], 0, s[10:11]
	v_lshl_add_u64 v[62:63], v[62:63], 0, s[10:11]
	;; [unrolled: 1-line block ×23, first 2 shown]
	s_cmp_ge_u32 s2, s33
	v_lshl_add_u64 v[98:99], v[98:99], 0, s[10:11]
	s_barrier
	s_cbranch_scc1 .LBB96_126
; %bb.125:                              ;   in Loop: Header=BB96_74 Depth=1
	s_mov_b32 s2, s4
	s_cmp_eq_u32 s3, s2
	s_cselect_b32 s22, s34, 0
	s_and_saveexec_b64 s[4:5], s[12:13]
	s_cbranch_execnz .LBB96_71
	s_branch .LBB96_74
.LBB96_126:
	s_movk_i32 s0, 0x218
	v_cmp_gt_i32_e32 vcc, s16, v50
	v_mad_u32_u24 v0, v49, s0, v51
	s_or_b64 s[0:1], s[20:21], vcc
	s_and_b64 s[0:1], s[12:13], s[0:1]
	ds_write_b64 v0, v[52:53]
	s_waitcnt lgkmcnt(0)
	s_barrier
	s_and_saveexec_b64 s[2:3], s[0:1]
	s_cbranch_execz .LBB96_128
; %bb.127:
	ds_read2_b64 v[0:3], v51 offset1:67
	ds_read2_b64 v[4:7], v51 offset0:134 offset1:201
	v_ashrrev_i32_e32 v49, 31, v48
	s_waitcnt lgkmcnt(1)
	v_add_f64 v[0:1], v[0:1], v[2:3]
	s_waitcnt lgkmcnt(0)
	v_add_f64 v[0:1], v[0:1], v[4:5]
	v_add_f64 v[0:1], v[0:1], v[6:7]
	v_lshl_add_u64 v[2:3], v[48:49], 3, s[6:7]
	global_store_dwordx2 v[2:3], v[0:1], off
.LBB96_128:
	s_endpgm
	.section	.rodata,"a",@progbits
	.p2align	6, 0x0
	.amdhsa_kernel _ZL26rocblas_hemvn_kernel_upperILb0ELi64ELi4ELi33ELi32ELi16EiPKdS1_PdEviT6_lT7_lT5_lS4_lS5_lS3_lT8_i
		.amdhsa_group_segment_fixed_size 9600
		.amdhsa_private_segment_fixed_size 0
		.amdhsa_kernarg_size 376
		.amdhsa_user_sgpr_count 2
		.amdhsa_user_sgpr_dispatch_ptr 0
		.amdhsa_user_sgpr_queue_ptr 0
		.amdhsa_user_sgpr_kernarg_segment_ptr 1
		.amdhsa_user_sgpr_dispatch_id 0
		.amdhsa_user_sgpr_kernarg_preload_length 0
		.amdhsa_user_sgpr_kernarg_preload_offset 0
		.amdhsa_user_sgpr_private_segment_size 0
		.amdhsa_uses_dynamic_stack 0
		.amdhsa_enable_private_segment 0
		.amdhsa_system_sgpr_workgroup_id_x 1
		.amdhsa_system_sgpr_workgroup_id_y 0
		.amdhsa_system_sgpr_workgroup_id_z 1
		.amdhsa_system_sgpr_workgroup_info 0
		.amdhsa_system_vgpr_workitem_id 1
		.amdhsa_next_free_vgpr 170
		.amdhsa_next_free_sgpr 45
		.amdhsa_accum_offset 172
		.amdhsa_reserve_vcc 1
		.amdhsa_float_round_mode_32 0
		.amdhsa_float_round_mode_16_64 0
		.amdhsa_float_denorm_mode_32 3
		.amdhsa_float_denorm_mode_16_64 3
		.amdhsa_dx10_clamp 1
		.amdhsa_ieee_mode 1
		.amdhsa_fp16_overflow 0
		.amdhsa_tg_split 0
		.amdhsa_exception_fp_ieee_invalid_op 0
		.amdhsa_exception_fp_denorm_src 0
		.amdhsa_exception_fp_ieee_div_zero 0
		.amdhsa_exception_fp_ieee_overflow 0
		.amdhsa_exception_fp_ieee_underflow 0
		.amdhsa_exception_fp_ieee_inexact 0
		.amdhsa_exception_int_div_zero 0
	.end_amdhsa_kernel
	.section	.text._ZL26rocblas_hemvn_kernel_upperILb0ELi64ELi4ELi33ELi32ELi16EiPKdS1_PdEviT6_lT7_lT5_lS4_lS5_lS3_lT8_i,"axG",@progbits,_ZL26rocblas_hemvn_kernel_upperILb0ELi64ELi4ELi33ELi32ELi16EiPKdS1_PdEviT6_lT7_lT5_lS4_lS5_lS3_lT8_i,comdat
.Lfunc_end96:
	.size	_ZL26rocblas_hemvn_kernel_upperILb0ELi64ELi4ELi33ELi32ELi16EiPKdS1_PdEviT6_lT7_lT5_lS4_lS5_lS3_lT8_i, .Lfunc_end96-_ZL26rocblas_hemvn_kernel_upperILb0ELi64ELi4ELi33ELi32ELi16EiPKdS1_PdEviT6_lT7_lT5_lS4_lS5_lS3_lT8_i
                                        ; -- End function
	.set _ZL26rocblas_hemvn_kernel_upperILb0ELi64ELi4ELi33ELi32ELi16EiPKdS1_PdEviT6_lT7_lT5_lS4_lS5_lS3_lT8_i.num_vgpr, 170
	.set _ZL26rocblas_hemvn_kernel_upperILb0ELi64ELi4ELi33ELi32ELi16EiPKdS1_PdEviT6_lT7_lT5_lS4_lS5_lS3_lT8_i.num_agpr, 0
	.set _ZL26rocblas_hemvn_kernel_upperILb0ELi64ELi4ELi33ELi32ELi16EiPKdS1_PdEviT6_lT7_lT5_lS4_lS5_lS3_lT8_i.numbered_sgpr, 45
	.set _ZL26rocblas_hemvn_kernel_upperILb0ELi64ELi4ELi33ELi32ELi16EiPKdS1_PdEviT6_lT7_lT5_lS4_lS5_lS3_lT8_i.num_named_barrier, 0
	.set _ZL26rocblas_hemvn_kernel_upperILb0ELi64ELi4ELi33ELi32ELi16EiPKdS1_PdEviT6_lT7_lT5_lS4_lS5_lS3_lT8_i.private_seg_size, 0
	.set _ZL26rocblas_hemvn_kernel_upperILb0ELi64ELi4ELi33ELi32ELi16EiPKdS1_PdEviT6_lT7_lT5_lS4_lS5_lS3_lT8_i.uses_vcc, 1
	.set _ZL26rocblas_hemvn_kernel_upperILb0ELi64ELi4ELi33ELi32ELi16EiPKdS1_PdEviT6_lT7_lT5_lS4_lS5_lS3_lT8_i.uses_flat_scratch, 0
	.set _ZL26rocblas_hemvn_kernel_upperILb0ELi64ELi4ELi33ELi32ELi16EiPKdS1_PdEviT6_lT7_lT5_lS4_lS5_lS3_lT8_i.has_dyn_sized_stack, 0
	.set _ZL26rocblas_hemvn_kernel_upperILb0ELi64ELi4ELi33ELi32ELi16EiPKdS1_PdEviT6_lT7_lT5_lS4_lS5_lS3_lT8_i.has_recursion, 0
	.set _ZL26rocblas_hemvn_kernel_upperILb0ELi64ELi4ELi33ELi32ELi16EiPKdS1_PdEviT6_lT7_lT5_lS4_lS5_lS3_lT8_i.has_indirect_call, 0
	.section	.AMDGPU.csdata,"",@progbits
; Kernel info:
; codeLenInByte = 6932
; TotalNumSgprs: 51
; NumVgprs: 170
; NumAgprs: 0
; TotalNumVgprs: 170
; ScratchSize: 0
; MemoryBound: 0
; FloatMode: 240
; IeeeMode: 1
; LDSByteSize: 9600 bytes/workgroup (compile time only)
; SGPRBlocks: 6
; VGPRBlocks: 21
; NumSGPRsForWavesPerEU: 51
; NumVGPRsForWavesPerEU: 170
; AccumOffset: 172
; Occupancy: 2
; WaveLimiterHint : 1
; COMPUTE_PGM_RSRC2:SCRATCH_EN: 0
; COMPUTE_PGM_RSRC2:USER_SGPR: 2
; COMPUTE_PGM_RSRC2:TRAP_HANDLER: 0
; COMPUTE_PGM_RSRC2:TGID_X_EN: 1
; COMPUTE_PGM_RSRC2:TGID_Y_EN: 0
; COMPUTE_PGM_RSRC2:TGID_Z_EN: 1
; COMPUTE_PGM_RSRC2:TIDIG_COMP_CNT: 1
; COMPUTE_PGM_RSRC3_GFX90A:ACCUM_OFFSET: 42
; COMPUTE_PGM_RSRC3_GFX90A:TG_SPLIT: 0
	.section	.text._ZL36rocblas_hemvn_kernel_upper_block_sumILi64EiPKdPddEviT1_lS3_lT2_lT0_lPT3_i,"axG",@progbits,_ZL36rocblas_hemvn_kernel_upper_block_sumILi64EiPKdPddEviT1_lS3_lT2_lT0_lPT3_i,comdat
	.globl	_ZL36rocblas_hemvn_kernel_upper_block_sumILi64EiPKdPddEviT1_lS3_lT2_lT0_lPT3_i ; -- Begin function _ZL36rocblas_hemvn_kernel_upper_block_sumILi64EiPKdPddEviT1_lS3_lT2_lT0_lPT3_i
	.p2align	8
	.type	_ZL36rocblas_hemvn_kernel_upper_block_sumILi64EiPKdPddEviT1_lS3_lT2_lT0_lPT3_i,@function
_ZL36rocblas_hemvn_kernel_upper_block_sumILi64EiPKdPddEviT1_lS3_lT2_lT0_lPT3_i: ; @_ZL36rocblas_hemvn_kernel_upper_block_sumILi64EiPKdPddEviT1_lS3_lT2_lT0_lPT3_i
; %bb.0:
	s_load_dwordx8 s[8:15], s[0:1], 0x8
	s_waitcnt lgkmcnt(0)
	s_mul_i32 s4, s11, s3
	s_mul_hi_u32 s5, s10, s3
	s_add_i32 s5, s5, s4
	s_mul_i32 s4, s10, s3
	s_lshl_b64 s[4:5], s[4:5], 3
	s_add_u32 s4, s8, s4
	s_addc_u32 s5, s9, s5
	s_load_dwordx2 s[8:9], s[4:5], 0x0
	s_mul_i32 s4, s15, s3
	s_mul_hi_u32 s5, s14, s3
	s_add_i32 s5, s5, s4
	s_mul_i32 s4, s14, s3
	s_lshl_b64 s[4:5], s[4:5], 3
	s_add_u32 s4, s12, s4
	s_addc_u32 s5, s13, s5
	s_load_dwordx2 s[12:13], s[4:5], 0x0
	s_waitcnt lgkmcnt(0)
	v_cmp_eq_f64_e64 s[4:5], s[8:9], 0
	v_cmp_eq_f64_e64 s[6:7], s[12:13], 1.0
	s_and_b64 s[4:5], s[4:5], s[6:7]
	s_and_b64 vcc, exec, s[4:5]
	s_cbranch_vccnz .LBB97_19
; %bb.1:
	s_load_dwordx4 s[4:7], s[0:1], 0x40
	s_load_dwordx4 s[24:27], s[0:1], 0x28
	s_load_dword s22, s[0:1], 0x38
	s_load_dword s16, s[0:1], 0x0
	v_lshl_or_b32 v0, s2, 6, v0
	s_waitcnt lgkmcnt(0)
	s_mul_i32 s5, s5, s3
	s_mul_hi_u32 s10, s4, s3
	s_add_i32 s5, s10, s5
	s_mul_i32 s4, s4, s3
	s_lshl_b64 s[4:5], s[4:5], 3
	s_add_u32 s10, s24, s4
	s_addc_u32 s11, s25, s5
	s_lshl_b64 s[4:5], s[26:27], 3
	s_add_u32 s10, s10, s4
	s_addc_u32 s11, s11, s5
	v_cmp_neq_f64_e64 s[4:5], s[8:9], 0
	s_mov_b64 s[14:15], 0
	s_and_b64 vcc, exec, s[4:5]
	v_cmp_gt_i32_e64 s[4:5], s16, v0
	s_cbranch_vccnz .LBB97_6
; %bb.2:
	s_mov_b64 s[18:19], 0
                                        ; implicit-def: $vgpr4_vgpr5
                                        ; implicit-def: $vgpr2_vgpr3
	s_and_saveexec_b64 s[20:21], s[4:5]
	s_cbranch_execz .LBB97_7
; %bb.3:
	v_cmp_eq_f64_e64 s[4:5], s[12:13], 0
	v_mul_lo_u32 v2, s22, v0
	v_mov_b64_e32 v[4:5], 0
	v_ashrrev_i32_e32 v3, 31, v2
	s_and_b64 vcc, exec, s[4:5]
	s_cbranch_vccnz .LBB97_5
; %bb.4:
	v_lshl_add_u64 v[4:5], v[2:3], 3, s[10:11]
	global_load_dwordx2 v[4:5], v[4:5], off
	s_waitcnt vmcnt(0)
	v_mul_f64 v[4:5], s[12:13], v[4:5]
.LBB97_5:
	s_mov_b64 s[14:15], exec
	s_or_b64 exec, exec, s[20:21]
	s_and_b64 vcc, exec, s[18:19]
	s_cbranch_vccnz .LBB97_8
	s_branch .LBB97_17
.LBB97_6:
                                        ; implicit-def: $vgpr4_vgpr5
                                        ; implicit-def: $vgpr2_vgpr3
	s_cbranch_execnz .LBB97_8
	s_branch .LBB97_17
.LBB97_7:
	s_or_b64 exec, exec, s[20:21]
	s_and_b64 vcc, exec, s[18:19]
	s_cbranch_vccz .LBB97_17
.LBB97_8:
	v_cmp_gt_i32_e32 vcc, s16, v0
                                        ; implicit-def: $vgpr4_vgpr5
                                        ; implicit-def: $vgpr2_vgpr3
	s_and_saveexec_b64 s[4:5], vcc
	s_cbranch_execz .LBB97_16
; %bb.9:
	s_cmp_lt_i32 s2, 0
	v_mov_b64_e32 v[6:7], 0
	s_cbranch_scc1 .LBB97_12
; %bb.10:
	s_load_dword s0, s[0:1], 0x58
	s_ashr_i32 s17, s16, 31
	s_mul_hi_u32 s1, s16, s3
	s_mul_i32 s18, s17, s3
	s_add_i32 s1, s1, s18
	s_mul_i32 s3, s16, s3
	s_waitcnt lgkmcnt(0)
	s_mul_i32 s1, s1, s0
	s_mul_hi_u32 s18, s3, s0
	s_add_i32 s1, s18, s1
	s_mul_i32 s0, s3, s0
	s_lshl_b64 s[0:1], s[0:1], 3
	s_add_u32 s0, s6, s0
	s_addc_u32 s1, s7, s1
	v_mov_b32_e32 v1, 0
	v_lshl_add_u64 v[2:3], v[0:1], 3, s[0:1]
	s_add_i32 s2, s2, 1
	s_lshl_b64 s[0:1], s[16:17], 3
	v_mov_b64_e32 v[6:7], 0
.LBB97_11:                              ; =>This Inner Loop Header: Depth=1
	global_load_dwordx2 v[4:5], v[2:3], off
	s_add_i32 s2, s2, -1
	v_lshl_add_u64 v[2:3], v[2:3], 0, s[0:1]
	s_cmp_eq_u32 s2, 0
	s_waitcnt vmcnt(0)
	v_add_f64 v[6:7], v[6:7], v[4:5]
	s_cbranch_scc0 .LBB97_11
.LBB97_12:
	v_cmp_eq_f64_e64 s[2:3], s[12:13], 0
	v_mul_lo_u32 v2, s22, v0
	s_mov_b64 s[0:1], 0
	s_and_b64 vcc, exec, s[2:3]
	v_ashrrev_i32_e32 v3, 31, v2
	s_cbranch_vccz .LBB97_20
; %bb.13:
	v_mul_f64 v[4:5], s[8:9], v[6:7]
	s_andn2_b64 vcc, exec, s[0:1]
	s_cbranch_vccnz .LBB97_15
.LBB97_14:
	v_lshl_add_u64 v[0:1], v[2:3], 3, s[10:11]
	global_load_dwordx2 v[0:1], v[0:1], off
	s_waitcnt vmcnt(0)
	v_mul_f64 v[4:5], s[12:13], v[0:1]
	v_fmac_f64_e32 v[4:5], s[8:9], v[6:7]
.LBB97_15:
	s_or_b64 s[14:15], s[14:15], exec
.LBB97_16:
	s_or_b64 exec, exec, s[4:5]
.LBB97_17:
	s_and_saveexec_b64 s[0:1], s[14:15]
	s_cbranch_execz .LBB97_19
; %bb.18:
	v_lshl_add_u64 v[0:1], v[2:3], 3, s[10:11]
	global_store_dwordx2 v[0:1], v[4:5], off
.LBB97_19:
	s_endpgm
.LBB97_20:
                                        ; implicit-def: $vgpr4_vgpr5
	s_branch .LBB97_14
	.section	.rodata,"a",@progbits
	.p2align	6, 0x0
	.amdhsa_kernel _ZL36rocblas_hemvn_kernel_upper_block_sumILi64EiPKdPddEviT1_lS3_lT2_lT0_lPT3_i
		.amdhsa_group_segment_fixed_size 0
		.amdhsa_private_segment_fixed_size 0
		.amdhsa_kernarg_size 344
		.amdhsa_user_sgpr_count 2
		.amdhsa_user_sgpr_dispatch_ptr 0
		.amdhsa_user_sgpr_queue_ptr 0
		.amdhsa_user_sgpr_kernarg_segment_ptr 1
		.amdhsa_user_sgpr_dispatch_id 0
		.amdhsa_user_sgpr_kernarg_preload_length 0
		.amdhsa_user_sgpr_kernarg_preload_offset 0
		.amdhsa_user_sgpr_private_segment_size 0
		.amdhsa_uses_dynamic_stack 0
		.amdhsa_enable_private_segment 0
		.amdhsa_system_sgpr_workgroup_id_x 1
		.amdhsa_system_sgpr_workgroup_id_y 0
		.amdhsa_system_sgpr_workgroup_id_z 1
		.amdhsa_system_sgpr_workgroup_info 0
		.amdhsa_system_vgpr_workitem_id 0
		.amdhsa_next_free_vgpr 8
		.amdhsa_next_free_sgpr 28
		.amdhsa_accum_offset 8
		.amdhsa_reserve_vcc 1
		.amdhsa_float_round_mode_32 0
		.amdhsa_float_round_mode_16_64 0
		.amdhsa_float_denorm_mode_32 3
		.amdhsa_float_denorm_mode_16_64 3
		.amdhsa_dx10_clamp 1
		.amdhsa_ieee_mode 1
		.amdhsa_fp16_overflow 0
		.amdhsa_tg_split 0
		.amdhsa_exception_fp_ieee_invalid_op 0
		.amdhsa_exception_fp_denorm_src 0
		.amdhsa_exception_fp_ieee_div_zero 0
		.amdhsa_exception_fp_ieee_overflow 0
		.amdhsa_exception_fp_ieee_underflow 0
		.amdhsa_exception_fp_ieee_inexact 0
		.amdhsa_exception_int_div_zero 0
	.end_amdhsa_kernel
	.section	.text._ZL36rocblas_hemvn_kernel_upper_block_sumILi64EiPKdPddEviT1_lS3_lT2_lT0_lPT3_i,"axG",@progbits,_ZL36rocblas_hemvn_kernel_upper_block_sumILi64EiPKdPddEviT1_lS3_lT2_lT0_lPT3_i,comdat
.Lfunc_end97:
	.size	_ZL36rocblas_hemvn_kernel_upper_block_sumILi64EiPKdPddEviT1_lS3_lT2_lT0_lPT3_i, .Lfunc_end97-_ZL36rocblas_hemvn_kernel_upper_block_sumILi64EiPKdPddEviT1_lS3_lT2_lT0_lPT3_i
                                        ; -- End function
	.set _ZL36rocblas_hemvn_kernel_upper_block_sumILi64EiPKdPddEviT1_lS3_lT2_lT0_lPT3_i.num_vgpr, 8
	.set _ZL36rocblas_hemvn_kernel_upper_block_sumILi64EiPKdPddEviT1_lS3_lT2_lT0_lPT3_i.num_agpr, 0
	.set _ZL36rocblas_hemvn_kernel_upper_block_sumILi64EiPKdPddEviT1_lS3_lT2_lT0_lPT3_i.numbered_sgpr, 28
	.set _ZL36rocblas_hemvn_kernel_upper_block_sumILi64EiPKdPddEviT1_lS3_lT2_lT0_lPT3_i.num_named_barrier, 0
	.set _ZL36rocblas_hemvn_kernel_upper_block_sumILi64EiPKdPddEviT1_lS3_lT2_lT0_lPT3_i.private_seg_size, 0
	.set _ZL36rocblas_hemvn_kernel_upper_block_sumILi64EiPKdPddEviT1_lS3_lT2_lT0_lPT3_i.uses_vcc, 1
	.set _ZL36rocblas_hemvn_kernel_upper_block_sumILi64EiPKdPddEviT1_lS3_lT2_lT0_lPT3_i.uses_flat_scratch, 0
	.set _ZL36rocblas_hemvn_kernel_upper_block_sumILi64EiPKdPddEviT1_lS3_lT2_lT0_lPT3_i.has_dyn_sized_stack, 0
	.set _ZL36rocblas_hemvn_kernel_upper_block_sumILi64EiPKdPddEviT1_lS3_lT2_lT0_lPT3_i.has_recursion, 0
	.set _ZL36rocblas_hemvn_kernel_upper_block_sumILi64EiPKdPddEviT1_lS3_lT2_lT0_lPT3_i.has_indirect_call, 0
	.section	.AMDGPU.csdata,"",@progbits
; Kernel info:
; codeLenInByte = 608
; TotalNumSgprs: 34
; NumVgprs: 8
; NumAgprs: 0
; TotalNumVgprs: 8
; ScratchSize: 0
; MemoryBound: 0
; FloatMode: 240
; IeeeMode: 1
; LDSByteSize: 0 bytes/workgroup (compile time only)
; SGPRBlocks: 4
; VGPRBlocks: 0
; NumSGPRsForWavesPerEU: 34
; NumVGPRsForWavesPerEU: 8
; AccumOffset: 8
; Occupancy: 8
; WaveLimiterHint : 0
; COMPUTE_PGM_RSRC2:SCRATCH_EN: 0
; COMPUTE_PGM_RSRC2:USER_SGPR: 2
; COMPUTE_PGM_RSRC2:TRAP_HANDLER: 0
; COMPUTE_PGM_RSRC2:TGID_X_EN: 1
; COMPUTE_PGM_RSRC2:TGID_Y_EN: 0
; COMPUTE_PGM_RSRC2:TGID_Z_EN: 1
; COMPUTE_PGM_RSRC2:TIDIG_COMP_CNT: 0
; COMPUTE_PGM_RSRC3_GFX90A:ACCUM_OFFSET: 1
; COMPUTE_PGM_RSRC3_GFX90A:TG_SPLIT: 0
	.section	.text._ZL26rocblas_hemvn_kernel_upperILb0ELi64ELi4ELi33ELi32ELi16EldPKdPdEviT6_lT7_lT5_lS4_lS5_lS3_lT8_i,"axG",@progbits,_ZL26rocblas_hemvn_kernel_upperILb0ELi64ELi4ELi33ELi32ELi16EldPKdPdEviT6_lT7_lT5_lS4_lS5_lS3_lT8_i,comdat
	.globl	_ZL26rocblas_hemvn_kernel_upperILb0ELi64ELi4ELi33ELi32ELi16EldPKdPdEviT6_lT7_lT5_lS4_lS5_lS3_lT8_i ; -- Begin function _ZL26rocblas_hemvn_kernel_upperILb0ELi64ELi4ELi33ELi32ELi16EldPKdPdEviT6_lT7_lT5_lS4_lS5_lS3_lT8_i
	.p2align	8
	.type	_ZL26rocblas_hemvn_kernel_upperILb0ELi64ELi4ELi33ELi32ELi16EldPKdPdEviT6_lT7_lT5_lS4_lS5_lS3_lT8_i,@function
_ZL26rocblas_hemvn_kernel_upperILb0ELi64ELi4ELi33ELi32ELi16EldPKdPdEviT6_lT7_lT5_lS4_lS5_lS3_lT8_i: ; @_ZL26rocblas_hemvn_kernel_upperILb0ELi64ELi4ELi33ELi32ELi16EldPKdPdEviT6_lT7_lT5_lS4_lS5_lS3_lT8_i
; %bb.0:
	s_load_dwordx2 s[6:7], s[0:1], 0x84
	s_add_u32 s4, s0, 0x78
	s_addc_u32 s5, s1, 0
	s_waitcnt lgkmcnt(0)
	s_lshr_b32 s8, s6, 16
	s_and_b32 s6, s6, 0xffff
	s_and_b32 s7, s7, 0xffff
	s_mul_i32 s6, s8, s6
	s_mul_i32 s6, s6, s7
	s_cmpk_lg_i32 s6, 0x100
	s_cbranch_scc1 .LBB98_128
; %bb.1:
	s_load_dwordx2 s[6:7], s[0:1], 0x8
	s_load_dwordx2 s[8:9], s[0:1], 0x58
	s_waitcnt lgkmcnt(0)
	v_cmp_eq_f64_e64 s[6:7], s[6:7], 0
	v_cmp_eq_f64_e64 s[8:9], s[8:9], 1.0
	s_and_b64 s[8:9], s[6:7], s[8:9]
	s_and_b64 vcc, exec, s[8:9]
	s_cbranch_vccnz .LBB98_128
; %bb.2:
	s_and_b64 vcc, exec, s[6:7]
	s_cbranch_vccnz .LBB98_128
; %bb.3:
	s_load_dwordx16 s[16:31], s[0:1], 0x18
	s_load_dword s33, s[4:5], 0x0
	s_load_dword s35, s[0:1], 0x0
	v_and_b32_e32 v122, 0x3ff, v0
	v_bfe_u32 v123, v0, 10, 10
	s_waitcnt lgkmcnt(0)
	s_mul_i32 s5, s31, s3
	s_mul_hi_u32 s6, s30, s3
	s_mul_i32 s4, s30, s3
	s_add_i32 s5, s6, s5
	s_lshl_b64 s[4:5], s[4:5], 3
	s_add_u32 s6, s24, s4
	s_addc_u32 s7, s25, s5
	s_lshl_b64 s[4:5], s[26:27], 3
	s_add_u32 s4, s6, s4
	s_addc_u32 s5, s7, s5
	s_ashr_i32 s36, s35, 31
	s_lshr_b32 s7, s36, 26
	s_lshl_b32 s26, s2, 6
	s_add_i32 s7, s35, s7
	s_andn2_b32 s7, s7, 63
	v_add_u32_e32 v48, s26, v122
	s_add_i32 s6, s33, -1
	s_sub_i32 s34, s35, s7
	v_ashrrev_i32_e32 v49, 31, v48
	s_cmp_eq_u32 s2, s6
	v_mul_lo_u32 v2, s28, v49
	v_mul_lo_u32 v3, s29, v48
	v_mad_u64_u32 v[0:1], s[6:7], s28, v48, 0
	v_add3_u32 v1, v1, v2, v3
	s_cselect_b32 s24, s34, 0
	v_lshl_add_u64 v[12:13], v[0:1], 3, s[4:5]
	v_cmp_eq_u32_e64 s[14:15], 0, v123
	s_and_saveexec_b64 s[4:5], s[14:15]
	s_cbranch_execz .LBB98_7
; %bb.4:
	s_cmp_eq_u32 s24, 0
	s_cselect_b64 s[6:7], -1, 0
	v_cmp_gt_i32_e32 vcc, s24, v122
	s_or_b64 s[8:9], s[6:7], vcc
	v_mov_b64_e32 v[0:1], 0
	s_and_saveexec_b64 s[6:7], s[8:9]
	s_cbranch_execz .LBB98_6
; %bb.5:
	global_load_dwordx2 v[0:1], v[12:13], off
.LBB98_6:
	s_or_b64 exec, exec, s[6:7]
	v_lshlrev_b32_e32 v2, 3, v122
	s_waitcnt vmcnt(0)
	ds_write_b64 v2, v[0:1] offset:9088
.LBB98_7:
	s_or_b64 exec, exec, s[4:5]
	s_mul_i32 s4, s23, s3
	s_mul_hi_u32 s5, s22, s3
	s_add_i32 s5, s5, s4
	s_mul_i32 s4, s22, s3
	s_lshl_b64 s[4:5], s[4:5], 3
	s_add_u32 s6, s16, s4
	s_addc_u32 s7, s17, s5
	s_lshl_b64 s[4:5], s[18:19], 3
	s_add_u32 s6, s6, s4
	s_addc_u32 s7, s7, s5
	s_ashr_i32 s27, s26, 31
	v_lshl_add_u32 v22, v123, 6, v122
	s_lshl_b64 s[4:5], s[26:27], 3
	v_and_b32_e32 v2, 31, v122
	v_lshrrev_b32_e32 v10, 5, v22
	s_add_u32 s4, s6, s4
	v_mov_b32_e32 v3, 0
	s_addc_u32 s5, s7, s5
	v_mad_u64_u32 v[14:15], s[6:7], s20, v10, v[2:3]
	v_mov_b32_e32 v0, v15
	v_mad_u64_u32 v[0:1], s[6:7], s21, v10, v[0:1]
	v_mov_b32_e32 v15, v0
	v_lshl_add_u64 v[0:1], v[14:15], 3, s[4:5]
	s_mul_hi_u32 s4, s20, s26
	s_mul_i32 s5, s20, s27
	s_add_i32 s4, s4, s5
	s_mul_i32 s5, s21, s26
	s_add_i32 s5, s4, s5
	s_cmp_eq_u32 s24, 0
	s_cselect_b64 s[18:19], -1, 0
	s_cmp_lg_u32 s24, 0
	s_mul_i32 s4, s20, s26
	s_cselect_b64 s[22:23], -1, 0
	v_lshl_add_u64 v[6:7], s[4:5], 3, v[0:1]
	s_and_b64 vcc, exec, s[22:23]
	v_cmp_gt_i32_e64 s[4:5], s24, v2
	v_lshlrev_b32_e32 v0, 3, v2
	s_cbranch_vccz .LBB98_17
; %bb.8:
	v_sub_co_u32_e32 v4, vcc, v6, v0
	s_ashr_i32 s25, s24, 31
	s_nop 0
	v_subbrev_co_u32_e32 v5, vcc, 0, v7, vcc
	v_lshl_add_u64 v[4:5], s[24:25], 3, v[4:5]
	v_lshl_add_u64 v[4:5], v[4:5], 0, -8
	v_cndmask_b32_e64 v5, v5, v7, s[4:5]
	v_cndmask_b32_e64 v4, v4, v6, s[4:5]
	v_cmp_gt_i32_e32 vcc, s24, v10
	v_mov_b64_e32 v[8:9], 0
	v_mov_b64_e32 v[16:17], 0
	s_and_saveexec_b64 s[6:7], vcc
	s_cbranch_execz .LBB98_10
; %bb.9:
	global_load_dwordx2 v[16:17], v[4:5], off
.LBB98_10:
	s_or_b64 exec, exec, s[6:7]
	v_lshlrev_b32_e32 v1, 3, v2
	s_movk_i32 s6, 0x108
	v_mad_u32_u24 v11, v10, s6, v1
	s_waitcnt vmcnt(0)
	ds_write_b64 v11, v[16:17]
	v_add_u32_e32 v11, 8, v10
	v_mul_u32_u24_e32 v3, 0x108, v10
	v_cmp_gt_i32_e32 vcc, s24, v11
	s_and_saveexec_b64 s[6:7], vcc
	s_cbranch_execz .LBB98_12
; %bb.11:
	s_lshl_b64 s[8:9], s[20:21], 6
	v_lshl_add_u64 v[8:9], v[4:5], 0, s[8:9]
	global_load_dwordx2 v[8:9], v[8:9], off
.LBB98_12:
	s_or_b64 exec, exec, s[6:7]
	v_add_u32_e32 v1, v3, v1
	v_add_u32_e32 v3, 16, v10
	s_waitcnt vmcnt(0)
	ds_write_b64 v1, v[8:9] offset:2112
	v_cmp_gt_i32_e32 vcc, s24, v3
	v_mov_b64_e32 v[8:9], 0
	v_mov_b64_e32 v[16:17], 0
	s_and_saveexec_b64 s[6:7], vcc
	s_cbranch_execz .LBB98_14
; %bb.13:
	s_lshl_b64 s[8:9], s[20:21], 7
	v_lshl_add_u64 v[16:17], v[4:5], 0, s[8:9]
	global_load_dwordx2 v[16:17], v[16:17], off
.LBB98_14:
	s_or_b64 exec, exec, s[6:7]
	v_add_u32_e32 v3, 24, v10
	v_cmp_gt_i32_e32 vcc, s24, v3
	s_waitcnt vmcnt(0)
	ds_write_b64 v1, v[16:17] offset:4224
	s_and_saveexec_b64 s[6:7], vcc
	s_cbranch_execz .LBB98_16
; %bb.15:
	v_mov_b32_e32 v3, 0xc0
	v_mad_u64_u32 v[8:9], s[8:9], s20, v3, v[4:5]
	s_mul_i32 s8, s21, 0xc0
	s_nop 0
	v_add_u32_e32 v9, s8, v9
	global_load_dwordx2 v[8:9], v[8:9], off
.LBB98_16:
	s_or_b64 exec, exec, s[6:7]
	s_waitcnt vmcnt(0)
	ds_write_b64 v1, v[8:9] offset:6336
	v_mov_b32_e32 v1, 0
	v_lshl_add_u64 v[4:5], v[4:5], 0, v[0:1]
	s_lshl_b64 s[6:7], s[24:25], 3
	v_mov_b32_e32 v1, s7
	v_subrev_co_u32_e32 v4, vcc, s6, v4
	s_nop 1
	v_subb_co_u32_e32 v5, vcc, v5, v1, vcc
	v_lshl_add_u64 v[4:5], v[4:5], 0, 8
	v_cndmask_b32_e64 v5, v5, v7, s[4:5]
	v_cndmask_b32_e64 v4, v4, v6, s[4:5]
	s_branch .LBB98_19
.LBB98_17:
                                        ; implicit-def: $vgpr4_vgpr5
	s_cbranch_execz .LBB98_19
; %bb.18:
	s_lshl_b64 s[4:5], s[20:21], 6
	v_lshl_add_u64 v[4:5], v[6:7], 0, s[4:5]
	v_lshl_add_u64 v[8:9], v[4:5], 0, s[4:5]
	;; [unrolled: 1-line block ×3, first 2 shown]
	global_load_dwordx2 v[18:19], v[6:7], off
	global_load_dwordx2 v[20:21], v[4:5], off
	;; [unrolled: 1-line block ×4, first 2 shown]
	v_mul_u32_u24_e32 v1, 0x108, v10
	v_lshl_add_u32 v1, v2, 3, v1
	v_mov_b64_e32 v[4:5], v[6:7]
	s_waitcnt vmcnt(3)
	ds_write_b64 v1, v[18:19]
	s_waitcnt vmcnt(2)
	ds_write_b64 v1, v[20:21] offset:2112
	s_waitcnt vmcnt(1)
	ds_write_b64 v1, v[24:25] offset:4224
	;; [unrolled: 2-line block ×3, first 2 shown]
.LBB98_19:
	v_lshlrev_b32_e32 v11, 3, v2
	v_lshlrev_b32_e32 v3, 2, v10
	v_lshl_or_b32 v1, v2, 8, v11
	v_cmp_gt_u32_e64 s[6:7], v3, v2
	v_lshl_add_u32 v1, v3, 3, v1
	s_waitcnt lgkmcnt(0)
	s_barrier
	s_and_saveexec_b64 s[4:5], s[6:7]
	s_cbranch_execz .LBB98_21
; %bb.20:
	s_movk_i32 s8, 0x420
	v_mad_u32_u24 v6, v10, s8, v11
	ds_read_b64 v[6:7], v6
	s_waitcnt lgkmcnt(0)
	ds_write_b64 v1, v[6:7]
.LBB98_21:
	s_or_b64 exec, exec, s[4:5]
	v_or_b32_e32 v16, 1, v3
	v_cmp_ge_u32_e64 s[8:9], v3, v2
	s_and_saveexec_b64 s[4:5], s[8:9]
	s_cbranch_execz .LBB98_23
; %bb.22:
	s_movk_i32 s10, 0x108
	v_mad_u32_u24 v6, v16, s10, v11
	ds_read_b64 v[6:7], v6
	s_waitcnt lgkmcnt(0)
	ds_write_b64 v1, v[6:7] offset:8
.LBB98_23:
	s_or_b64 exec, exec, s[4:5]
	v_or_b32_e32 v6, 2, v3
	v_cmp_gt_u32_e64 s[10:11], v6, v2
	s_and_saveexec_b64 s[4:5], s[10:11]
	s_cbranch_execz .LBB98_25
; %bb.24:
	s_movk_i32 s12, 0x108
	v_mad_u32_u24 v6, v6, s12, v11
	ds_read_b64 v[6:7], v6
	s_waitcnt lgkmcnt(0)
	ds_write_b64 v1, v[6:7] offset:16
.LBB98_25:
	s_or_b64 exec, exec, s[4:5]
	v_or_b32_e32 v7, 3, v3
	v_cmp_gt_u32_e64 s[12:13], v7, v2
	v_cmp_le_u32_e32 vcc, v7, v2
                                        ; implicit-def: $vgpr6
	s_and_saveexec_b64 s[4:5], vcc
	s_xor_b64 s[4:5], exec, s[4:5]
; %bb.26:
	v_mul_u32_u24_e32 v6, 0x108, v7
                                        ; implicit-def: $vgpr7
                                        ; implicit-def: $vgpr1
; %bb.27:
	s_andn2_saveexec_b64 s[4:5], s[4:5]
	s_cbranch_execz .LBB98_29
; %bb.28:
	s_movk_i32 s16, 0x108
	v_mad_u32_u24 v6, v7, s16, v11
	ds_read_b64 v[8:9], v6
	v_mul_u32_u24_e32 v6, 0x108, v7
	s_waitcnt lgkmcnt(0)
	ds_write_b64 v1, v[8:9] offset:24
.LBB98_29:
	s_or_b64 exec, exec, s[4:5]
	s_movk_i32 s4, 0x420
	v_mad_u32_u24 v1, v10, s4, v11
	s_movk_i32 s4, 0x108
	s_waitcnt lgkmcnt(0)
	s_barrier
	v_lshlrev_b32_e32 v17, 3, v3
	ds_read_b64 v[20:21], v1
	ds_read_b128 v[24:27], v17 offset:9088
	v_mad_u32_u24 v1, v16, s4, v11
	ds_read2_b64 v[28:31], v1 offset1:33
	v_add_u32_e32 v18, v11, v6
	ds_read_b128 v[6:9], v17 offset:9104
	ds_read_b64 v[32:33], v18
	s_waitcnt lgkmcnt(3)
	v_fma_f64 v[20:21], v[20:21], v[24:25], 0
	v_mul_u32_u24_e32 v1, 33, v2
	s_waitcnt lgkmcnt(2)
	v_fmac_f64_e32 v[20:21], v[28:29], v[26:27]
	s_waitcnt lgkmcnt(1)
	v_fmac_f64_e32 v[20:21], v[30:31], v[6:7]
	v_lshlrev_b32_e32 v23, 3, v1
	v_mov_b64_e32 v[50:51], 0
	s_waitcnt lgkmcnt(0)
	v_fmac_f64_e32 v[20:21], v[32:33], v[8:9]
	v_lshl_add_u32 v24, v10, 3, v23
	v_cmp_gt_u32_e64 s[4:5], 32, v22
	s_barrier
	ds_write_b64 v24, v[20:21]
	s_waitcnt lgkmcnt(0)
	s_barrier
	s_and_saveexec_b64 s[16:17], s[4:5]
	s_cbranch_execz .LBB98_31
; %bb.30:
	ds_read2_b64 v[6:9], v23 offset1:1
	ds_read2_b64 v[26:29], v23 offset0:2 offset1:3
	ds_read2_b64 v[30:33], v23 offset0:4 offset1:5
	s_waitcnt lgkmcnt(2)
	v_add_f64 v[20:21], v[6:7], v[8:9]
	ds_read2_b64 v[6:9], v23 offset0:6 offset1:7
	s_waitcnt lgkmcnt(2)
	v_add_f64 v[20:21], v[20:21], v[26:27]
	v_add_f64 v[20:21], v[20:21], v[28:29]
	s_waitcnt lgkmcnt(1)
	v_add_f64 v[20:21], v[20:21], v[30:31]
	v_add_f64 v[20:21], v[20:21], v[32:33]
	;; [unrolled: 3-line block ×3, first 2 shown]
.LBB98_31:
	s_or_b64 exec, exec, s[16:17]
	s_lshl_b64 s[16:17], s[20:21], 8
	v_lshl_add_u64 v[8:9], v[4:5], 0, s[16:17]
	s_mov_b64 s[16:17], 0x100
	v_lshl_add_u64 v[6:7], v[8:9], 0, s[16:17]
	s_and_b64 vcc, exec, s[22:23]
	s_barrier
	s_cbranch_vccz .LBB98_41
; %bb.32:
	v_sub_co_u32_e32 v4, vcc, v8, v0
	s_ashr_i32 s25, s24, 31
	s_nop 0
	v_subbrev_co_u32_e32 v5, vcc, 0, v9, vcc
	v_or_b32_e32 v1, 32, v2
	v_lshl_add_u64 v[4:5], s[24:25], 3, v[4:5]
	v_lshl_add_u64 v[4:5], v[4:5], 0, -8
	v_cmp_gt_i32_e32 vcc, s24, v1
	s_sub_i32 s37, s24, 32
	v_cmp_gt_i32_e64 s[16:17], s37, v10
	v_cndmask_b32_e32 v5, v5, v7, vcc
	v_cndmask_b32_e32 v4, v4, v6, vcc
	v_mov_b64_e32 v[20:21], 0
	v_mov_b64_e32 v[26:27], 0
	s_and_saveexec_b64 s[30:31], s[16:17]
	s_cbranch_execz .LBB98_34
; %bb.33:
	global_load_dwordx2 v[26:27], v[4:5], off
.LBB98_34:
	s_or_b64 exec, exec, s[30:31]
	s_movk_i32 s16, 0x108
	v_mad_u32_u24 v19, v10, s16, v11
	s_waitcnt vmcnt(0)
	ds_write_b64 v19, v[26:27]
	v_add_u32_e32 v19, 8, v10
	v_mul_u32_u24_e32 v1, 0x108, v10
	v_cmp_gt_i32_e64 s[16:17], s37, v19
	s_and_saveexec_b64 s[30:31], s[16:17]
	s_cbranch_execz .LBB98_36
; %bb.35:
	s_lshl_b64 s[16:17], s[20:21], 6
	v_lshl_add_u64 v[20:21], v[4:5], 0, s[16:17]
	global_load_dwordx2 v[20:21], v[20:21], off
.LBB98_36:
	s_or_b64 exec, exec, s[30:31]
	v_add_u32_e32 v1, v1, v11
	v_add_u32_e32 v19, 16, v10
	s_waitcnt vmcnt(0)
	ds_write_b64 v1, v[20:21] offset:2112
	v_cmp_gt_i32_e64 s[16:17], s37, v19
	v_mov_b64_e32 v[20:21], 0
	v_mov_b64_e32 v[26:27], 0
	s_and_saveexec_b64 s[30:31], s[16:17]
	s_cbranch_execz .LBB98_38
; %bb.37:
	s_lshl_b64 s[16:17], s[20:21], 7
	v_lshl_add_u64 v[26:27], v[4:5], 0, s[16:17]
	global_load_dwordx2 v[26:27], v[26:27], off
.LBB98_38:
	s_or_b64 exec, exec, s[30:31]
	v_add_u32_e32 v19, 24, v10
	v_cmp_gt_i32_e64 s[16:17], s37, v19
	s_waitcnt vmcnt(0)
	ds_write_b64 v1, v[26:27] offset:4224
	s_and_saveexec_b64 s[30:31], s[16:17]
	s_cbranch_execz .LBB98_40
; %bb.39:
	v_mov_b32_e32 v19, 0xc0
	v_mad_u64_u32 v[20:21], s[16:17], s20, v19, v[4:5]
	s_mul_i32 s16, s21, 0xc0
	s_nop 0
	v_add_u32_e32 v21, s16, v21
	global_load_dwordx2 v[20:21], v[20:21], off
.LBB98_40:
	s_or_b64 exec, exec, s[30:31]
	s_waitcnt vmcnt(0)
	ds_write_b64 v1, v[20:21] offset:6336
	v_mov_b32_e32 v1, 0
	v_lshl_add_u64 v[4:5], v[4:5], 0, v[0:1]
	s_lshl_b64 s[16:17], s[24:25], 3
	v_mov_b32_e32 v1, s17
	v_subrev_co_u32_e64 v4, s[16:17], s16, v4
	s_nop 1
	v_subb_co_u32_e64 v5, s[16:17], v5, v1, s[16:17]
	s_mov_b64 s[16:17], 0x108
	s_nop 0
	v_lshl_add_u64 v[4:5], v[4:5], 0, s[16:17]
	v_cndmask_b32_e32 v5, v5, v7, vcc
	v_cndmask_b32_e32 v4, v4, v6, vcc
	v_mul_u32_u24_e32 v1, 0x420, v10
	s_branch .LBB98_43
.LBB98_41:
                                        ; implicit-def: $vgpr4_vgpr5
	v_mul_u32_u24_e32 v1, 0x420, v10
	s_cbranch_execz .LBB98_43
; %bb.42:
	s_lshl_b64 s[16:17], s[20:21], 6
	v_lshl_add_u64 v[4:5], v[8:9], 0, s[16:17]
	v_lshl_add_u64 v[20:21], v[4:5], 0, s[16:17]
	;; [unrolled: 1-line block ×3, first 2 shown]
	global_load_dwordx2 v[28:29], v[8:9], off offset:256
	global_load_dwordx2 v[30:31], v[4:5], off offset:256
	;; [unrolled: 1-line block ×4, first 2 shown]
	s_movk_i32 s16, 0x108
	v_mad_u32_u24 v4, v10, s16, v11
	s_waitcnt vmcnt(3)
	ds_write_b64 v4, v[28:29]
	s_waitcnt vmcnt(2)
	ds_write_b64 v4, v[30:31] offset:2112
	s_waitcnt vmcnt(1)
	ds_write_b64 v4, v[32:33] offset:4224
	;; [unrolled: 2-line block ×3, first 2 shown]
	v_mov_b64_e32 v[4:5], v[6:7]
.LBB98_43:
	v_mul_u32_u24_e32 v6, 0x108, v16
	v_add_u32_e32 v8, v11, v1
	v_lshl_add_u32 v1, v3, 3, v23
	s_waitcnt lgkmcnt(0)
	s_barrier
	s_and_saveexec_b64 s[16:17], s[6:7]
	s_cbranch_execnz .LBB98_60
; %bb.44:
	s_or_b64 exec, exec, s[16:17]
	v_add_u32_e32 v19, v11, v6
	s_and_saveexec_b64 s[6:7], s[8:9]
	s_cbranch_execnz .LBB98_61
.LBB98_45:
	s_or_b64 exec, exec, s[6:7]
	s_and_saveexec_b64 s[6:7], s[10:11]
	s_cbranch_execnz .LBB98_62
.LBB98_46:
	s_or_b64 exec, exec, s[6:7]
	v_add_u32_e32 v25, 0x2380, v17
	s_and_saveexec_b64 s[6:7], s[12:13]
	s_cbranch_execz .LBB98_48
.LBB98_47:
	ds_read_b64 v[6:7], v18
	s_waitcnt lgkmcnt(0)
	ds_write_b64 v1, v[6:7] offset:24
.LBB98_48:
	s_or_b64 exec, exec, s[6:7]
	s_waitcnt lgkmcnt(0)
	s_barrier
	ds_read_b64 v[6:7], v8
	ds_read_b128 v[26:29], v25 offset:256
	ds_read2_b64 v[30:33], v19 offset1:33
	ds_read_b128 v[34:37], v25 offset:272
	ds_read_b64 v[16:17], v18
	v_cmp_eq_u32_e64 s[6:7], 1, v10
	s_waitcnt lgkmcnt(3)
	v_fma_f64 v[6:7], v[6:7], v[26:27], 0
	s_waitcnt lgkmcnt(2)
	v_fmac_f64_e32 v[6:7], v[30:31], v[28:29]
	s_waitcnt lgkmcnt(1)
	v_fmac_f64_e32 v[6:7], v[32:33], v[34:35]
	;; [unrolled: 2-line block ×3, first 2 shown]
	s_barrier
	ds_write_b64 v24, v[6:7]
	s_waitcnt lgkmcnt(0)
	s_barrier
	s_and_saveexec_b64 s[8:9], s[6:7]
	s_cbranch_execz .LBB98_50
; %bb.49:
	ds_read2_b64 v[26:29], v23 offset1:1
	ds_read2_b64 v[30:33], v23 offset0:2 offset1:3
	ds_read2_b64 v[34:37], v23 offset0:4 offset1:5
	s_waitcnt lgkmcnt(2)
	v_add_f64 v[6:7], v[26:27], v[28:29]
	ds_read2_b64 v[26:29], v23 offset0:6 offset1:7
	s_waitcnt lgkmcnt(2)
	v_add_f64 v[6:7], v[6:7], v[30:31]
	v_add_f64 v[6:7], v[6:7], v[32:33]
	s_waitcnt lgkmcnt(1)
	v_add_f64 v[6:7], v[6:7], v[34:35]
	v_add_f64 v[6:7], v[6:7], v[36:37]
	;; [unrolled: 3-line block ×3, first 2 shown]
.LBB98_50:
	s_or_b64 exec, exec, s[8:9]
	s_movk_i32 s8, 0xff00
	s_mov_b32 s9, -1
	v_lshl_add_u64 v[6:7], v[4:5], 0, s[8:9]
	s_and_b64 vcc, exec, s[22:23]
	s_barrier
	s_cbranch_vccz .LBB98_63
; %bb.51:
	v_sub_co_u32_e32 v16, vcc, v4, v0
	s_ashr_i32 s25, s24, 31
	s_nop 0
	v_subbrev_co_u32_e32 v17, vcc, 0, v5, vcc
	s_movk_i32 s8, 0xfef8
	v_lshl_add_u64 v[16:17], s[24:25], 3, v[16:17]
	s_mov_b32 s9, -1
	v_lshl_add_u64 v[16:17], v[16:17], 0, s[8:9]
	v_cmp_gt_i32_e32 vcc, s24, v2
	s_sub_i32 s12, s24, 32
	v_cmp_gt_i32_e64 s[8:9], s12, v10
	v_cndmask_b32_e32 v3, v17, v7, vcc
	v_cndmask_b32_e32 v2, v16, v6, vcc
	v_mov_b64_e32 v[16:17], 0
	v_mov_b64_e32 v[20:21], 0
	s_and_saveexec_b64 s[10:11], s[8:9]
	s_cbranch_execz .LBB98_53
; %bb.52:
	global_load_dwordx2 v[20:21], v[2:3], off
.LBB98_53:
	s_or_b64 exec, exec, s[10:11]
	s_movk_i32 s8, 0x108
	v_mad_u32_u24 v9, v10, s8, v11
	s_waitcnt vmcnt(0)
	ds_write_b64 v9, v[20:21]
	v_add_u32_e32 v9, 8, v10
	v_mul_u32_u24_e32 v1, 0x108, v10
	v_cmp_gt_i32_e64 s[8:9], s12, v9
	s_and_saveexec_b64 s[10:11], s[8:9]
	s_cbranch_execz .LBB98_55
; %bb.54:
	s_lshl_b64 s[8:9], s[20:21], 6
	v_lshl_add_u64 v[16:17], v[2:3], 0, s[8:9]
	global_load_dwordx2 v[16:17], v[16:17], off
.LBB98_55:
	s_or_b64 exec, exec, s[10:11]
	v_add_u32_e32 v1, v1, v11
	v_add_u32_e32 v20, 16, v10
	s_waitcnt vmcnt(0)
	ds_write_b64 v1, v[16:17] offset:2112
	v_cmp_gt_i32_e64 s[8:9], s12, v20
	v_mov_b64_e32 v[16:17], 0
	v_mov_b64_e32 v[26:27], 0
	s_and_saveexec_b64 s[10:11], s[8:9]
	s_cbranch_execz .LBB98_57
; %bb.56:
	s_lshl_b64 s[8:9], s[20:21], 7
	v_lshl_add_u64 v[26:27], v[2:3], 0, s[8:9]
	global_load_dwordx2 v[26:27], v[26:27], off
.LBB98_57:
	s_or_b64 exec, exec, s[10:11]
	v_add_u32_e32 v21, 24, v10
	v_cmp_gt_i32_e64 s[8:9], s12, v21
	s_waitcnt vmcnt(0)
	ds_write_b64 v1, v[26:27] offset:4224
	s_and_saveexec_b64 s[10:11], s[8:9]
	s_cbranch_execz .LBB98_59
; %bb.58:
	v_mov_b32_e32 v16, 0xc0
	v_mad_u64_u32 v[16:17], s[8:9], s20, v16, v[2:3]
	s_mul_i32 s8, s21, 0xc0
	s_nop 0
	v_add_u32_e32 v17, s8, v17
	global_load_dwordx2 v[16:17], v[16:17], off
.LBB98_59:
	s_or_b64 exec, exec, s[10:11]
	s_waitcnt vmcnt(0)
	ds_write_b64 v1, v[16:17] offset:6336
	v_mov_b32_e32 v1, 0
	v_lshl_add_u64 v[0:1], v[2:3], 0, v[0:1]
	s_lshl_b64 s[8:9], s[24:25], 3
	v_mov_b32_e32 v2, s9
	v_subrev_co_u32_e64 v0, s[8:9], s8, v0
	s_nop 1
	v_subb_co_u32_e64 v1, s[8:9], v1, v2, s[8:9]
	v_lshl_add_u64 v[0:1], v[0:1], 0, 8
	v_cndmask_b32_e32 v17, v1, v7, vcc
	v_cndmask_b32_e32 v16, v0, v6, vcc
	s_branch .LBB98_65
.LBB98_60:
	ds_read_b64 v[20:21], v8
	s_waitcnt lgkmcnt(0)
	ds_write_b64 v1, v[20:21]
	s_or_b64 exec, exec, s[16:17]
	v_add_u32_e32 v19, v11, v6
	s_and_saveexec_b64 s[6:7], s[8:9]
	s_cbranch_execz .LBB98_45
.LBB98_61:
	ds_read_b64 v[6:7], v19
	s_waitcnt lgkmcnt(0)
	ds_write_b64 v1, v[6:7] offset:8
	s_or_b64 exec, exec, s[6:7]
	s_and_saveexec_b64 s[6:7], s[10:11]
	s_cbranch_execz .LBB98_46
.LBB98_62:
	ds_read_b64 v[6:7], v19 offset:264
	s_waitcnt lgkmcnt(0)
	ds_write_b64 v1, v[6:7] offset:16
	s_or_b64 exec, exec, s[6:7]
	v_add_u32_e32 v25, 0x2380, v17
	s_and_saveexec_b64 s[6:7], s[12:13]
	s_cbranch_execnz .LBB98_47
	s_branch .LBB98_48
.LBB98_63:
                                        ; implicit-def: $vgpr16_vgpr17
                                        ; implicit-def: $vgpr9
                                        ; implicit-def: $vgpr20
                                        ; implicit-def: $vgpr21
	s_cbranch_execz .LBB98_65
; %bb.64:
	s_lshl_b64 s[8:9], s[20:21], 6
	v_lshl_add_u64 v[0:1], v[4:5], 0, s[8:9]
	v_lshl_add_u64 v[2:3], v[0:1], 0, s[8:9]
	;; [unrolled: 1-line block ×3, first 2 shown]
	global_load_dwordx2 v[26:27], v[4:5], off offset:-256
	global_load_dwordx2 v[28:29], v[0:1], off offset:-256
	;; [unrolled: 1-line block ×4, first 2 shown]
	s_movk_i32 s8, 0x108
	v_add_u32_e32 v9, 8, v10
	v_add_u32_e32 v20, 16, v10
	;; [unrolled: 1-line block ×3, first 2 shown]
	v_mad_u32_u24 v0, v10, s8, v11
	v_mov_b64_e32 v[16:17], v[6:7]
	s_waitcnt vmcnt(3)
	ds_write_b64 v0, v[26:27]
	s_waitcnt vmcnt(2)
	ds_write_b64 v0, v[28:29] offset:2112
	s_waitcnt vmcnt(1)
	ds_write_b64 v0, v[30:31] offset:4224
	;; [unrolled: 2-line block ×3, first 2 shown]
.LBB98_65:
	v_lshlrev_b32_e32 v0, 3, v10
	v_add_u32_e32 v1, v23, v0
	s_waitcnt lgkmcnt(0)
	s_barrier
	v_lshlrev_b32_e32 v2, 3, v9
	ds_read_b64 v[26:27], v1
	ds_read_b64 v[28:29], v2 offset:9088
	ds_read_b64 v[30:31], v0 offset:9088
	v_add_u32_e32 v0, v23, v2
	v_lshlrev_b32_e32 v1, 3, v20
	v_add_u32_e32 v2, v23, v1
	v_lshlrev_b32_e32 v3, 3, v21
	ds_read_b64 v[32:33], v0
	ds_read_b64 v[34:35], v2
	ds_read_b64 v[36:37], v3 offset:9088
	ds_read_b64 v[38:39], v1 offset:9088
	s_waitcnt lgkmcnt(4)
	v_fma_f64 v[26:27], v[26:27], v[30:31], 0
	s_waitcnt lgkmcnt(3)
	v_fmac_f64_e32 v[26:27], v[32:33], v[28:29]
	v_add_u32_e32 v0, v23, v3
	ds_read_b64 v[40:41], v0
	ds_read_b64 v[20:21], v8
	ds_read_b128 v[8:11], v25 offset:256
	ds_read_b128 v[0:3], v25 offset:272
	ds_read2_b64 v[4:7], v19 offset1:33
	ds_read_b64 v[18:19], v18
	s_waitcnt lgkmcnt(6)
	v_fmac_f64_e32 v[26:27], v[34:35], v[38:39]
	s_waitcnt lgkmcnt(5)
	v_fmac_f64_e32 v[26:27], v[40:41], v[36:37]
	s_waitcnt lgkmcnt(0)
	s_barrier
	ds_write_b64 v24, v[26:27]
	s_waitcnt lgkmcnt(0)
	s_barrier
	s_and_saveexec_b64 s[8:9], s[6:7]
	s_cbranch_execz .LBB98_67
; %bb.66:
	ds_read2_b64 v[26:29], v23 offset1:1
	ds_read2_b64 v[30:33], v23 offset0:2 offset1:3
	ds_read2_b64 v[34:37], v23 offset0:4 offset1:5
	s_waitcnt lgkmcnt(2)
	v_add_f64 v[26:27], v[50:51], v[26:27]
	v_add_f64 v[38:39], v[26:27], v[28:29]
	ds_read2_b64 v[26:29], v23 offset0:6 offset1:7
	s_waitcnt lgkmcnt(2)
	v_add_f64 v[30:31], v[38:39], v[30:31]
	v_add_f64 v[30:31], v[30:31], v[32:33]
	s_waitcnt lgkmcnt(1)
	v_add_f64 v[30:31], v[30:31], v[34:35]
	v_add_f64 v[30:31], v[30:31], v[36:37]
	s_waitcnt lgkmcnt(0)
	v_add_f64 v[26:27], v[30:31], v[26:27]
	v_add_f64 v[50:51], v[26:27], v[28:29]
.LBB98_67:
	s_or_b64 exec, exec, s[8:9]
	v_fma_f64 v[8:9], v[20:21], v[8:9], 0
	v_fmac_f64_e32 v[8:9], v[4:5], v[10:11]
	v_fmac_f64_e32 v[8:9], v[6:7], v[0:1]
	;; [unrolled: 1-line block ×3, first 2 shown]
	s_barrier
	ds_write_b64 v24, v[8:9]
	s_waitcnt lgkmcnt(0)
	s_barrier
	s_and_saveexec_b64 s[6:7], s[4:5]
	s_cbranch_execz .LBB98_69
; %bb.68:
	ds_read2_b64 v[0:3], v23 offset1:1
	ds_read2_b64 v[4:7], v23 offset0:2 offset1:3
	ds_read2_b64 v[8:11], v23 offset0:4 offset1:5
	s_waitcnt lgkmcnt(2)
	v_add_f64 v[0:1], v[50:51], v[0:1]
	v_add_f64 v[18:19], v[0:1], v[2:3]
	ds_read2_b64 v[0:3], v23 offset0:6 offset1:7
	s_waitcnt lgkmcnt(2)
	v_add_f64 v[4:5], v[18:19], v[4:5]
	v_add_f64 v[4:5], v[4:5], v[6:7]
	s_waitcnt lgkmcnt(1)
	v_add_f64 v[4:5], v[4:5], v[8:9]
	v_add_f64 v[4:5], v[4:5], v[10:11]
	;; [unrolled: 3-line block ×3, first 2 shown]
.LBB98_69:
	s_or_b64 exec, exec, s[6:7]
	s_load_dwordx2 s[0:1], s[0:1], 0x68
	s_mul_hi_u32 s4, s35, s3
	s_mul_i32 s36, s36, s3
	s_add_i32 s4, s4, s36
	s_mul_i32 s3, s35, s3
	s_mul_i32 s4, s4, s33
	s_mul_hi_u32 s5, s3, s33
	s_add_i32 s5, s5, s4
	s_mul_i32 s4, s3, s33
	s_lshl_b64 s[4:5], s[4:5], 3
	s_waitcnt lgkmcnt(0)
	s_add_u32 s3, s0, s4
	s_addc_u32 s4, s1, s5
	s_mul_hi_i32 s1, s35, s2
	s_mul_i32 s0, s35, s2
	s_lshl_b64 s[0:1], s[0:1], 3
	s_add_u32 s6, s3, s0
	s_addc_u32 s7, s4, s1
	s_add_i32 s0, s2, 1
	s_cmp_ge_u32 s0, s33
	v_lshlrev_b32_e32 v52, 3, v122
	s_barrier
	s_cbranch_scc1 .LBB98_126
; %bb.70:
	s_mul_i32 s0, s28, s27
	s_mul_hi_u32 s1, s28, s26
	s_add_i32 s0, s1, s0
	s_mul_i32 s1, s29, s26
	s_add_i32 s1, s0, s1
	s_mul_i32 s0, s28, s26
	s_lshl_b64 s[0:1], s[0:1], 3
	v_mov_b32_e32 v0, s1
	v_subrev_co_u32_e32 v54, vcc, s0, v12
	v_and_b32_e32 v1, 15, v122
	s_nop 0
	v_subb_co_u32_e32 v55, vcc, v13, v0, vcc
	v_lshrrev_b32_e32 v0, 4, v22
	v_lshlrev_b32_e32 v2, 5, v0
	v_mul_i32_i24_e32 v38, 0xffffffe8, v0
	v_and_b32_e32 v0, 48, v122
	v_lshlrev_b32_e32 v36, 5, v123
	s_movk_i32 s4, 0x218
	v_lshlrev_b32_e32 v0, 3, v0
	v_mad_u32_u24 v130, v1, s4, v0
	v_or_b32_e32 v0, 0x78, v52
	v_add_u32_e32 v3, 0x100, v36
	v_mad_u32_u24 v129, v1, s4, v2
	v_mad_u32_u24 v131, v1, s4, v0
	v_mad_u64_u32 v[0:1], s[4:5], s20, v3, 0
	v_mov_b32_e32 v2, v1
	v_lshlrev_b64 v[4:5], 3, v[14:15]
	v_mad_u64_u32 v[2:3], s[4:5], s21, v3, v[2:3]
	v_sub_co_u32_e32 v0, vcc, v0, v4
	v_add_u32_e32 v7, 0x110, v36
	s_nop 0
	v_subb_co_u32_e32 v1, vcc, v2, v5, vcc
	v_mad_u64_u32 v[2:3], s[4:5], s20, v7, 0
	v_mov_b32_e32 v6, v3
	v_mad_u64_u32 v[6:7], s[4:5], s21, v7, v[6:7]
	v_sub_co_u32_e32 v2, vcc, v2, v4
	v_add_u32_e32 v9, 0x118, v36
	s_nop 0
	v_subb_co_u32_e32 v3, vcc, v6, v5, vcc
	v_mad_u64_u32 v[6:7], s[4:5], s20, v9, 0
	v_mov_b32_e32 v8, v7
	;; [unrolled: 7-line block ×7, first 2 shown]
	v_mad_u64_u32 v[20:21], s[4:5], s21, v21, v[20:21]
	v_sub_co_u32_e32 v18, vcc, v18, v4
	v_add_u32_e32 v23, 0x200, v36
	s_movk_i32 s0, 0x860
	v_subb_co_u32_e32 v19, vcc, v20, v5, vcc
	v_mad_u64_u32 v[20:21], s[4:5], s20, v23, 0
	v_mad_u32_u24 v128, v123, s0, v52
	v_cmp_gt_u32_e64 s[0:1], 64, v22
	v_mov_b32_e32 v22, v21
	v_mad_u64_u32 v[22:23], s[4:5], s21, v23, v[22:23]
	v_sub_co_u32_e32 v20, vcc, v20, v4
	v_add_u32_e32 v25, 0x208, v36
	s_nop 0
	v_subb_co_u32_e32 v21, vcc, v22, v5, vcc
	v_mad_u64_u32 v[22:23], s[4:5], s20, v25, 0
	v_mov_b32_e32 v24, v23
	v_mad_u64_u32 v[24:25], s[4:5], s21, v25, v[24:25]
	v_sub_co_u32_e32 v22, vcc, v22, v4
	v_add_u32_e32 v27, 0x210, v36
	s_nop 0
	v_subb_co_u32_e32 v23, vcc, v24, v5, vcc
	v_mad_u64_u32 v[24:25], s[4:5], s20, v27, 0
	;; [unrolled: 7-line block ×7, first 2 shown]
	v_add_u32_e32 v126, 0x2180, v36
	v_mov_b32_e32 v36, v35
	v_mad_u64_u32 v[36:37], s[4:5], s21, v37, v[36:37]
	v_sub_co_u32_e32 v4, vcc, v34, v4
	v_lshlrev_b32_e32 v124, 2, v123
	s_nop 0
	v_subb_co_u32_e32 v5, vcc, v36, v5, vcc
	s_add_i32 s3, s33, -2
	v_add_u32_e32 v125, 0x2180, v52
	v_add_u32_e32 v127, 0x2380, v52
	v_or_b32_e32 v132, 1, v124
	v_or_b32_e32 v133, 2, v124
	;; [unrolled: 1-line block ×3, first 2 shown]
	v_add_u32_e32 v135, 16, v124
	v_add_u32_e32 v136, 17, v124
	;; [unrolled: 1-line block ×8, first 2 shown]
	v_lshl_add_u64 v[56:57], v[16:17], 0, v[0:1]
	v_lshl_add_u64 v[58:59], v[16:17], 0, v[2:3]
	;; [unrolled: 1-line block ×16, first 2 shown]
	v_add_u32_e32 v143, 48, v124
	v_add_u32_e32 v144, 49, v124
	s_add_i32 s16, s26, 64
	v_mov_b32_e32 v53, 0
	s_lshl_b64 s[8:9], s[20:21], 9
	v_add_u32_e32 v145, v129, v38
	v_add_u32_e32 v146, 50, v124
	;; [unrolled: 1-line block ×3, first 2 shown]
	s_cmp_eq_u32 s3, s2
	s_cselect_b32 s17, s34, 0
	s_and_saveexec_b64 s[4:5], s[14:15]
	s_cbranch_execz .LBB98_74
.LBB98_71:
	s_cmp_eq_u32 s17, 0
	s_cselect_b64 s[10:11], -1, 0
	v_cmp_gt_i32_e32 vcc, s17, v122
	s_or_b64 s[12:13], s[10:11], vcc
	v_mov_b64_e32 v[0:1], 0
	s_and_saveexec_b64 s[10:11], s[12:13]
	s_cbranch_execz .LBB98_73
; %bb.72:
	s_ashr_i32 s12, s16, 31
	s_mul_hi_u32 s13, s28, s16
	s_mul_i32 s12, s28, s12
	s_add_i32 s12, s13, s12
	s_mul_i32 s13, s29, s16
	s_add_i32 s13, s12, s13
	s_mul_i32 s12, s28, s16
	v_lshl_add_u64 v[0:1], s[12:13], 3, v[54:55]
	global_load_dwordx2 v[0:1], v[0:1], off
.LBB98_73:
	s_or_b64 exec, exec, s[10:11]
	s_waitcnt vmcnt(0)
	ds_write_b64 v125, v[0:1]
.LBB98_74:                              ; =>This Inner Loop Header: Depth=1
	s_or_b64 exec, exec, s[4:5]
	s_cmp_eq_u32 s17, 0
	s_cselect_b64 s[10:11], -1, 0
	s_cmp_lg_u32 s17, 0
	s_cselect_b64 s[12:13], -1, 0
	v_lshl_add_u64 v[0:1], v[56:57], 0, v[52:53]
	s_mov_b64 s[4:5], -1
	s_and_b64 vcc, exec, s[12:13]
	s_waitcnt lgkmcnt(0)
	s_barrier
                                        ; implicit-def: $vgpr92_vgpr93
                                        ; implicit-def: $vgpr94_vgpr95
                                        ; implicit-def: $vgpr88_vgpr89
                                        ; implicit-def: $vgpr90_vgpr91
	s_cbranch_vccz .LBB98_84
; %bb.75:                               ;   in Loop: Header=BB98_74 Depth=1
	v_cmp_gt_i32_e32 vcc, s17, v124
	v_mov_b64_e32 v[88:89], 0
	v_mov_b64_e32 v[90:91], 0
	s_and_saveexec_b64 s[4:5], vcc
	s_cbranch_execz .LBB98_77
; %bb.76:                               ;   in Loop: Header=BB98_74 Depth=1
	global_load_dwordx2 v[90:91], v[0:1], off
.LBB98_77:                              ;   in Loop: Header=BB98_74 Depth=1
	s_or_b64 exec, exec, s[4:5]
	v_cmp_gt_i32_e32 vcc, s17, v132
	s_and_saveexec_b64 s[4:5], vcc
	s_cbranch_execz .LBB98_79
; %bb.78:                               ;   in Loop: Header=BB98_74 Depth=1
	v_lshl_add_u64 v[2:3], v[62:63], 0, v[52:53]
	global_load_dwordx2 v[88:89], v[2:3], off
.LBB98_79:                              ;   in Loop: Header=BB98_74 Depth=1
	s_or_b64 exec, exec, s[4:5]
	v_cmp_gt_i32_e32 vcc, s17, v133
	v_mov_b64_e32 v[92:93], 0
	v_mov_b64_e32 v[94:95], 0
	s_and_saveexec_b64 s[4:5], vcc
	s_cbranch_execz .LBB98_81
; %bb.80:                               ;   in Loop: Header=BB98_74 Depth=1
	v_lshl_add_u64 v[2:3], v[58:59], 0, v[52:53]
	global_load_dwordx2 v[94:95], v[2:3], off
.LBB98_81:                              ;   in Loop: Header=BB98_74 Depth=1
	s_or_b64 exec, exec, s[4:5]
	v_cmp_gt_i32_e32 vcc, s17, v134
	s_and_saveexec_b64 s[4:5], vcc
	s_cbranch_execz .LBB98_83
; %bb.82:                               ;   in Loop: Header=BB98_74 Depth=1
	v_lshl_add_u64 v[2:3], v[60:61], 0, v[52:53]
	global_load_dwordx2 v[92:93], v[2:3], off
.LBB98_83:                              ;   in Loop: Header=BB98_74 Depth=1
	s_or_b64 exec, exec, s[4:5]
	s_mov_b64 s[4:5], 0
.LBB98_84:                              ;   in Loop: Header=BB98_74 Depth=1
	s_and_b64 vcc, exec, s[4:5]
	s_cbranch_vccz .LBB98_86
; %bb.85:                               ;   in Loop: Header=BB98_74 Depth=1
	global_load_dwordx2 v[90:91], v[0:1], off
	v_lshl_add_u64 v[0:1], v[62:63], 0, v[52:53]
	global_load_dwordx2 v[88:89], v[0:1], off
	v_lshl_add_u64 v[0:1], v[58:59], 0, v[52:53]
	;; [unrolled: 2-line block ×3, first 2 shown]
	global_load_dwordx2 v[92:93], v[0:1], off
.LBB98_86:                              ;   in Loop: Header=BB98_74 Depth=1
	ds_read_b64 v[8:9], v127
	ds_read_b128 v[4:7], v126
	ds_read_b128 v[0:3], v126 offset:16
	s_andn2_b64 vcc, exec, s[12:13]
                                        ; implicit-def: $vgpr100_vgpr101
                                        ; implicit-def: $vgpr102_vgpr103
                                        ; implicit-def: $vgpr96_vgpr97
                                        ; implicit-def: $vgpr98_vgpr99
	s_waitcnt vmcnt(0) lgkmcnt(2)
	v_mul_f64 v[10:11], v[90:91], v[8:9]
	v_mul_f64 v[12:13], v[88:89], v[8:9]
	;; [unrolled: 1-line block ×4, first 2 shown]
	ds_write2_b64 v128, v[10:11], v[12:13] offset1:67
	ds_write2_b64 v128, v[14:15], v[8:9] offset0:134 offset1:201
	s_waitcnt lgkmcnt(0)
	s_barrier
	ds_read2_b64 v[20:23], v129 offset1:1
	ds_read2_b64 v[16:19], v129 offset0:2 offset1:3
	v_cndmask_b32_e64 v10, 0, 1, s[12:13]
	v_lshl_add_u64 v[8:9], v[64:65], 0, v[52:53]
	v_cmp_ne_u32_e64 s[4:5], 1, v10
	s_mov_b64 s[12:13], -1
	s_waitcnt lgkmcnt(0)
	s_barrier
	s_cbranch_vccnz .LBB98_96
; %bb.87:                               ;   in Loop: Header=BB98_74 Depth=1
	v_cmp_gt_i32_e32 vcc, s17, v135
	v_mov_b64_e32 v[96:97], 0
	v_mov_b64_e32 v[98:99], 0
	s_and_saveexec_b64 s[12:13], vcc
	s_cbranch_execz .LBB98_89
; %bb.88:                               ;   in Loop: Header=BB98_74 Depth=1
	global_load_dwordx2 v[98:99], v[8:9], off
.LBB98_89:                              ;   in Loop: Header=BB98_74 Depth=1
	s_or_b64 exec, exec, s[12:13]
	v_cmp_gt_i32_e32 vcc, s17, v136
	s_and_saveexec_b64 s[12:13], vcc
	s_cbranch_execz .LBB98_91
; %bb.90:                               ;   in Loop: Header=BB98_74 Depth=1
	v_lshl_add_u64 v[10:11], v[66:67], 0, v[52:53]
	global_load_dwordx2 v[96:97], v[10:11], off
.LBB98_91:                              ;   in Loop: Header=BB98_74 Depth=1
	s_or_b64 exec, exec, s[12:13]
	v_cmp_gt_i32_e32 vcc, s17, v137
	v_mov_b64_e32 v[100:101], 0
	v_mov_b64_e32 v[102:103], 0
	s_and_saveexec_b64 s[12:13], vcc
	s_cbranch_execz .LBB98_93
; %bb.92:                               ;   in Loop: Header=BB98_74 Depth=1
	v_lshl_add_u64 v[10:11], v[68:69], 0, v[52:53]
	global_load_dwordx2 v[102:103], v[10:11], off
.LBB98_93:                              ;   in Loop: Header=BB98_74 Depth=1
	s_or_b64 exec, exec, s[12:13]
	v_cmp_gt_i32_e32 vcc, s17, v138
	s_and_saveexec_b64 s[12:13], vcc
	s_cbranch_execz .LBB98_95
; %bb.94:                               ;   in Loop: Header=BB98_74 Depth=1
	v_lshl_add_u64 v[10:11], v[70:71], 0, v[52:53]
	global_load_dwordx2 v[100:101], v[10:11], off
.LBB98_95:                              ;   in Loop: Header=BB98_74 Depth=1
	s_or_b64 exec, exec, s[12:13]
	s_mov_b64 s[12:13], 0
.LBB98_96:                              ;   in Loop: Header=BB98_74 Depth=1
	s_and_b64 vcc, exec, s[12:13]
	s_cbranch_vccz .LBB98_98
; %bb.97:                               ;   in Loop: Header=BB98_74 Depth=1
	global_load_dwordx2 v[98:99], v[8:9], off
	v_lshl_add_u64 v[8:9], v[66:67], 0, v[52:53]
	global_load_dwordx2 v[96:97], v[8:9], off
	v_lshl_add_u64 v[8:9], v[68:69], 0, v[52:53]
	;; [unrolled: 2-line block ×3, first 2 shown]
	global_load_dwordx2 v[100:101], v[8:9], off
.LBB98_98:                              ;   in Loop: Header=BB98_74 Depth=1
	ds_read_b64 v[24:25], v127
	ds_read_b128 v[12:15], v126 offset:128
	ds_read_b128 v[8:11], v126 offset:144
	s_and_b64 vcc, exec, s[4:5]
	s_mov_b64 s[12:13], -1
	s_waitcnt vmcnt(0) lgkmcnt(2)
	v_mul_f64 v[26:27], v[98:99], v[24:25]
	v_mul_f64 v[28:29], v[96:97], v[24:25]
	;; [unrolled: 1-line block ×4, first 2 shown]
	ds_write2_b64 v128, v[26:27], v[28:29] offset1:67
	ds_write2_b64 v128, v[30:31], v[24:25] offset0:134 offset1:201
	s_waitcnt lgkmcnt(0)
	s_barrier
	ds_read2_b64 v[36:39], v129 offset1:1
	ds_read2_b64 v[32:35], v129 offset0:2 offset1:3
	v_lshl_add_u64 v[24:25], v[72:73], 0, v[52:53]
	s_waitcnt lgkmcnt(0)
	s_barrier
                                        ; implicit-def: $vgpr108_vgpr109
                                        ; implicit-def: $vgpr110_vgpr111
                                        ; implicit-def: $vgpr104_vgpr105
                                        ; implicit-def: $vgpr106_vgpr107
	s_cbranch_vccnz .LBB98_108
; %bb.99:                               ;   in Loop: Header=BB98_74 Depth=1
	v_cmp_gt_i32_e32 vcc, s17, v139
	v_mov_b64_e32 v[104:105], 0
	v_mov_b64_e32 v[106:107], 0
	s_and_saveexec_b64 s[12:13], vcc
	s_cbranch_execz .LBB98_101
; %bb.100:                              ;   in Loop: Header=BB98_74 Depth=1
	global_load_dwordx2 v[106:107], v[24:25], off
.LBB98_101:                             ;   in Loop: Header=BB98_74 Depth=1
	s_or_b64 exec, exec, s[12:13]
	v_cmp_gt_i32_e32 vcc, s17, v140
	s_and_saveexec_b64 s[12:13], vcc
	s_cbranch_execz .LBB98_103
; %bb.102:                              ;   in Loop: Header=BB98_74 Depth=1
	v_lshl_add_u64 v[26:27], v[74:75], 0, v[52:53]
	global_load_dwordx2 v[104:105], v[26:27], off
.LBB98_103:                             ;   in Loop: Header=BB98_74 Depth=1
	s_or_b64 exec, exec, s[12:13]
	v_cmp_gt_i32_e32 vcc, s17, v141
	v_mov_b64_e32 v[108:109], 0
	v_mov_b64_e32 v[110:111], 0
	s_and_saveexec_b64 s[12:13], vcc
	s_cbranch_execz .LBB98_105
; %bb.104:                              ;   in Loop: Header=BB98_74 Depth=1
	v_lshl_add_u64 v[26:27], v[76:77], 0, v[52:53]
	global_load_dwordx2 v[110:111], v[26:27], off
.LBB98_105:                             ;   in Loop: Header=BB98_74 Depth=1
	s_or_b64 exec, exec, s[12:13]
	v_cmp_gt_i32_e32 vcc, s17, v142
	s_and_saveexec_b64 s[12:13], vcc
	s_cbranch_execz .LBB98_107
; %bb.106:                              ;   in Loop: Header=BB98_74 Depth=1
	v_lshl_add_u64 v[26:27], v[78:79], 0, v[52:53]
	global_load_dwordx2 v[108:109], v[26:27], off
.LBB98_107:                             ;   in Loop: Header=BB98_74 Depth=1
	s_or_b64 exec, exec, s[12:13]
	s_mov_b64 s[12:13], 0
.LBB98_108:                             ;   in Loop: Header=BB98_74 Depth=1
	s_and_b64 vcc, exec, s[12:13]
	s_cbranch_vccz .LBB98_110
; %bb.109:                              ;   in Loop: Header=BB98_74 Depth=1
	global_load_dwordx2 v[106:107], v[24:25], off
	v_lshl_add_u64 v[24:25], v[74:75], 0, v[52:53]
	global_load_dwordx2 v[104:105], v[24:25], off
	v_lshl_add_u64 v[24:25], v[76:77], 0, v[52:53]
	;; [unrolled: 2-line block ×3, first 2 shown]
	global_load_dwordx2 v[108:109], v[24:25], off
.LBB98_110:                             ;   in Loop: Header=BB98_74 Depth=1
	ds_read_b64 v[40:41], v127
	ds_read_b128 v[28:31], v126 offset:256
	ds_read_b128 v[24:27], v126 offset:272
	v_lshl_add_u64 v[120:121], v[80:81], 0, v[52:53]
	s_and_b64 vcc, exec, s[4:5]
	s_waitcnt vmcnt(0) lgkmcnt(2)
	v_mul_f64 v[42:43], v[106:107], v[40:41]
	v_mul_f64 v[44:45], v[104:105], v[40:41]
	;; [unrolled: 1-line block ×4, first 2 shown]
	ds_write2_b64 v128, v[42:43], v[44:45] offset1:67
	ds_write2_b64 v128, v[46:47], v[40:41] offset0:134 offset1:201
	s_waitcnt lgkmcnt(0)
	s_barrier
	ds_read2_b64 v[44:47], v129 offset1:1
	ds_read2_b64 v[40:43], v129 offset0:2 offset1:3
	s_mov_b64 s[4:5], -1
	s_waitcnt lgkmcnt(0)
	s_barrier
                                        ; implicit-def: $vgpr116_vgpr117
                                        ; implicit-def: $vgpr118_vgpr119
                                        ; implicit-def: $vgpr112_vgpr113
                                        ; implicit-def: $vgpr114_vgpr115
	s_cbranch_vccnz .LBB98_120
; %bb.111:                              ;   in Loop: Header=BB98_74 Depth=1
	v_cmp_gt_i32_e32 vcc, s17, v143
	v_mov_b64_e32 v[112:113], 0
	v_mov_b64_e32 v[114:115], 0
	s_and_saveexec_b64 s[4:5], vcc
	s_cbranch_execz .LBB98_113
; %bb.112:                              ;   in Loop: Header=BB98_74 Depth=1
	global_load_dwordx2 v[114:115], v[120:121], off
.LBB98_113:                             ;   in Loop: Header=BB98_74 Depth=1
	s_or_b64 exec, exec, s[4:5]
	v_cmp_gt_i32_e32 vcc, s17, v144
	s_and_saveexec_b64 s[4:5], vcc
	s_cbranch_execz .LBB98_115
; %bb.114:                              ;   in Loop: Header=BB98_74 Depth=1
	v_lshl_add_u64 v[112:113], v[82:83], 0, v[52:53]
	global_load_dwordx2 v[112:113], v[112:113], off
.LBB98_115:                             ;   in Loop: Header=BB98_74 Depth=1
	s_or_b64 exec, exec, s[4:5]
	v_cmp_gt_i32_e32 vcc, s17, v146
	v_mov_b64_e32 v[116:117], 0
	v_mov_b64_e32 v[118:119], 0
	s_and_saveexec_b64 s[4:5], vcc
	s_cbranch_execz .LBB98_117
; %bb.116:                              ;   in Loop: Header=BB98_74 Depth=1
	v_lshl_add_u64 v[118:119], v[84:85], 0, v[52:53]
	global_load_dwordx2 v[118:119], v[118:119], off
.LBB98_117:                             ;   in Loop: Header=BB98_74 Depth=1
	s_or_b64 exec, exec, s[4:5]
	v_cmp_gt_i32_e32 vcc, s17, v147
	s_and_saveexec_b64 s[4:5], vcc
	s_cbranch_execz .LBB98_119
; %bb.118:                              ;   in Loop: Header=BB98_74 Depth=1
	v_lshl_add_u64 v[116:117], v[86:87], 0, v[52:53]
	global_load_dwordx2 v[116:117], v[116:117], off
.LBB98_119:                             ;   in Loop: Header=BB98_74 Depth=1
	s_or_b64 exec, exec, s[4:5]
	s_mov_b64 s[4:5], 0
.LBB98_120:                             ;   in Loop: Header=BB98_74 Depth=1
	s_and_b64 vcc, exec, s[4:5]
	s_cbranch_vccz .LBB98_122
; %bb.121:                              ;   in Loop: Header=BB98_74 Depth=1
	s_waitcnt vmcnt(0)
	v_lshl_add_u64 v[116:117], v[84:85], 0, v[52:53]
	v_lshl_add_u64 v[112:113], v[82:83], 0, v[52:53]
	global_load_dwordx2 v[118:119], v[116:117], off
	v_lshl_add_u64 v[116:117], v[86:87], 0, v[52:53]
	global_load_dwordx2 v[114:115], v[120:121], off
	s_nop 0
	global_load_dwordx2 v[112:113], v[112:113], off
	s_nop 0
	global_load_dwordx2 v[116:117], v[116:117], off
.LBB98_122:                             ;   in Loop: Header=BB98_74 Depth=1
	v_add_f64 v[44:45], v[44:45], 0
	v_add_f64 v[44:45], v[44:45], v[46:47]
	;; [unrolled: 1-line block ×4, first 2 shown]
	ds_read_b64 v[40:41], v127
	v_add_f64 v[36:37], v[36:37], 0
	v_add_f64 v[36:37], v[36:37], v[38:39]
	;; [unrolled: 1-line block ×4, first 2 shown]
	s_waitcnt vmcnt(0) lgkmcnt(0)
	v_mul_f64 v[42:43], v[114:115], v[40:41]
	v_mul_f64 v[120:121], v[112:113], v[40:41]
	ds_read_b128 v[36:39], v126 offset:384
	ds_read_b128 v[32:35], v126 offset:400
	ds_write2_b64 v128, v[42:43], v[120:121] offset1:67
	v_mul_f64 v[42:43], v[118:119], v[40:41]
	v_mul_f64 v[40:41], v[116:117], v[40:41]
	ds_write2_b64 v128, v[42:43], v[40:41] offset0:134 offset1:201
	s_waitcnt lgkmcnt(0)
	s_barrier
	ds_read2_b64 v[40:43], v129 offset1:1
	v_add_f64 v[20:21], v[20:21], 0
	v_add_f64 v[120:121], v[20:21], v[22:23]
	ds_read2_b64 v[20:23], v129 offset0:2 offset1:3
	v_add_f64 v[16:17], v[120:121], v[16:17]
	v_add_f64 v[16:17], v[16:17], v[18:19]
	s_waitcnt lgkmcnt(1)
	v_add_f64 v[18:19], v[40:41], 0
	v_cmp_gt_i32_e32 vcc, s17, v122
	v_add_f64 v[18:19], v[18:19], v[42:43]
	s_or_b64 s[4:5], s[10:11], vcc
	s_waitcnt lgkmcnt(0)
	v_add_f64 v[18:19], v[18:19], v[20:21]
	s_and_b64 s[10:11], s[0:1], s[4:5]
	v_add_f64 v[18:19], v[18:19], v[22:23]
	s_barrier
	ds_write2_b64 v145, v[16:17], v[46:47] offset1:16
	ds_write2_b64 v145, v[44:45], v[18:19] offset0:32 offset1:48
	s_waitcnt lgkmcnt(0)
	s_barrier
	s_and_saveexec_b64 s[4:5], s[10:11]
	s_cbranch_execz .LBB98_124
; %bb.123:                              ;   in Loop: Header=BB98_74 Depth=1
	ds_read2_b64 v[16:19], v130 offset1:1
	ds_read2_b64 v[20:23], v130 offset0:2 offset1:3
	ds_read2_b64 v[40:43], v130 offset0:4 offset1:5
	;; [unrolled: 1-line block ×4, first 2 shown]
	s_waitcnt lgkmcnt(4)
	v_add_f64 v[16:17], v[16:17], v[18:19]
	s_waitcnt lgkmcnt(3)
	v_add_f64 v[16:17], v[16:17], v[20:21]
	v_add_f64 v[16:17], v[16:17], v[22:23]
	s_waitcnt lgkmcnt(2)
	v_add_f64 v[16:17], v[16:17], v[40:41]
	;; [unrolled: 3-line block ×3, first 2 shown]
	ds_read2_b64 v[16:19], v130 offset0:10 offset1:11
	v_add_f64 v[20:21], v[20:21], v[46:47]
	s_waitcnt lgkmcnt(1)
	v_add_f64 v[20:21], v[20:21], v[148:149]
	v_add_f64 v[40:41], v[20:21], v[150:151]
	ds_read2_b64 v[20:23], v130 offset0:12 offset1:13
	s_waitcnt lgkmcnt(1)
	v_add_f64 v[16:17], v[40:41], v[16:17]
	ds_read_b64 v[40:41], v130 offset:112
	ds_read_b64 v[42:43], v131
	v_add_f64 v[16:17], v[16:17], v[18:19]
	v_add_u32_e32 v18, s16, v122
	s_waitcnt lgkmcnt(2)
	v_add_f64 v[16:17], v[16:17], v[20:21]
	v_add_f64 v[16:17], v[16:17], v[22:23]
	s_waitcnt lgkmcnt(1)
	v_add_f64 v[16:17], v[16:17], v[40:41]
	v_ashrrev_i32_e32 v19, 31, v18
	s_waitcnt lgkmcnt(0)
	v_add_f64 v[16:17], v[16:17], v[42:43]
	v_lshl_add_u64 v[18:19], v[18:19], 3, s[6:7]
	global_store_dwordx2 v[18:19], v[16:17], off
.LBB98_124:                             ;   in Loop: Header=BB98_74 Depth=1
	s_or_b64 exec, exec, s[4:5]
	v_fmac_f64_e32 v[50:51], v[90:91], v[4:5]
	v_fmac_f64_e32 v[50:51], v[88:89], v[6:7]
	;; [unrolled: 1-line block ×15, first 2 shown]
	s_add_i32 s4, s2, 1
	s_add_i32 s16, s16, 64
	;; [unrolled: 1-line block ×3, first 2 shown]
	v_fmac_f64_e32 v[50:51], v[116:117], v[34:35]
	v_lshl_add_u64 v[56:57], v[56:57], 0, s[8:9]
	v_lshl_add_u64 v[58:59], v[58:59], 0, s[8:9]
	;; [unrolled: 1-line block ×15, first 2 shown]
	s_cmp_ge_u32 s2, s33
	v_lshl_add_u64 v[86:87], v[86:87], 0, s[8:9]
	s_barrier
	s_cbranch_scc1 .LBB98_126
; %bb.125:                              ;   in Loop: Header=BB98_74 Depth=1
	s_mov_b32 s2, s4
	s_cmp_eq_u32 s3, s2
	s_cselect_b32 s17, s34, 0
	s_and_saveexec_b64 s[4:5], s[14:15]
	s_cbranch_execnz .LBB98_71
	s_branch .LBB98_74
.LBB98_126:
	s_movk_i32 s0, 0x218
	v_cmp_gt_i32_e32 vcc, s24, v122
	v_mad_u32_u24 v0, v123, s0, v52
	s_or_b64 s[0:1], s[18:19], vcc
	s_and_b64 s[0:1], s[14:15], s[0:1]
	ds_write_b64 v0, v[50:51]
	s_waitcnt lgkmcnt(0)
	s_barrier
	s_and_saveexec_b64 s[2:3], s[0:1]
	s_cbranch_execz .LBB98_128
; %bb.127:
	ds_read2_b64 v[0:3], v52 offset1:67
	ds_read2_b64 v[4:7], v52 offset0:134 offset1:201
	s_waitcnt lgkmcnt(1)
	v_add_f64 v[0:1], v[0:1], v[2:3]
	s_waitcnt lgkmcnt(0)
	v_add_f64 v[0:1], v[0:1], v[4:5]
	v_add_f64 v[0:1], v[0:1], v[6:7]
	v_lshl_add_u64 v[2:3], v[48:49], 3, s[6:7]
	global_store_dwordx2 v[2:3], v[0:1], off
.LBB98_128:
	s_endpgm
	.section	.rodata,"a",@progbits
	.p2align	6, 0x0
	.amdhsa_kernel _ZL26rocblas_hemvn_kernel_upperILb0ELi64ELi4ELi33ELi32ELi16EldPKdPdEviT6_lT7_lT5_lS4_lS5_lS3_lT8_i
		.amdhsa_group_segment_fixed_size 9600
		.amdhsa_private_segment_fixed_size 0
		.amdhsa_kernarg_size 376
		.amdhsa_user_sgpr_count 2
		.amdhsa_user_sgpr_dispatch_ptr 0
		.amdhsa_user_sgpr_queue_ptr 0
		.amdhsa_user_sgpr_kernarg_segment_ptr 1
		.amdhsa_user_sgpr_dispatch_id 0
		.amdhsa_user_sgpr_kernarg_preload_length 0
		.amdhsa_user_sgpr_kernarg_preload_offset 0
		.amdhsa_user_sgpr_private_segment_size 0
		.amdhsa_uses_dynamic_stack 0
		.amdhsa_enable_private_segment 0
		.amdhsa_system_sgpr_workgroup_id_x 1
		.amdhsa_system_sgpr_workgroup_id_y 0
		.amdhsa_system_sgpr_workgroup_id_z 1
		.amdhsa_system_sgpr_workgroup_info 0
		.amdhsa_system_vgpr_workitem_id 1
		.amdhsa_next_free_vgpr 152
		.amdhsa_next_free_sgpr 38
		.amdhsa_accum_offset 152
		.amdhsa_reserve_vcc 1
		.amdhsa_float_round_mode_32 0
		.amdhsa_float_round_mode_16_64 0
		.amdhsa_float_denorm_mode_32 3
		.amdhsa_float_denorm_mode_16_64 3
		.amdhsa_dx10_clamp 1
		.amdhsa_ieee_mode 1
		.amdhsa_fp16_overflow 0
		.amdhsa_tg_split 0
		.amdhsa_exception_fp_ieee_invalid_op 0
		.amdhsa_exception_fp_denorm_src 0
		.amdhsa_exception_fp_ieee_div_zero 0
		.amdhsa_exception_fp_ieee_overflow 0
		.amdhsa_exception_fp_ieee_underflow 0
		.amdhsa_exception_fp_ieee_inexact 0
		.amdhsa_exception_int_div_zero 0
	.end_amdhsa_kernel
	.section	.text._ZL26rocblas_hemvn_kernel_upperILb0ELi64ELi4ELi33ELi32ELi16EldPKdPdEviT6_lT7_lT5_lS4_lS5_lS3_lT8_i,"axG",@progbits,_ZL26rocblas_hemvn_kernel_upperILb0ELi64ELi4ELi33ELi32ELi16EldPKdPdEviT6_lT7_lT5_lS4_lS5_lS3_lT8_i,comdat
.Lfunc_end98:
	.size	_ZL26rocblas_hemvn_kernel_upperILb0ELi64ELi4ELi33ELi32ELi16EldPKdPdEviT6_lT7_lT5_lS4_lS5_lS3_lT8_i, .Lfunc_end98-_ZL26rocblas_hemvn_kernel_upperILb0ELi64ELi4ELi33ELi32ELi16EldPKdPdEviT6_lT7_lT5_lS4_lS5_lS3_lT8_i
                                        ; -- End function
	.set _ZL26rocblas_hemvn_kernel_upperILb0ELi64ELi4ELi33ELi32ELi16EldPKdPdEviT6_lT7_lT5_lS4_lS5_lS3_lT8_i.num_vgpr, 152
	.set _ZL26rocblas_hemvn_kernel_upperILb0ELi64ELi4ELi33ELi32ELi16EldPKdPdEviT6_lT7_lT5_lS4_lS5_lS3_lT8_i.num_agpr, 0
	.set _ZL26rocblas_hemvn_kernel_upperILb0ELi64ELi4ELi33ELi32ELi16EldPKdPdEviT6_lT7_lT5_lS4_lS5_lS3_lT8_i.numbered_sgpr, 38
	.set _ZL26rocblas_hemvn_kernel_upperILb0ELi64ELi4ELi33ELi32ELi16EldPKdPdEviT6_lT7_lT5_lS4_lS5_lS3_lT8_i.num_named_barrier, 0
	.set _ZL26rocblas_hemvn_kernel_upperILb0ELi64ELi4ELi33ELi32ELi16EldPKdPdEviT6_lT7_lT5_lS4_lS5_lS3_lT8_i.private_seg_size, 0
	.set _ZL26rocblas_hemvn_kernel_upperILb0ELi64ELi4ELi33ELi32ELi16EldPKdPdEviT6_lT7_lT5_lS4_lS5_lS3_lT8_i.uses_vcc, 1
	.set _ZL26rocblas_hemvn_kernel_upperILb0ELi64ELi4ELi33ELi32ELi16EldPKdPdEviT6_lT7_lT5_lS4_lS5_lS3_lT8_i.uses_flat_scratch, 0
	.set _ZL26rocblas_hemvn_kernel_upperILb0ELi64ELi4ELi33ELi32ELi16EldPKdPdEviT6_lT7_lT5_lS4_lS5_lS3_lT8_i.has_dyn_sized_stack, 0
	.set _ZL26rocblas_hemvn_kernel_upperILb0ELi64ELi4ELi33ELi32ELi16EldPKdPdEviT6_lT7_lT5_lS4_lS5_lS3_lT8_i.has_recursion, 0
	.set _ZL26rocblas_hemvn_kernel_upperILb0ELi64ELi4ELi33ELi32ELi16EldPKdPdEviT6_lT7_lT5_lS4_lS5_lS3_lT8_i.has_indirect_call, 0
	.section	.AMDGPU.csdata,"",@progbits
; Kernel info:
; codeLenInByte = 7044
; TotalNumSgprs: 44
; NumVgprs: 152
; NumAgprs: 0
; TotalNumVgprs: 152
; ScratchSize: 0
; MemoryBound: 0
; FloatMode: 240
; IeeeMode: 1
; LDSByteSize: 9600 bytes/workgroup (compile time only)
; SGPRBlocks: 5
; VGPRBlocks: 18
; NumSGPRsForWavesPerEU: 44
; NumVGPRsForWavesPerEU: 152
; AccumOffset: 152
; Occupancy: 3
; WaveLimiterHint : 1
; COMPUTE_PGM_RSRC2:SCRATCH_EN: 0
; COMPUTE_PGM_RSRC2:USER_SGPR: 2
; COMPUTE_PGM_RSRC2:TRAP_HANDLER: 0
; COMPUTE_PGM_RSRC2:TGID_X_EN: 1
; COMPUTE_PGM_RSRC2:TGID_Y_EN: 0
; COMPUTE_PGM_RSRC2:TGID_Z_EN: 1
; COMPUTE_PGM_RSRC2:TIDIG_COMP_CNT: 1
; COMPUTE_PGM_RSRC3_GFX90A:ACCUM_OFFSET: 37
; COMPUTE_PGM_RSRC3_GFX90A:TG_SPLIT: 0
	.section	.text._ZL36rocblas_hemvn_kernel_upper_block_sumILi64EldPddEviT1_lS1_lT2_lT0_lPT3_i,"axG",@progbits,_ZL36rocblas_hemvn_kernel_upper_block_sumILi64EldPddEviT1_lS1_lT2_lT0_lPT3_i,comdat
	.globl	_ZL36rocblas_hemvn_kernel_upper_block_sumILi64EldPddEviT1_lS1_lT2_lT0_lPT3_i ; -- Begin function _ZL36rocblas_hemvn_kernel_upper_block_sumILi64EldPddEviT1_lS1_lT2_lT0_lPT3_i
	.p2align	8
	.type	_ZL36rocblas_hemvn_kernel_upper_block_sumILi64EldPddEviT1_lS1_lT2_lT0_lPT3_i,@function
_ZL36rocblas_hemvn_kernel_upper_block_sumILi64EldPddEviT1_lS1_lT2_lT0_lPT3_i: ; @_ZL36rocblas_hemvn_kernel_upper_block_sumILi64EldPddEviT1_lS1_lT2_lT0_lPT3_i
; %bb.0:
	s_load_dwordx2 s[12:13], s[0:1], 0x8
	s_load_dwordx2 s[14:15], s[0:1], 0x18
	s_waitcnt lgkmcnt(0)
	v_cmp_eq_f64_e64 s[4:5], s[12:13], 0
	v_cmp_eq_f64_e64 s[6:7], s[14:15], 1.0
	s_and_b64 s[4:5], s[4:5], s[6:7]
	s_and_b64 vcc, exec, s[4:5]
	s_cbranch_vccnz .LBB99_19
; %bb.1:
	s_load_dwordx8 s[4:11], s[0:1], 0x30
	s_load_dwordx2 s[16:17], s[0:1], 0x28
	s_load_dword s18, s[0:1], 0x0
	v_lshl_or_b32 v0, s2, 6, v0
	s_waitcnt lgkmcnt(0)
	s_mul_i32 s9, s9, s3
	s_mul_hi_u32 s19, s8, s3
	s_mul_i32 s8, s8, s3
	s_add_i32 s9, s19, s9
	s_lshl_b64 s[8:9], s[8:9], 3
	s_add_u32 s8, s16, s8
	s_addc_u32 s9, s17, s9
	s_lshl_b64 s[4:5], s[4:5], 3
	s_add_u32 s8, s8, s4
	s_addc_u32 s9, s9, s5
	v_cmp_neq_f64_e64 s[4:5], s[12:13], 0
	s_mov_b64 s[16:17], 0
	s_and_b64 vcc, exec, s[4:5]
	v_cmp_gt_i32_e64 s[4:5], s18, v0
	s_cbranch_vccnz .LBB99_6
; %bb.2:
	s_mov_b64 s[20:21], 0
                                        ; implicit-def: $vgpr2_vgpr3
                                        ; implicit-def: $vgpr4_vgpr5
	s_and_saveexec_b64 s[22:23], s[4:5]
	s_cbranch_execz .LBB99_7
; %bb.3:
	v_ashrrev_i32_e32 v1, 31, v0
	v_cmp_eq_f64_e64 s[4:5], s[14:15], 0
	v_mul_lo_u32 v6, s7, v0
	v_mul_lo_u32 v1, s6, v1
	v_mad_u64_u32 v[4:5], s[16:17], s6, v0, 0
	v_mov_b64_e32 v[2:3], 0
	v_add3_u32 v5, v5, v1, v6
	s_and_b64 vcc, exec, s[4:5]
	s_cbranch_vccnz .LBB99_5
; %bb.4:
	v_lshl_add_u64 v[2:3], v[4:5], 3, s[8:9]
	global_load_dwordx2 v[2:3], v[2:3], off
	s_waitcnt vmcnt(0)
	v_mul_f64 v[2:3], s[14:15], v[2:3]
.LBB99_5:
	s_mov_b64 s[16:17], exec
	s_or_b64 exec, exec, s[22:23]
	s_and_b64 vcc, exec, s[20:21]
	s_cbranch_vccnz .LBB99_8
	s_branch .LBB99_17
.LBB99_6:
                                        ; implicit-def: $vgpr2_vgpr3
                                        ; implicit-def: $vgpr4_vgpr5
	s_cbranch_execnz .LBB99_8
	s_branch .LBB99_17
.LBB99_7:
	s_or_b64 exec, exec, s[22:23]
	s_and_b64 vcc, exec, s[20:21]
	s_cbranch_vccz .LBB99_17
.LBB99_8:
	v_cmp_gt_i32_e32 vcc, s18, v0
                                        ; implicit-def: $vgpr2_vgpr3
                                        ; implicit-def: $vgpr4_vgpr5
	s_and_saveexec_b64 s[4:5], vcc
	s_cbranch_execz .LBB99_16
; %bb.9:
	v_ashrrev_i32_e32 v1, 31, v0
	s_cmp_lt_i32 s2, 0
	v_mov_b64_e32 v[6:7], 0
	s_cbranch_scc1 .LBB99_12
; %bb.10:
	s_load_dword s0, s[0:1], 0x58
	s_ashr_i32 s19, s18, 31
	s_mul_hi_u32 s1, s18, s3
	s_mul_i32 s20, s19, s3
	s_add_i32 s1, s1, s20
	s_mul_i32 s3, s18, s3
	s_waitcnt lgkmcnt(0)
	s_mul_i32 s1, s1, s0
	s_mul_hi_u32 s20, s3, s0
	s_add_i32 s1, s20, s1
	s_mul_i32 s0, s3, s0
	s_lshl_b64 s[0:1], s[0:1], 3
	s_add_u32 s0, s10, s0
	s_addc_u32 s1, s11, s1
	v_lshl_add_u64 v[2:3], v[0:1], 3, s[0:1]
	s_add_i32 s2, s2, 1
	s_lshl_b64 s[0:1], s[18:19], 3
	v_mov_b64_e32 v[6:7], 0
.LBB99_11:                              ; =>This Inner Loop Header: Depth=1
	global_load_dwordx2 v[4:5], v[2:3], off
	s_add_i32 s2, s2, -1
	v_lshl_add_u64 v[2:3], v[2:3], 0, s[0:1]
	s_cmp_eq_u32 s2, 0
	s_waitcnt vmcnt(0)
	v_add_f64 v[6:7], v[6:7], v[4:5]
	s_cbranch_scc0 .LBB99_11
.LBB99_12:
	v_cmp_eq_f64_e64 s[2:3], s[14:15], 0
	s_mov_b64 s[0:1], 0
	s_and_b64 vcc, exec, s[2:3]
	v_mul_lo_u32 v8, s7, v0
	v_mul_lo_u32 v1, s6, v1
	s_cbranch_vccz .LBB99_20
; %bb.13:
	v_mad_u64_u32 v[4:5], s[2:3], s6, v0, 0
	v_mul_f64 v[2:3], s[12:13], v[6:7]
	v_add3_u32 v5, v5, v1, v8
	s_andn2_b64 vcc, exec, s[0:1]
	s_cbranch_vccnz .LBB99_15
.LBB99_14:
	v_mad_u64_u32 v[4:5], s[0:1], s6, v0, 0
	v_add3_u32 v5, v5, v1, v8
	v_lshl_add_u64 v[0:1], v[4:5], 3, s[8:9]
	global_load_dwordx2 v[0:1], v[0:1], off
	s_waitcnt vmcnt(0)
	v_mul_f64 v[2:3], s[14:15], v[0:1]
	v_fmac_f64_e32 v[2:3], s[12:13], v[6:7]
.LBB99_15:
	s_or_b64 s[16:17], s[16:17], exec
.LBB99_16:
	s_or_b64 exec, exec, s[4:5]
.LBB99_17:
	s_and_saveexec_b64 s[0:1], s[16:17]
	s_cbranch_execz .LBB99_19
; %bb.18:
	v_lshl_add_u64 v[0:1], v[4:5], 3, s[8:9]
	global_store_dwordx2 v[0:1], v[2:3], off
.LBB99_19:
	s_endpgm
.LBB99_20:
                                        ; implicit-def: $vgpr2_vgpr3
                                        ; implicit-def: $vgpr4_vgpr5
	s_branch .LBB99_14
	.section	.rodata,"a",@progbits
	.p2align	6, 0x0
	.amdhsa_kernel _ZL36rocblas_hemvn_kernel_upper_block_sumILi64EldPddEviT1_lS1_lT2_lT0_lPT3_i
		.amdhsa_group_segment_fixed_size 0
		.amdhsa_private_segment_fixed_size 0
		.amdhsa_kernarg_size 344
		.amdhsa_user_sgpr_count 2
		.amdhsa_user_sgpr_dispatch_ptr 0
		.amdhsa_user_sgpr_queue_ptr 0
		.amdhsa_user_sgpr_kernarg_segment_ptr 1
		.amdhsa_user_sgpr_dispatch_id 0
		.amdhsa_user_sgpr_kernarg_preload_length 0
		.amdhsa_user_sgpr_kernarg_preload_offset 0
		.amdhsa_user_sgpr_private_segment_size 0
		.amdhsa_uses_dynamic_stack 0
		.amdhsa_enable_private_segment 0
		.amdhsa_system_sgpr_workgroup_id_x 1
		.amdhsa_system_sgpr_workgroup_id_y 0
		.amdhsa_system_sgpr_workgroup_id_z 1
		.amdhsa_system_sgpr_workgroup_info 0
		.amdhsa_system_vgpr_workitem_id 0
		.amdhsa_next_free_vgpr 9
		.amdhsa_next_free_sgpr 24
		.amdhsa_accum_offset 12
		.amdhsa_reserve_vcc 1
		.amdhsa_float_round_mode_32 0
		.amdhsa_float_round_mode_16_64 0
		.amdhsa_float_denorm_mode_32 3
		.amdhsa_float_denorm_mode_16_64 3
		.amdhsa_dx10_clamp 1
		.amdhsa_ieee_mode 1
		.amdhsa_fp16_overflow 0
		.amdhsa_tg_split 0
		.amdhsa_exception_fp_ieee_invalid_op 0
		.amdhsa_exception_fp_denorm_src 0
		.amdhsa_exception_fp_ieee_div_zero 0
		.amdhsa_exception_fp_ieee_overflow 0
		.amdhsa_exception_fp_ieee_underflow 0
		.amdhsa_exception_fp_ieee_inexact 0
		.amdhsa_exception_int_div_zero 0
	.end_amdhsa_kernel
	.section	.text._ZL36rocblas_hemvn_kernel_upper_block_sumILi64EldPddEviT1_lS1_lT2_lT0_lPT3_i,"axG",@progbits,_ZL36rocblas_hemvn_kernel_upper_block_sumILi64EldPddEviT1_lS1_lT2_lT0_lPT3_i,comdat
.Lfunc_end99:
	.size	_ZL36rocblas_hemvn_kernel_upper_block_sumILi64EldPddEviT1_lS1_lT2_lT0_lPT3_i, .Lfunc_end99-_ZL36rocblas_hemvn_kernel_upper_block_sumILi64EldPddEviT1_lS1_lT2_lT0_lPT3_i
                                        ; -- End function
	.set _ZL36rocblas_hemvn_kernel_upper_block_sumILi64EldPddEviT1_lS1_lT2_lT0_lPT3_i.num_vgpr, 9
	.set _ZL36rocblas_hemvn_kernel_upper_block_sumILi64EldPddEviT1_lS1_lT2_lT0_lPT3_i.num_agpr, 0
	.set _ZL36rocblas_hemvn_kernel_upper_block_sumILi64EldPddEviT1_lS1_lT2_lT0_lPT3_i.numbered_sgpr, 24
	.set _ZL36rocblas_hemvn_kernel_upper_block_sumILi64EldPddEviT1_lS1_lT2_lT0_lPT3_i.num_named_barrier, 0
	.set _ZL36rocblas_hemvn_kernel_upper_block_sumILi64EldPddEviT1_lS1_lT2_lT0_lPT3_i.private_seg_size, 0
	.set _ZL36rocblas_hemvn_kernel_upper_block_sumILi64EldPddEviT1_lS1_lT2_lT0_lPT3_i.uses_vcc, 1
	.set _ZL36rocblas_hemvn_kernel_upper_block_sumILi64EldPddEviT1_lS1_lT2_lT0_lPT3_i.uses_flat_scratch, 0
	.set _ZL36rocblas_hemvn_kernel_upper_block_sumILi64EldPddEviT1_lS1_lT2_lT0_lPT3_i.has_dyn_sized_stack, 0
	.set _ZL36rocblas_hemvn_kernel_upper_block_sumILi64EldPddEviT1_lS1_lT2_lT0_lPT3_i.has_recursion, 0
	.set _ZL36rocblas_hemvn_kernel_upper_block_sumILi64EldPddEviT1_lS1_lT2_lT0_lPT3_i.has_indirect_call, 0
	.section	.AMDGPU.csdata,"",@progbits
; Kernel info:
; codeLenInByte = 592
; TotalNumSgprs: 30
; NumVgprs: 9
; NumAgprs: 0
; TotalNumVgprs: 9
; ScratchSize: 0
; MemoryBound: 0
; FloatMode: 240
; IeeeMode: 1
; LDSByteSize: 0 bytes/workgroup (compile time only)
; SGPRBlocks: 3
; VGPRBlocks: 1
; NumSGPRsForWavesPerEU: 30
; NumVGPRsForWavesPerEU: 9
; AccumOffset: 12
; Occupancy: 8
; WaveLimiterHint : 0
; COMPUTE_PGM_RSRC2:SCRATCH_EN: 0
; COMPUTE_PGM_RSRC2:USER_SGPR: 2
; COMPUTE_PGM_RSRC2:TRAP_HANDLER: 0
; COMPUTE_PGM_RSRC2:TGID_X_EN: 1
; COMPUTE_PGM_RSRC2:TGID_Y_EN: 0
; COMPUTE_PGM_RSRC2:TGID_Z_EN: 1
; COMPUTE_PGM_RSRC2:TIDIG_COMP_CNT: 0
; COMPUTE_PGM_RSRC3_GFX90A:ACCUM_OFFSET: 2
; COMPUTE_PGM_RSRC3_GFX90A:TG_SPLIT: 0
	.section	.text._ZL26rocblas_hemvn_kernel_upperILb0ELi64ELi4ELi33ELi32ELi16EidPKdPdEviT6_lT7_lT5_lS4_lS5_lS3_lT8_i,"axG",@progbits,_ZL26rocblas_hemvn_kernel_upperILb0ELi64ELi4ELi33ELi32ELi16EidPKdPdEviT6_lT7_lT5_lS4_lS5_lS3_lT8_i,comdat
	.globl	_ZL26rocblas_hemvn_kernel_upperILb0ELi64ELi4ELi33ELi32ELi16EidPKdPdEviT6_lT7_lT5_lS4_lS5_lS3_lT8_i ; -- Begin function _ZL26rocblas_hemvn_kernel_upperILb0ELi64ELi4ELi33ELi32ELi16EidPKdPdEviT6_lT7_lT5_lS4_lS5_lS3_lT8_i
	.p2align	8
	.type	_ZL26rocblas_hemvn_kernel_upperILb0ELi64ELi4ELi33ELi32ELi16EidPKdPdEviT6_lT7_lT5_lS4_lS5_lS3_lT8_i,@function
_ZL26rocblas_hemvn_kernel_upperILb0ELi64ELi4ELi33ELi32ELi16EidPKdPdEviT6_lT7_lT5_lS4_lS5_lS3_lT8_i: ; @_ZL26rocblas_hemvn_kernel_upperILb0ELi64ELi4ELi33ELi32ELi16EidPKdPdEviT6_lT7_lT5_lS4_lS5_lS3_lT8_i
; %bb.0:
	s_load_dwordx2 s[4:5], s[0:1], 0x84
	s_add_u32 s12, s0, 0x78
	s_addc_u32 s13, s1, 0
	s_waitcnt lgkmcnt(0)
	s_lshr_b32 s6, s4, 16
	s_and_b32 s4, s4, 0xffff
	s_and_b32 s5, s5, 0xffff
	s_mul_i32 s4, s6, s4
	s_mul_i32 s4, s4, s5
	s_cmpk_lg_i32 s4, 0x100
	s_cbranch_scc1 .LBB100_128
; %bb.1:
	s_load_dwordx2 s[4:5], s[0:1], 0x8
	s_load_dwordx4 s[8:11], s[0:1], 0x50
	s_waitcnt lgkmcnt(0)
	v_cmp_eq_f64_e64 s[4:5], s[4:5], 0
	v_cmp_eq_f64_e64 s[6:7], s[10:11], 1.0
	s_and_b64 s[6:7], s[4:5], s[6:7]
	s_and_b64 vcc, exec, s[6:7]
	s_cbranch_vccnz .LBB100_128
; %bb.2:
	s_and_b64 vcc, exec, s[4:5]
	s_cbranch_vccnz .LBB100_128
; %bb.3:
	s_load_dword s33, s[12:13], 0x0
	s_load_dword s36, s[0:1], 0x0
	s_load_dwordx4 s[4:7], s[0:1], 0x30
	s_load_dwordx2 s[10:11], s[0:1], 0x40
	s_load_dword s35, s[0:1], 0x48
	s_mul_i32 s9, s9, s3
	s_mul_hi_u32 s12, s8, s3
	s_add_i32 s9, s12, s9
	s_mul_i32 s8, s8, s3
	s_lshl_b64 s[8:9], s[8:9], 3
	s_waitcnt lgkmcnt(0)
	s_add_u32 s8, s6, s8
	s_addc_u32 s9, s7, s9
	s_lshl_b64 s[6:7], s[10:11], 3
	s_add_u32 s6, s8, s6
	s_addc_u32 s7, s9, s7
	s_ashr_i32 s37, s36, 31
	s_lshr_b32 s9, s37, 26
	v_and_b32_e32 v50, 0x3ff, v0
	s_lshl_b32 s24, s2, 6
	s_add_i32 s9, s36, s9
	s_andn2_b32 s9, s9, 63
	v_add_u32_e32 v48, s24, v50
	v_bfe_u32 v49, v0, 10, 10
	s_add_i32 s8, s33, -1
	s_sub_i32 s34, s36, s9
	v_mul_lo_u32 v0, s35, v48
	s_cmp_eq_u32 s2, s8
	v_ashrrev_i32_e32 v1, 31, v0
	s_cselect_b32 s18, s34, 0
	v_lshl_add_u64 v[14:15], v[0:1], 3, s[6:7]
	v_cmp_eq_u32_e64 s[14:15], 0, v49
	s_and_saveexec_b64 s[6:7], s[14:15]
	s_cbranch_execz .LBB100_7
; %bb.4:
	s_cmp_eq_u32 s18, 0
	s_cselect_b64 s[8:9], -1, 0
	v_cmp_gt_i32_e32 vcc, s18, v50
	s_or_b64 s[10:11], s[8:9], vcc
	v_mov_b64_e32 v[0:1], 0
	s_and_saveexec_b64 s[8:9], s[10:11]
	s_cbranch_execz .LBB100_6
; %bb.5:
	global_load_dwordx2 v[0:1], v[14:15], off
.LBB100_6:
	s_or_b64 exec, exec, s[8:9]
	v_lshlrev_b32_e32 v2, 3, v50
	s_waitcnt vmcnt(0)
	ds_write_b64 v2, v[0:1] offset:9088
.LBB100_7:
	s_or_b64 exec, exec, s[6:7]
	s_load_dwordx4 s[8:11], s[0:1], 0x18
	s_load_dword s22, s[0:1], 0x28
	s_mul_i32 s5, s5, s3
	s_mul_hi_u32 s6, s4, s3
	s_add_i32 s5, s6, s5
	s_mul_i32 s4, s4, s3
	s_lshl_b64 s[4:5], s[4:5], 3
	s_waitcnt lgkmcnt(0)
	s_add_u32 s6, s8, s4
	s_addc_u32 s7, s9, s5
	s_lshl_b64 s[4:5], s[10:11], 3
	s_add_u32 s6, s6, s4
	s_addc_u32 s7, s7, s5
	s_ashr_i32 s25, s24, 31
	v_lshl_add_u32 v22, v49, 6, v50
	s_lshl_b64 s[4:5], s[24:25], 3
	v_and_b32_e32 v2, 31, v50
	v_lshrrev_b32_e32 v10, 5, v22
	s_add_u32 s4, s6, s4
	s_addc_u32 s5, s7, s5
	v_mad_u64_u32 v[12:13], s[6:7], s22, v10, v[2:3]
	v_ashrrev_i32_e32 v13, 31, v12
	v_lshl_add_u64 v[0:1], v[12:13], 3, s[4:5]
	s_mul_i32 s4, s22, s24
	s_ashr_i32 s5, s4, 31
	s_cmp_eq_u32 s18, 0
	s_cselect_b64 s[20:21], -1, 0
	s_cmp_lg_u32 s18, 0
	s_cselect_b64 s[28:29], -1, 0
	v_lshl_add_u64 v[6:7], s[4:5], 3, v[0:1]
	s_and_b64 vcc, exec, s[28:29]
	v_cmp_gt_i32_e64 s[4:5], s18, v2
	v_lshlrev_b32_e32 v0, 3, v2
	s_cbranch_vccz .LBB100_17
; %bb.8:
	v_sub_co_u32_e32 v4, vcc, v6, v0
	s_ashr_i32 s19, s18, 31
	s_nop 0
	v_subbrev_co_u32_e32 v5, vcc, 0, v7, vcc
	v_lshl_add_u64 v[4:5], s[18:19], 3, v[4:5]
	v_lshl_add_u64 v[4:5], v[4:5], 0, -8
	v_cndmask_b32_e64 v5, v5, v7, s[4:5]
	v_cndmask_b32_e64 v4, v4, v6, s[4:5]
	v_cmp_gt_i32_e32 vcc, s18, v10
	v_mov_b64_e32 v[8:9], 0
	v_mov_b64_e32 v[16:17], 0
	s_and_saveexec_b64 s[6:7], vcc
	s_cbranch_execz .LBB100_10
; %bb.9:
	global_load_dwordx2 v[16:17], v[4:5], off
.LBB100_10:
	s_or_b64 exec, exec, s[6:7]
	s_movk_i32 s6, 0x108
	v_mad_u32_u24 v3, v10, s6, v0
	s_waitcnt vmcnt(0)
	ds_write_b64 v3, v[16:17]
	v_add_u32_e32 v3, 8, v10
	v_mul_u32_u24_e32 v1, 0x108, v10
	v_cmp_gt_i32_e32 vcc, s18, v3
	s_and_saveexec_b64 s[6:7], vcc
	s_cbranch_execz .LBB100_12
; %bb.11:
	s_lshl_b32 s8, s22, 3
	s_ashr_i32 s9, s8, 31
	v_lshl_add_u64 v[8:9], s[8:9], 3, v[4:5]
	global_load_dwordx2 v[8:9], v[8:9], off
.LBB100_12:
	s_or_b64 exec, exec, s[6:7]
	v_add_u32_e32 v1, v1, v0
	v_add_u32_e32 v3, 16, v10
	s_waitcnt vmcnt(0)
	ds_write_b64 v1, v[8:9] offset:2112
	v_cmp_gt_i32_e32 vcc, s18, v3
	v_mov_b64_e32 v[8:9], 0
	v_mov_b64_e32 v[16:17], 0
	s_and_saveexec_b64 s[6:7], vcc
	s_cbranch_execz .LBB100_14
; %bb.13:
	s_lshl_b32 s8, s22, 4
	s_ashr_i32 s9, s8, 31
	v_lshl_add_u64 v[16:17], s[8:9], 3, v[4:5]
	global_load_dwordx2 v[16:17], v[16:17], off
.LBB100_14:
	s_or_b64 exec, exec, s[6:7]
	v_add_u32_e32 v3, 24, v10
	v_cmp_gt_i32_e32 vcc, s18, v3
	s_waitcnt vmcnt(0)
	ds_write_b64 v1, v[16:17] offset:4224
	s_and_saveexec_b64 s[6:7], vcc
	s_cbranch_execz .LBB100_16
; %bb.15:
	s_mul_i32 s8, s22, 24
	s_ashr_i32 s9, s8, 31
	v_lshl_add_u64 v[8:9], s[8:9], 3, v[4:5]
	global_load_dwordx2 v[8:9], v[8:9], off
.LBB100_16:
	s_or_b64 exec, exec, s[6:7]
	s_waitcnt vmcnt(0)
	ds_write_b64 v1, v[8:9] offset:6336
	v_mov_b32_e32 v1, 0
	v_lshl_add_u64 v[4:5], v[4:5], 0, v[0:1]
	s_lshl_b64 s[6:7], s[18:19], 3
	v_mov_b32_e32 v1, s7
	v_subrev_co_u32_e32 v4, vcc, s6, v4
	s_nop 1
	v_subb_co_u32_e32 v5, vcc, v5, v1, vcc
	v_lshl_add_u64 v[4:5], v[4:5], 0, 8
	v_cndmask_b32_e64 v5, v5, v7, s[4:5]
	v_cndmask_b32_e64 v4, v4, v6, s[4:5]
	s_branch .LBB100_19
.LBB100_17:
                                        ; implicit-def: $vgpr4_vgpr5
	s_cbranch_execz .LBB100_19
; %bb.18:
	s_lshl_b32 s4, s22, 3
	s_ashr_i32 s5, s4, 31
	s_ashr_i32 s23, s22, 31
	v_lshl_add_u64 v[4:5], s[4:5], 3, v[6:7]
	s_lshl_b64 s[4:5], s[22:23], 6
	v_lshl_add_u64 v[8:9], v[4:5], 0, s[4:5]
	v_lshl_add_u64 v[16:17], v[8:9], 0, s[4:5]
	global_load_dwordx2 v[18:19], v[6:7], off
	global_load_dwordx2 v[20:21], v[4:5], off
	;; [unrolled: 1-line block ×4, first 2 shown]
	v_mul_u32_u24_e32 v1, 0x108, v10
	v_lshl_add_u32 v1, v2, 3, v1
	v_mov_b64_e32 v[4:5], v[6:7]
	s_waitcnt vmcnt(3)
	ds_write_b64 v1, v[18:19]
	s_waitcnt vmcnt(2)
	ds_write_b64 v1, v[20:21] offset:2112
	s_waitcnt vmcnt(1)
	ds_write_b64 v1, v[24:25] offset:4224
	;; [unrolled: 2-line block ×3, first 2 shown]
.LBB100_19:
	v_lshlrev_b32_e32 v3, 2, v10
	v_lshl_or_b32 v1, v2, 8, v0
	v_cmp_gt_u32_e64 s[6:7], v3, v2
	v_lshl_add_u32 v1, v3, 3, v1
	s_waitcnt lgkmcnt(0)
	s_barrier
	s_and_saveexec_b64 s[4:5], s[6:7]
	s_cbranch_execz .LBB100_21
; %bb.20:
	s_movk_i32 s8, 0x420
	v_mad_u32_u24 v6, v10, s8, v0
	ds_read_b64 v[6:7], v6
	s_waitcnt lgkmcnt(0)
	ds_write_b64 v1, v[6:7]
.LBB100_21:
	s_or_b64 exec, exec, s[4:5]
	v_or_b32_e32 v11, 1, v3
	v_cmp_ge_u32_e64 s[8:9], v3, v2
	s_and_saveexec_b64 s[4:5], s[8:9]
	s_cbranch_execz .LBB100_23
; %bb.22:
	s_movk_i32 s10, 0x108
	v_mad_u32_u24 v6, v11, s10, v0
	ds_read_b64 v[6:7], v6
	s_waitcnt lgkmcnt(0)
	ds_write_b64 v1, v[6:7] offset:8
.LBB100_23:
	s_or_b64 exec, exec, s[4:5]
	v_or_b32_e32 v6, 2, v3
	v_cmp_gt_u32_e64 s[10:11], v6, v2
	s_and_saveexec_b64 s[4:5], s[10:11]
	s_cbranch_execz .LBB100_25
; %bb.24:
	s_movk_i32 s12, 0x108
	v_mad_u32_u24 v6, v6, s12, v0
	ds_read_b64 v[6:7], v6
	s_waitcnt lgkmcnt(0)
	ds_write_b64 v1, v[6:7] offset:16
.LBB100_25:
	s_or_b64 exec, exec, s[4:5]
	v_or_b32_e32 v7, 3, v3
	v_cmp_gt_u32_e64 s[12:13], v7, v2
	v_cmp_le_u32_e32 vcc, v7, v2
                                        ; implicit-def: $vgpr6
	s_and_saveexec_b64 s[4:5], vcc
	s_xor_b64 s[4:5], exec, s[4:5]
; %bb.26:
	v_mul_u32_u24_e32 v6, 0x108, v7
                                        ; implicit-def: $vgpr7
                                        ; implicit-def: $vgpr1
; %bb.27:
	s_andn2_saveexec_b64 s[4:5], s[4:5]
	s_cbranch_execz .LBB100_29
; %bb.28:
	s_movk_i32 s16, 0x108
	v_mad_u32_u24 v6, v7, s16, v0
	ds_read_b64 v[8:9], v6
	v_mul_u32_u24_e32 v6, 0x108, v7
	s_waitcnt lgkmcnt(0)
	ds_write_b64 v1, v[8:9] offset:24
.LBB100_29:
	s_or_b64 exec, exec, s[4:5]
	s_movk_i32 s4, 0x420
	v_mad_u32_u24 v1, v10, s4, v0
	s_movk_i32 s4, 0x108
	s_waitcnt lgkmcnt(0)
	s_barrier
	v_lshlrev_b32_e32 v16, 3, v3
	ds_read_b64 v[20:21], v1
	ds_read_b128 v[24:27], v16 offset:9088
	v_mad_u32_u24 v1, v11, s4, v0
	ds_read2_b64 v[28:31], v1 offset1:33
	v_add_u32_e32 v18, v0, v6
	ds_read_b128 v[6:9], v16 offset:9104
	ds_read_b64 v[32:33], v18
	s_waitcnt lgkmcnt(3)
	v_fma_f64 v[20:21], v[20:21], v[24:25], 0
	v_mul_u32_u24_e32 v1, 33, v2
	s_waitcnt lgkmcnt(2)
	v_fmac_f64_e32 v[20:21], v[28:29], v[26:27]
	s_waitcnt lgkmcnt(1)
	v_fmac_f64_e32 v[20:21], v[30:31], v[6:7]
	v_lshlrev_b32_e32 v23, 3, v1
	v_mov_b64_e32 v[52:53], 0
	s_waitcnt lgkmcnt(0)
	v_fmac_f64_e32 v[20:21], v[32:33], v[8:9]
	v_lshl_add_u32 v24, v10, 3, v23
	v_cmp_gt_u32_e64 s[4:5], 32, v22
	s_barrier
	ds_write_b64 v24, v[20:21]
	s_waitcnt lgkmcnt(0)
	s_barrier
	s_and_saveexec_b64 s[16:17], s[4:5]
	s_cbranch_execz .LBB100_31
; %bb.30:
	ds_read2_b64 v[6:9], v23 offset1:1
	ds_read2_b64 v[26:29], v23 offset0:2 offset1:3
	ds_read2_b64 v[30:33], v23 offset0:4 offset1:5
	s_waitcnt lgkmcnt(2)
	v_add_f64 v[20:21], v[6:7], v[8:9]
	ds_read2_b64 v[6:9], v23 offset0:6 offset1:7
	s_waitcnt lgkmcnt(2)
	v_add_f64 v[20:21], v[20:21], v[26:27]
	v_add_f64 v[20:21], v[20:21], v[28:29]
	s_waitcnt lgkmcnt(1)
	v_add_f64 v[20:21], v[20:21], v[30:31]
	v_add_f64 v[20:21], v[20:21], v[32:33]
	;; [unrolled: 3-line block ×3, first 2 shown]
.LBB100_31:
	s_or_b64 exec, exec, s[16:17]
	s_lshl_b32 s26, s22, 5
	s_ashr_i32 s27, s26, 31
	v_lshl_add_u64 v[8:9], s[26:27], 3, v[4:5]
	s_mov_b64 s[16:17], 0x100
	v_lshl_add_u64 v[6:7], v[8:9], 0, s[16:17]
	s_and_b64 vcc, exec, s[28:29]
	s_barrier
	s_cbranch_vccz .LBB100_41
; %bb.32:
	v_sub_co_u32_e32 v4, vcc, v8, v0
	s_ashr_i32 s19, s18, 31
	s_nop 0
	v_subbrev_co_u32_e32 v5, vcc, 0, v9, vcc
	v_or_b32_e32 v1, 32, v2
	v_lshl_add_u64 v[4:5], s[18:19], 3, v[4:5]
	v_lshl_add_u64 v[4:5], v[4:5], 0, -8
	v_cmp_gt_i32_e32 vcc, s18, v1
	s_sub_i32 s23, s18, 32
	v_cmp_gt_i32_e64 s[16:17], s23, v10
	v_cndmask_b32_e32 v5, v5, v7, vcc
	v_cndmask_b32_e32 v4, v4, v6, vcc
	v_mov_b64_e32 v[20:21], 0
	v_mov_b64_e32 v[26:27], 0
	s_and_saveexec_b64 s[30:31], s[16:17]
	s_cbranch_execz .LBB100_34
; %bb.33:
	global_load_dwordx2 v[26:27], v[4:5], off
.LBB100_34:
	s_or_b64 exec, exec, s[30:31]
	s_movk_i32 s16, 0x108
	v_mad_u32_u24 v17, v10, s16, v0
	s_waitcnt vmcnt(0)
	ds_write_b64 v17, v[26:27]
	v_add_u32_e32 v17, 8, v10
	v_mul_u32_u24_e32 v1, 0x108, v10
	v_cmp_gt_i32_e64 s[16:17], s23, v17
	s_and_saveexec_b64 s[30:31], s[16:17]
	s_cbranch_execz .LBB100_36
; %bb.35:
	s_lshl_b32 s16, s22, 3
	s_ashr_i32 s17, s16, 31
	v_lshl_add_u64 v[20:21], s[16:17], 3, v[4:5]
	global_load_dwordx2 v[20:21], v[20:21], off
.LBB100_36:
	s_or_b64 exec, exec, s[30:31]
	v_add_u32_e32 v1, v1, v0
	v_add_u32_e32 v17, 16, v10
	s_waitcnt vmcnt(0)
	ds_write_b64 v1, v[20:21] offset:2112
	v_cmp_gt_i32_e64 s[16:17], s23, v17
	v_mov_b64_e32 v[20:21], 0
	v_mov_b64_e32 v[26:27], 0
	s_and_saveexec_b64 s[30:31], s[16:17]
	s_cbranch_execz .LBB100_38
; %bb.37:
	s_lshl_b32 s16, s22, 4
	s_ashr_i32 s17, s16, 31
	v_lshl_add_u64 v[26:27], s[16:17], 3, v[4:5]
	global_load_dwordx2 v[26:27], v[26:27], off
.LBB100_38:
	s_or_b64 exec, exec, s[30:31]
	v_add_u32_e32 v17, 24, v10
	v_cmp_gt_i32_e64 s[16:17], s23, v17
	s_waitcnt vmcnt(0)
	ds_write_b64 v1, v[26:27] offset:4224
	s_and_saveexec_b64 s[30:31], s[16:17]
	s_cbranch_execz .LBB100_40
; %bb.39:
	s_mul_i32 s16, s22, 24
	s_ashr_i32 s17, s16, 31
	v_lshl_add_u64 v[20:21], s[16:17], 3, v[4:5]
	global_load_dwordx2 v[20:21], v[20:21], off
.LBB100_40:
	s_or_b64 exec, exec, s[30:31]
	s_waitcnt vmcnt(0)
	ds_write_b64 v1, v[20:21] offset:6336
	v_mov_b32_e32 v1, 0
	v_lshl_add_u64 v[4:5], v[4:5], 0, v[0:1]
	s_lshl_b64 s[16:17], s[18:19], 3
	v_mov_b32_e32 v1, s17
	v_subrev_co_u32_e64 v4, s[16:17], s16, v4
	s_nop 1
	v_subb_co_u32_e64 v5, s[16:17], v5, v1, s[16:17]
	s_mov_b64 s[16:17], 0x108
	s_nop 0
	v_lshl_add_u64 v[4:5], v[4:5], 0, s[16:17]
	v_cndmask_b32_e32 v5, v5, v7, vcc
	v_cndmask_b32_e32 v4, v4, v6, vcc
	v_mul_u32_u24_e32 v1, 0x420, v10
	s_branch .LBB100_43
.LBB100_41:
                                        ; implicit-def: $vgpr4_vgpr5
	v_mul_u32_u24_e32 v1, 0x420, v10
	s_cbranch_execz .LBB100_43
; %bb.42:
	s_lshl_b32 s16, s22, 3
	s_ashr_i32 s17, s16, 31
	s_ashr_i32 s23, s22, 31
	v_lshl_add_u64 v[4:5], s[16:17], 3, v[8:9]
	s_lshl_b64 s[16:17], s[22:23], 6
	v_lshl_add_u64 v[20:21], v[4:5], 0, s[16:17]
	v_lshl_add_u64 v[26:27], v[20:21], 0, s[16:17]
	global_load_dwordx2 v[28:29], v[8:9], off offset:256
	global_load_dwordx2 v[30:31], v[4:5], off offset:256
	;; [unrolled: 1-line block ×4, first 2 shown]
	s_movk_i32 s16, 0x108
	v_mad_u32_u24 v4, v10, s16, v0
	s_waitcnt vmcnt(3)
	ds_write_b64 v4, v[28:29]
	s_waitcnt vmcnt(2)
	ds_write_b64 v4, v[30:31] offset:2112
	s_waitcnt vmcnt(1)
	ds_write_b64 v4, v[32:33] offset:4224
	;; [unrolled: 2-line block ×3, first 2 shown]
	v_mov_b64_e32 v[4:5], v[6:7]
.LBB100_43:
	v_mul_u32_u24_e32 v6, 0x108, v11
	v_add_u32_e32 v8, v0, v1
	v_lshl_add_u32 v1, v3, 3, v23
	s_waitcnt lgkmcnt(0)
	s_barrier
	s_and_saveexec_b64 s[16:17], s[6:7]
	s_cbranch_execnz .LBB100_60
; %bb.44:
	s_or_b64 exec, exec, s[16:17]
	v_add_u32_e32 v19, v0, v6
	s_and_saveexec_b64 s[6:7], s[8:9]
	s_cbranch_execnz .LBB100_61
.LBB100_45:
	s_or_b64 exec, exec, s[6:7]
	s_and_saveexec_b64 s[6:7], s[10:11]
	s_cbranch_execnz .LBB100_62
.LBB100_46:
	s_or_b64 exec, exec, s[6:7]
	v_add_u32_e32 v25, 0x2380, v16
	s_and_saveexec_b64 s[6:7], s[12:13]
	s_cbranch_execz .LBB100_48
.LBB100_47:
	ds_read_b64 v[6:7], v18
	s_waitcnt lgkmcnt(0)
	ds_write_b64 v1, v[6:7] offset:24
.LBB100_48:
	s_or_b64 exec, exec, s[6:7]
	s_waitcnt lgkmcnt(0)
	s_barrier
	ds_read_b64 v[6:7], v8
	ds_read_b128 v[26:29], v25 offset:256
	ds_read2_b64 v[30:33], v19 offset1:33
	ds_read_b128 v[34:37], v25 offset:272
	ds_read_b64 v[16:17], v18
	v_cmp_eq_u32_e64 s[6:7], 1, v10
	s_waitcnt lgkmcnt(3)
	v_fma_f64 v[6:7], v[6:7], v[26:27], 0
	s_waitcnt lgkmcnt(2)
	v_fmac_f64_e32 v[6:7], v[30:31], v[28:29]
	s_waitcnt lgkmcnt(1)
	v_fmac_f64_e32 v[6:7], v[32:33], v[34:35]
	;; [unrolled: 2-line block ×3, first 2 shown]
	s_barrier
	ds_write_b64 v24, v[6:7]
	s_waitcnt lgkmcnt(0)
	s_barrier
	s_and_saveexec_b64 s[8:9], s[6:7]
	s_cbranch_execz .LBB100_50
; %bb.49:
	ds_read2_b64 v[26:29], v23 offset1:1
	ds_read2_b64 v[30:33], v23 offset0:2 offset1:3
	ds_read2_b64 v[34:37], v23 offset0:4 offset1:5
	s_waitcnt lgkmcnt(2)
	v_add_f64 v[6:7], v[26:27], v[28:29]
	ds_read2_b64 v[26:29], v23 offset0:6 offset1:7
	s_waitcnt lgkmcnt(2)
	v_add_f64 v[6:7], v[6:7], v[30:31]
	v_add_f64 v[6:7], v[6:7], v[32:33]
	s_waitcnt lgkmcnt(1)
	v_add_f64 v[6:7], v[6:7], v[34:35]
	v_add_f64 v[6:7], v[6:7], v[36:37]
	;; [unrolled: 3-line block ×3, first 2 shown]
.LBB100_50:
	s_or_b64 exec, exec, s[8:9]
	s_movk_i32 s8, 0xff00
	s_mov_b32 s9, -1
	v_lshl_add_u64 v[6:7], v[4:5], 0, s[8:9]
	s_and_b64 vcc, exec, s[28:29]
	s_barrier
	s_cbranch_vccz .LBB100_63
; %bb.51:
	v_sub_co_u32_e32 v16, vcc, v4, v0
	s_ashr_i32 s19, s18, 31
	s_nop 0
	v_subbrev_co_u32_e32 v17, vcc, 0, v5, vcc
	s_movk_i32 s8, 0xfef8
	v_lshl_add_u64 v[16:17], s[18:19], 3, v[16:17]
	s_mov_b32 s9, -1
	v_lshl_add_u64 v[16:17], v[16:17], 0, s[8:9]
	v_cmp_gt_i32_e32 vcc, s18, v2
	s_sub_i32 s12, s18, 32
	v_cmp_gt_i32_e64 s[8:9], s12, v10
	v_cndmask_b32_e32 v3, v17, v7, vcc
	v_cndmask_b32_e32 v2, v16, v6, vcc
	v_mov_b64_e32 v[16:17], 0
	v_mov_b64_e32 v[20:21], 0
	s_and_saveexec_b64 s[10:11], s[8:9]
	s_cbranch_execz .LBB100_53
; %bb.52:
	global_load_dwordx2 v[20:21], v[2:3], off
.LBB100_53:
	s_or_b64 exec, exec, s[10:11]
	s_movk_i32 s8, 0x108
	v_mad_u32_u24 v9, v10, s8, v0
	s_waitcnt vmcnt(0)
	ds_write_b64 v9, v[20:21]
	v_add_u32_e32 v9, 8, v10
	v_mul_u32_u24_e32 v1, 0x108, v10
	v_cmp_gt_i32_e64 s[8:9], s12, v9
	s_and_saveexec_b64 s[10:11], s[8:9]
	s_cbranch_execz .LBB100_55
; %bb.54:
	s_lshl_b32 s8, s22, 3
	s_ashr_i32 s9, s8, 31
	v_lshl_add_u64 v[16:17], s[8:9], 3, v[2:3]
	global_load_dwordx2 v[16:17], v[16:17], off
.LBB100_55:
	s_or_b64 exec, exec, s[10:11]
	v_add_u32_e32 v1, v1, v0
	v_add_u32_e32 v11, 16, v10
	s_waitcnt vmcnt(0)
	ds_write_b64 v1, v[16:17] offset:2112
	v_cmp_gt_i32_e64 s[8:9], s12, v11
	v_mov_b64_e32 v[16:17], 0
	v_mov_b64_e32 v[20:21], 0
	s_and_saveexec_b64 s[10:11], s[8:9]
	s_cbranch_execz .LBB100_57
; %bb.56:
	s_lshl_b32 s8, s22, 4
	s_ashr_i32 s9, s8, 31
	v_lshl_add_u64 v[20:21], s[8:9], 3, v[2:3]
	global_load_dwordx2 v[20:21], v[20:21], off
.LBB100_57:
	s_or_b64 exec, exec, s[10:11]
	s_waitcnt vmcnt(0)
	ds_write_b64 v1, v[20:21] offset:4224
	v_add_u32_e32 v20, 24, v10
	v_cmp_gt_i32_e64 s[8:9], s12, v20
	s_and_saveexec_b64 s[10:11], s[8:9]
	s_cbranch_execz .LBB100_59
; %bb.58:
	s_mul_i32 s8, s22, 24
	s_ashr_i32 s9, s8, 31
	v_lshl_add_u64 v[16:17], s[8:9], 3, v[2:3]
	global_load_dwordx2 v[16:17], v[16:17], off
.LBB100_59:
	s_or_b64 exec, exec, s[10:11]
	s_waitcnt vmcnt(0)
	ds_write_b64 v1, v[16:17] offset:6336
	v_mov_b32_e32 v1, 0
	v_lshl_add_u64 v[2:3], v[2:3], 0, v[0:1]
	s_lshl_b64 s[8:9], s[18:19], 3
	v_mov_b32_e32 v1, s9
	v_subrev_co_u32_e64 v2, s[8:9], s8, v2
	s_nop 1
	v_subb_co_u32_e64 v3, s[8:9], v3, v1, s[8:9]
	v_lshl_add_u64 v[2:3], v[2:3], 0, 8
	v_cndmask_b32_e32 v17, v3, v7, vcc
	v_cndmask_b32_e32 v16, v2, v6, vcc
	s_branch .LBB100_65
.LBB100_60:
	ds_read_b64 v[20:21], v8
	s_waitcnt lgkmcnt(0)
	ds_write_b64 v1, v[20:21]
	s_or_b64 exec, exec, s[16:17]
	v_add_u32_e32 v19, v0, v6
	s_and_saveexec_b64 s[6:7], s[8:9]
	s_cbranch_execz .LBB100_45
.LBB100_61:
	ds_read_b64 v[6:7], v19
	s_waitcnt lgkmcnt(0)
	ds_write_b64 v1, v[6:7] offset:8
	s_or_b64 exec, exec, s[6:7]
	s_and_saveexec_b64 s[6:7], s[10:11]
	s_cbranch_execz .LBB100_46
.LBB100_62:
	ds_read_b64 v[6:7], v19 offset:264
	s_waitcnt lgkmcnt(0)
	ds_write_b64 v1, v[6:7] offset:16
	s_or_b64 exec, exec, s[6:7]
	v_add_u32_e32 v25, 0x2380, v16
	s_and_saveexec_b64 s[6:7], s[12:13]
	s_cbranch_execnz .LBB100_47
	s_branch .LBB100_48
.LBB100_63:
                                        ; implicit-def: $vgpr16_vgpr17
                                        ; implicit-def: $vgpr9
                                        ; implicit-def: $vgpr11
                                        ; implicit-def: $vgpr20
	s_cbranch_execz .LBB100_65
; %bb.64:
	s_lshl_b32 s8, s22, 3
	s_ashr_i32 s9, s8, 31
	s_ashr_i32 s23, s22, 31
	v_lshl_add_u64 v[2:3], s[8:9], 3, v[4:5]
	s_lshl_b64 s[8:9], s[22:23], 6
	v_lshl_add_u64 v[16:17], v[2:3], 0, s[8:9]
	v_lshl_add_u64 v[20:21], v[16:17], 0, s[8:9]
	global_load_dwordx2 v[26:27], v[4:5], off offset:-256
	global_load_dwordx2 v[28:29], v[2:3], off offset:-256
	;; [unrolled: 1-line block ×4, first 2 shown]
	s_movk_i32 s8, 0x108
	v_add_u32_e32 v9, 8, v10
	v_add_u32_e32 v11, 16, v10
	;; [unrolled: 1-line block ×3, first 2 shown]
	v_mad_u32_u24 v0, v10, s8, v0
	v_mov_b64_e32 v[16:17], v[6:7]
	s_waitcnt vmcnt(3)
	ds_write_b64 v0, v[26:27]
	s_waitcnt vmcnt(2)
	ds_write_b64 v0, v[28:29] offset:2112
	s_waitcnt vmcnt(1)
	ds_write_b64 v0, v[30:31] offset:4224
	;; [unrolled: 2-line block ×3, first 2 shown]
.LBB100_65:
	v_lshlrev_b32_e32 v0, 3, v10
	v_add_u32_e32 v1, v23, v0
	s_waitcnt lgkmcnt(0)
	s_barrier
	v_lshlrev_b32_e32 v2, 3, v9
	ds_read_b64 v[26:27], v1
	ds_read_b64 v[28:29], v2 offset:9088
	ds_read_b64 v[30:31], v0 offset:9088
	v_add_u32_e32 v0, v23, v2
	v_lshlrev_b32_e32 v1, 3, v11
	v_add_u32_e32 v2, v23, v1
	v_lshlrev_b32_e32 v3, 3, v20
	ds_read_b64 v[32:33], v0
	ds_read_b64 v[34:35], v2
	ds_read_b64 v[36:37], v3 offset:9088
	ds_read_b64 v[38:39], v1 offset:9088
	s_waitcnt lgkmcnt(4)
	v_fma_f64 v[26:27], v[26:27], v[30:31], 0
	s_waitcnt lgkmcnt(3)
	v_fmac_f64_e32 v[26:27], v[32:33], v[28:29]
	v_add_u32_e32 v0, v23, v3
	ds_read_b64 v[40:41], v0
	ds_read_b64 v[20:21], v8
	ds_read_b128 v[8:11], v25 offset:256
	ds_read_b128 v[0:3], v25 offset:272
	ds_read2_b64 v[4:7], v19 offset1:33
	ds_read_b64 v[18:19], v18
	s_waitcnt lgkmcnt(6)
	v_fmac_f64_e32 v[26:27], v[34:35], v[38:39]
	s_waitcnt lgkmcnt(5)
	v_fmac_f64_e32 v[26:27], v[40:41], v[36:37]
	s_waitcnt lgkmcnt(0)
	s_barrier
	ds_write_b64 v24, v[26:27]
	s_waitcnt lgkmcnt(0)
	s_barrier
	s_and_saveexec_b64 s[8:9], s[6:7]
	s_cbranch_execz .LBB100_67
; %bb.66:
	ds_read2_b64 v[26:29], v23 offset1:1
	ds_read2_b64 v[30:33], v23 offset0:2 offset1:3
	ds_read2_b64 v[34:37], v23 offset0:4 offset1:5
	s_waitcnt lgkmcnt(2)
	v_add_f64 v[26:27], v[52:53], v[26:27]
	v_add_f64 v[38:39], v[26:27], v[28:29]
	ds_read2_b64 v[26:29], v23 offset0:6 offset1:7
	s_waitcnt lgkmcnt(2)
	v_add_f64 v[30:31], v[38:39], v[30:31]
	v_add_f64 v[30:31], v[30:31], v[32:33]
	s_waitcnt lgkmcnt(1)
	v_add_f64 v[30:31], v[30:31], v[34:35]
	v_add_f64 v[30:31], v[30:31], v[36:37]
	;; [unrolled: 3-line block ×3, first 2 shown]
.LBB100_67:
	s_or_b64 exec, exec, s[8:9]
	v_fma_f64 v[8:9], v[20:21], v[8:9], 0
	v_fmac_f64_e32 v[8:9], v[4:5], v[10:11]
	v_fmac_f64_e32 v[8:9], v[6:7], v[0:1]
	;; [unrolled: 1-line block ×3, first 2 shown]
	s_barrier
	ds_write_b64 v24, v[8:9]
	s_waitcnt lgkmcnt(0)
	s_barrier
	s_and_saveexec_b64 s[6:7], s[4:5]
	s_cbranch_execz .LBB100_69
; %bb.68:
	ds_read2_b64 v[0:3], v23 offset1:1
	ds_read2_b64 v[4:7], v23 offset0:2 offset1:3
	ds_read2_b64 v[8:11], v23 offset0:4 offset1:5
	s_waitcnt lgkmcnt(2)
	v_add_f64 v[0:1], v[52:53], v[0:1]
	v_add_f64 v[18:19], v[0:1], v[2:3]
	ds_read2_b64 v[0:3], v23 offset0:6 offset1:7
	s_waitcnt lgkmcnt(2)
	v_add_f64 v[4:5], v[18:19], v[4:5]
	v_add_f64 v[4:5], v[4:5], v[6:7]
	s_waitcnt lgkmcnt(1)
	v_add_f64 v[4:5], v[4:5], v[8:9]
	v_add_f64 v[4:5], v[4:5], v[10:11]
	;; [unrolled: 3-line block ×3, first 2 shown]
.LBB100_69:
	s_or_b64 exec, exec, s[6:7]
	s_load_dwordx2 s[0:1], s[0:1], 0x68
	s_mul_hi_u32 s4, s36, s3
	s_mul_i32 s37, s37, s3
	s_add_i32 s4, s4, s37
	s_mul_i32 s3, s36, s3
	s_mul_i32 s4, s4, s33
	s_mul_hi_u32 s5, s3, s33
	s_add_i32 s5, s5, s4
	s_mul_i32 s4, s3, s33
	s_lshl_b64 s[4:5], s[4:5], 3
	s_waitcnt lgkmcnt(0)
	s_add_u32 s3, s0, s4
	s_addc_u32 s4, s1, s5
	s_mul_hi_i32 s1, s36, s2
	s_mul_i32 s0, s36, s2
	s_lshl_b64 s[0:1], s[0:1], 3
	s_add_u32 s6, s3, s0
	s_addc_u32 s7, s4, s1
	s_add_i32 s8, s2, 1
	s_cmp_ge_u32 s8, s33
	v_lshlrev_b32_e32 v51, 3, v50
	s_barrier
	s_cbranch_scc1 .LBB100_126
; %bb.70:
	s_mul_i32 s0, s35, s24
	s_ashr_i32 s1, s0, 31
	s_lshl_b64 s[0:1], s[0:1], 3
	v_lshrrev_b32_e32 v2, 4, v22
	v_mov_b32_e32 v4, 0x2180
	v_lshlrev_b32_e32 v144, 2, v49
	v_mov_b32_e32 v0, s1
	v_subrev_co_u32_e32 v54, vcc, s0, v14
	v_lshl_add_u32 v145, v49, 5, v4
	v_lshlrev_b32_e32 v4, 5, v2
	v_mul_i32_i24_e32 v8, 0xffffffe8, v2
	v_and_b32_e32 v2, 48, v50
	v_subb_co_u32_e32 v55, vcc, v15, v0, vcc
	v_and_b32_e32 v3, 15, v50
	v_mad_u64_u32 v[0:1], s[0:1], s22, v144, v[50:51]
	s_movk_i32 s10, 0x218
	v_lshlrev_b32_e32 v2, 3, v2
	v_ashrrev_i32_e32 v1, 31, v0
	v_mad_u32_u24 v147, v3, s10, v2
	v_or_b32_e32 v2, 0x78, v51
	v_mad_u32_u24 v146, v3, s10, v4
	s_lshl_b32 s4, s22, 4
	v_mad_u32_u24 v148, v3, s10, v2
	v_lshlrev_b64 v[2:3], 3, v[0:1]
	s_lshl_b32 s19, s35, 6
	s_ashr_i32 s5, s4, 31
	s_ashr_i32 s23, s22, 31
	s_lshl_b32 s28, s22, 1
	s_mul_i32 s30, s22, 3
	s_mul_i32 s35, s35, s8
	v_mad_i64_i32 v[60:61], s[24:25], v12, -8, v[2:3]
	s_lshl_b64 s[12:13], s[26:27], 3
	s_add_i32 s3, s33, -2
	s_ashr_i32 s29, s28, 31
	s_ashr_i32 s31, s30, 31
	s_lshl_b64 s[16:17], s[22:23], 3
	s_lshl_b32 s8, s35, 6
	v_lshlrev_b64 v[4:5], 3, v[12:13]
	s_lshl_b64 s[10:11], s[4:5], 5
	s_lshl_b64 s[24:25], s[22:23], 4
	v_lshl_add_u64 v[2:3], s[26:27], 0, v[0:1]
	v_sub_co_u32_e32 v58, vcc, 0, v4
	s_add_u32 s36, s24, s12
	v_lshlrev_b64 v[2:3], 3, v[2:3]
	v_subb_co_u32_e32 v59, vcc, 0, v5, vcc
	s_addc_u32 s37, s25, s13
	v_mad_i64_i32 v[4:5], s[38:39], s22, 24, v[2:3]
	s_add_u32 s38, s16, s12
	s_addc_u32 s39, s17, s13
	s_lshl_b64 s[28:29], s[28:29], 3
	s_add_u32 s40, s12, s28
	s_addc_u32 s41, s13, s29
	s_lshl_b64 s[30:31], s[30:31], 3
	v_lshl_add_u64 v[68:69], v[16:17], 0, s[40:41]
	s_add_u32 s40, s12, s30
	s_addc_u32 s41, s13, s31
	v_lshl_add_u64 v[70:71], v[16:17], 0, s[40:41]
	s_lshl_b64 s[40:41], s[4:5], 3
	s_add_u32 s42, s12, s40
	s_addc_u32 s43, s13, s41
	v_lshl_add_u64 v[66:67], v[16:17], 0, s[38:39]
	s_add_u32 s38, s38, s40
	s_addc_u32 s39, s39, s41
	v_lshl_add_u64 v[74:75], v[16:17], 0, s[38:39]
	;; [unrolled: 3-line block ×4, first 2 shown]
	s_add_u32 s38, s36, s40
	s_addc_u32 s39, s37, s41
	s_add_u32 s26, s26, s4
	s_addc_u32 s27, s27, s5
	v_lshl_add_u64 v[0:1], s[26:27], 0, v[0:1]
	v_lshlrev_b64 v[0:1], 3, v[0:1]
	v_mad_i64_i32 v[0:1], s[26:27], s22, 24, v[0:1]
	s_lshl_b64 s[26:27], s[4:5], 4
	v_lshl_add_u64 v[56:57], v[16:17], 0, s[12:13]
	s_add_u32 s12, s26, s12
	s_addc_u32 s13, s27, s13
	v_lshl_add_u64 v[80:81], v[16:17], 0, s[38:39]
	s_add_u32 s38, s12, s16
	s_addc_u32 s39, s13, s17
	s_add_u32 s40, s12, s28
	s_addc_u32 s41, s13, s29
	v_lshl_add_u64 v[84:85], v[16:17], 0, s[12:13]
	s_add_u32 s12, s12, s30
	s_addc_u32 s13, s13, s31
	v_lshl_add_u64 v[62:63], v[16:17], 0, s[36:37]
	s_add_u32 s36, s36, s26
	s_mul_i32 s44, s22, 24
	s_addc_u32 s37, s37, s27
	s_mul_hi_i32 s35, s22, 24
	s_add_u32 s26, s44, s26
	s_addc_u32 s27, s35, s27
	v_lshl_add_u64 v[82:83], v[16:17], 0, v[0:1]
	v_lshl_add_u64 v[0:1], s[26:27], 0, v[2:3]
	;; [unrolled: 1-line block ×3, first 2 shown]
	s_mul_i32 s35, s22, 0x180
	v_mad_i64_i32 v[0:1], s[26:27], s4, 24, v[2:3]
	v_lshl_add_u64 v[64:65], v[16:17], 0, v[4:5]
	v_lshl_add_u64 v[72:73], v[16:17], 0, s[42:43]
	s_mul_hi_i32 s42, s4, 24
	v_lshl_add_u64 v[4:5], v[0:1], 0, s[16:17]
	s_add_u32 s16, s35, s24
	s_addc_u32 s17, s42, s25
	s_add_u32 s4, s22, s4
	v_lshl_add_u64 v[90:91], v[16:17], 0, v[4:5]
	s_addc_u32 s22, s23, s5
	v_mad_u64_u32 v[4:5], s[4:5], s4, 24, v[2:3]
	v_mov_b32_e32 v6, v5
	v_mad_u64_u32 v[6:7], s[4:5], s22, 24, v[6:7]
	v_lshl_add_u64 v[88:89], v[16:17], 0, v[0:1]
	v_mov_b32_e32 v5, v6
	v_lshl_add_u64 v[6:7], v[0:1], 0, s[28:29]
	v_lshl_add_u64 v[0:1], v[0:1], 0, s[30:31]
	s_movk_i32 s9, 0x860
	v_lshl_add_u64 v[94:95], v[16:17], 0, v[0:1]
	v_lshl_add_u64 v[0:1], s[16:17], 0, v[2:3]
	v_cmp_gt_u32_e64 s[0:1], 64, v22
	v_lshl_add_u64 v[92:93], v[16:17], 0, v[6:7]
	v_lshl_add_u64 v[96:97], v[16:17], 0, v[0:1]
	;; [unrolled: 1-line block ×7, first 2 shown]
	v_add_u32_e32 v149, v146, v8
	v_add_u32_e32 v150, 0x2380, v51
	v_mad_u32_u24 v151, v49, s9, v51
	v_or_b32_e32 v152, 3, v144
	v_add_u32_e32 v153, 16, v144
	v_add_u32_e32 v154, 17, v144
	;; [unrolled: 1-line block ×13, first 2 shown]
	s_cmp_eq_u32 s3, s2
	s_cselect_b32 s22, s34, 0
	s_and_saveexec_b64 s[4:5], s[14:15]
	s_cbranch_execz .LBB100_74
.LBB100_71:
	s_cmp_eq_u32 s22, 0
	s_cselect_b64 s[12:13], -1, 0
	v_cmp_gt_i32_e32 vcc, s22, v50
	s_or_b64 s[16:17], s[12:13], vcc
	v_mov_b64_e32 v[0:1], 0
	s_and_saveexec_b64 s[12:13], s[16:17]
	s_cbranch_execz .LBB100_73
; %bb.72:
	s_ashr_i32 s9, s8, 31
	v_lshl_add_u64 v[0:1], s[8:9], 3, v[54:55]
	global_load_dwordx2 v[0:1], v[0:1], off
.LBB100_73:
	s_or_b64 exec, exec, s[12:13]
	v_add_u32_e32 v2, 0x2180, v51
	s_waitcnt vmcnt(0)
	ds_write_b64 v2, v[0:1]
.LBB100_74:                             ; =>This Inner Loop Header: Depth=1
	s_or_b64 exec, exec, s[4:5]
	s_cmp_eq_u32 s22, 0
	s_cselect_b64 s[12:13], -1, 0
	s_cmp_lg_u32 s22, 0
	s_cselect_b64 s[16:17], -1, 0
	v_lshl_add_u64 v[0:1], v[56:57], 0, v[60:61]
	s_mov_b64 s[4:5], -1
	s_and_b64 vcc, exec, s[16:17]
	s_waitcnt lgkmcnt(0)
	s_barrier
                                        ; implicit-def: $vgpr114_vgpr115
                                        ; implicit-def: $vgpr116_vgpr117
                                        ; implicit-def: $vgpr110_vgpr111
                                        ; implicit-def: $vgpr112_vgpr113
	s_cbranch_vccz .LBB100_84
; %bb.75:                               ;   in Loop: Header=BB100_74 Depth=1
	v_cmp_gt_i32_e32 vcc, s22, v144
	v_mov_b64_e32 v[110:111], 0
	v_mov_b64_e32 v[112:113], 0
	s_and_saveexec_b64 s[4:5], vcc
	s_cbranch_execz .LBB100_77
; %bb.76:                               ;   in Loop: Header=BB100_74 Depth=1
	global_load_dwordx2 v[112:113], v[0:1], off
.LBB100_77:                             ;   in Loop: Header=BB100_74 Depth=1
	s_or_b64 exec, exec, s[4:5]
	v_or_b32_e32 v2, 1, v144
	v_cmp_gt_i32_e32 vcc, s22, v2
	s_and_saveexec_b64 s[4:5], vcc
	s_cbranch_execz .LBB100_79
; %bb.78:                               ;   in Loop: Header=BB100_74 Depth=1
	v_lshl_add_u64 v[2:3], v[66:67], 0, v[60:61]
	global_load_dwordx2 v[110:111], v[2:3], off
.LBB100_79:                             ;   in Loop: Header=BB100_74 Depth=1
	s_or_b64 exec, exec, s[4:5]
	v_or_b32_e32 v2, 2, v144
	v_cmp_gt_i32_e32 vcc, s22, v2
	v_mov_b64_e32 v[114:115], 0
	v_mov_b64_e32 v[116:117], 0
	s_and_saveexec_b64 s[4:5], vcc
	s_cbranch_execz .LBB100_81
; %bb.80:                               ;   in Loop: Header=BB100_74 Depth=1
	v_lshl_add_u64 v[2:3], v[68:69], 0, v[60:61]
	global_load_dwordx2 v[116:117], v[2:3], off
.LBB100_81:                             ;   in Loop: Header=BB100_74 Depth=1
	s_or_b64 exec, exec, s[4:5]
	v_cmp_gt_i32_e32 vcc, s22, v152
	s_and_saveexec_b64 s[4:5], vcc
	s_cbranch_execz .LBB100_83
; %bb.82:                               ;   in Loop: Header=BB100_74 Depth=1
	v_lshl_add_u64 v[2:3], v[70:71], 0, v[60:61]
	global_load_dwordx2 v[114:115], v[2:3], off
.LBB100_83:                             ;   in Loop: Header=BB100_74 Depth=1
	s_or_b64 exec, exec, s[4:5]
	s_mov_b64 s[4:5], 0
.LBB100_84:                             ;   in Loop: Header=BB100_74 Depth=1
	s_and_b64 vcc, exec, s[4:5]
	s_cbranch_vccz .LBB100_86
; %bb.85:                               ;   in Loop: Header=BB100_74 Depth=1
	global_load_dwordx2 v[112:113], v[0:1], off
	v_lshl_add_u64 v[0:1], v[66:67], 0, v[60:61]
	global_load_dwordx2 v[110:111], v[0:1], off
	v_lshl_add_u64 v[0:1], v[62:63], 0, v[60:61]
	;; [unrolled: 2-line block ×3, first 2 shown]
	global_load_dwordx2 v[114:115], v[0:1], off
.LBB100_86:                             ;   in Loop: Header=BB100_74 Depth=1
	ds_read_b64 v[8:9], v150
	ds_read_b128 v[4:7], v145
	ds_read_b128 v[0:3], v145 offset:16
	s_andn2_b64 vcc, exec, s[16:17]
                                        ; implicit-def: $vgpr122_vgpr123
                                        ; implicit-def: $vgpr124_vgpr125
                                        ; implicit-def: $vgpr118_vgpr119
                                        ; implicit-def: $vgpr120_vgpr121
	s_waitcnt vmcnt(0) lgkmcnt(2)
	v_mul_f64 v[10:11], v[112:113], v[8:9]
	v_mul_f64 v[12:13], v[110:111], v[8:9]
	;; [unrolled: 1-line block ×4, first 2 shown]
	ds_write2_b64 v151, v[10:11], v[12:13] offset1:67
	ds_write2_b64 v151, v[14:15], v[8:9] offset0:134 offset1:201
	s_waitcnt lgkmcnt(0)
	s_barrier
	ds_read2_b64 v[20:23], v146 offset1:1
	ds_read2_b64 v[16:19], v146 offset0:2 offset1:3
	v_cndmask_b32_e64 v10, 0, 1, s[16:17]
	v_lshl_add_u64 v[8:9], v[72:73], 0, v[60:61]
	v_cmp_ne_u32_e64 s[4:5], 1, v10
	s_mov_b64 s[16:17], -1
	s_waitcnt lgkmcnt(0)
	s_barrier
	s_cbranch_vccnz .LBB100_96
; %bb.87:                               ;   in Loop: Header=BB100_74 Depth=1
	v_cmp_gt_i32_e32 vcc, s22, v153
	v_mov_b64_e32 v[118:119], 0
	v_mov_b64_e32 v[120:121], 0
	s_and_saveexec_b64 s[16:17], vcc
	s_cbranch_execz .LBB100_89
; %bb.88:                               ;   in Loop: Header=BB100_74 Depth=1
	global_load_dwordx2 v[120:121], v[8:9], off
.LBB100_89:                             ;   in Loop: Header=BB100_74 Depth=1
	s_or_b64 exec, exec, s[16:17]
	v_cmp_gt_i32_e32 vcc, s22, v154
	s_and_saveexec_b64 s[16:17], vcc
	s_cbranch_execz .LBB100_91
; %bb.90:                               ;   in Loop: Header=BB100_74 Depth=1
	v_lshl_add_u64 v[10:11], v[74:75], 0, v[60:61]
	global_load_dwordx2 v[118:119], v[10:11], off
.LBB100_91:                             ;   in Loop: Header=BB100_74 Depth=1
	s_or_b64 exec, exec, s[16:17]
	v_cmp_gt_i32_e32 vcc, s22, v155
	v_mov_b64_e32 v[122:123], 0
	v_mov_b64_e32 v[124:125], 0
	s_and_saveexec_b64 s[16:17], vcc
	s_cbranch_execz .LBB100_93
; %bb.92:                               ;   in Loop: Header=BB100_74 Depth=1
	v_lshl_add_u64 v[10:11], v[76:77], 0, v[60:61]
	global_load_dwordx2 v[124:125], v[10:11], off
.LBB100_93:                             ;   in Loop: Header=BB100_74 Depth=1
	s_or_b64 exec, exec, s[16:17]
	v_cmp_gt_i32_e32 vcc, s22, v156
	s_and_saveexec_b64 s[16:17], vcc
	s_cbranch_execz .LBB100_95
; %bb.94:                               ;   in Loop: Header=BB100_74 Depth=1
	v_lshl_add_u64 v[10:11], v[78:79], 0, v[60:61]
	global_load_dwordx2 v[122:123], v[10:11], off
.LBB100_95:                             ;   in Loop: Header=BB100_74 Depth=1
	s_or_b64 exec, exec, s[16:17]
	s_mov_b64 s[16:17], 0
.LBB100_96:                             ;   in Loop: Header=BB100_74 Depth=1
	s_and_b64 vcc, exec, s[16:17]
	s_cbranch_vccz .LBB100_98
; %bb.97:                               ;   in Loop: Header=BB100_74 Depth=1
	global_load_dwordx2 v[120:121], v[8:9], off
	v_lshl_add_u64 v[8:9], v[74:75], 0, v[60:61]
	global_load_dwordx2 v[118:119], v[8:9], off
	v_lshl_add_u64 v[8:9], v[80:81], 0, v[60:61]
	;; [unrolled: 2-line block ×3, first 2 shown]
	global_load_dwordx2 v[122:123], v[8:9], off
.LBB100_98:                             ;   in Loop: Header=BB100_74 Depth=1
	ds_read_b64 v[24:25], v150
	ds_read_b128 v[12:15], v145 offset:128
	ds_read_b128 v[8:11], v145 offset:144
	s_and_b64 vcc, exec, s[4:5]
	s_mov_b64 s[16:17], -1
	s_waitcnt vmcnt(0) lgkmcnt(2)
	v_mul_f64 v[26:27], v[120:121], v[24:25]
	v_mul_f64 v[28:29], v[118:119], v[24:25]
	;; [unrolled: 1-line block ×4, first 2 shown]
	ds_write2_b64 v151, v[26:27], v[28:29] offset1:67
	ds_write2_b64 v151, v[30:31], v[24:25] offset0:134 offset1:201
	s_waitcnt lgkmcnt(0)
	s_barrier
	ds_read2_b64 v[36:39], v146 offset1:1
	ds_read2_b64 v[32:35], v146 offset0:2 offset1:3
	v_lshl_add_u64 v[24:25], v[84:85], 0, v[60:61]
	s_waitcnt lgkmcnt(0)
	s_barrier
                                        ; implicit-def: $vgpr130_vgpr131
                                        ; implicit-def: $vgpr132_vgpr133
                                        ; implicit-def: $vgpr126_vgpr127
                                        ; implicit-def: $vgpr128_vgpr129
	s_cbranch_vccnz .LBB100_108
; %bb.99:                               ;   in Loop: Header=BB100_74 Depth=1
	v_cmp_gt_i32_e32 vcc, s22, v157
	v_mov_b64_e32 v[126:127], 0
	v_mov_b64_e32 v[128:129], 0
	s_and_saveexec_b64 s[16:17], vcc
	s_cbranch_execz .LBB100_101
; %bb.100:                              ;   in Loop: Header=BB100_74 Depth=1
	global_load_dwordx2 v[128:129], v[24:25], off
.LBB100_101:                            ;   in Loop: Header=BB100_74 Depth=1
	s_or_b64 exec, exec, s[16:17]
	v_cmp_gt_i32_e32 vcc, s22, v158
	s_and_saveexec_b64 s[16:17], vcc
	s_cbranch_execz .LBB100_103
; %bb.102:                              ;   in Loop: Header=BB100_74 Depth=1
	v_lshl_add_u64 v[26:27], v[100:101], 0, v[60:61]
	global_load_dwordx2 v[126:127], v[26:27], off
.LBB100_103:                            ;   in Loop: Header=BB100_74 Depth=1
	s_or_b64 exec, exec, s[16:17]
	v_cmp_gt_i32_e32 vcc, s22, v159
	v_mov_b64_e32 v[130:131], 0
	v_mov_b64_e32 v[132:133], 0
	s_and_saveexec_b64 s[16:17], vcc
	s_cbranch_execz .LBB100_105
; %bb.104:                              ;   in Loop: Header=BB100_74 Depth=1
	v_lshl_add_u64 v[26:27], v[102:103], 0, v[60:61]
	global_load_dwordx2 v[132:133], v[26:27], off
.LBB100_105:                            ;   in Loop: Header=BB100_74 Depth=1
	s_or_b64 exec, exec, s[16:17]
	v_cmp_gt_i32_e32 vcc, s22, v160
	s_and_saveexec_b64 s[16:17], vcc
	s_cbranch_execz .LBB100_107
; %bb.106:                              ;   in Loop: Header=BB100_74 Depth=1
	v_lshl_add_u64 v[26:27], v[104:105], 0, v[60:61]
	global_load_dwordx2 v[130:131], v[26:27], off
.LBB100_107:                            ;   in Loop: Header=BB100_74 Depth=1
	s_or_b64 exec, exec, s[16:17]
	s_mov_b64 s[16:17], 0
.LBB100_108:                            ;   in Loop: Header=BB100_74 Depth=1
	s_and_b64 vcc, exec, s[16:17]
	s_cbranch_vccz .LBB100_110
; %bb.109:                              ;   in Loop: Header=BB100_74 Depth=1
	global_load_dwordx2 v[128:129], v[24:25], off
	v_lshl_add_u64 v[24:25], v[100:101], 0, v[60:61]
	global_load_dwordx2 v[126:127], v[24:25], off
	v_lshl_add_u64 v[24:25], v[106:107], 0, v[60:61]
	;; [unrolled: 2-line block ×3, first 2 shown]
	global_load_dwordx2 v[130:131], v[24:25], off
.LBB100_110:                            ;   in Loop: Header=BB100_74 Depth=1
	ds_read_b64 v[40:41], v150
	ds_read_b128 v[28:31], v145 offset:256
	ds_read_b128 v[24:27], v145 offset:272
	v_lshl_add_u64 v[142:143], v[88:89], 0, v[58:59]
	s_and_b64 vcc, exec, s[4:5]
	s_waitcnt vmcnt(0) lgkmcnt(2)
	v_mul_f64 v[42:43], v[128:129], v[40:41]
	v_mul_f64 v[44:45], v[126:127], v[40:41]
	;; [unrolled: 1-line block ×4, first 2 shown]
	ds_write2_b64 v151, v[42:43], v[44:45] offset1:67
	ds_write2_b64 v151, v[46:47], v[40:41] offset0:134 offset1:201
	s_waitcnt lgkmcnt(0)
	s_barrier
	ds_read2_b64 v[44:47], v146 offset1:1
	ds_read2_b64 v[40:43], v146 offset0:2 offset1:3
	s_mov_b64 s[4:5], -1
	s_waitcnt lgkmcnt(0)
	s_barrier
                                        ; implicit-def: $vgpr138_vgpr139
                                        ; implicit-def: $vgpr140_vgpr141
                                        ; implicit-def: $vgpr134_vgpr135
                                        ; implicit-def: $vgpr136_vgpr137
	s_cbranch_vccnz .LBB100_120
; %bb.111:                              ;   in Loop: Header=BB100_74 Depth=1
	v_cmp_gt_i32_e32 vcc, s22, v161
	v_mov_b64_e32 v[134:135], 0
	v_mov_b64_e32 v[136:137], 0
	s_and_saveexec_b64 s[4:5], vcc
	s_cbranch_execz .LBB100_113
; %bb.112:                              ;   in Loop: Header=BB100_74 Depth=1
	global_load_dwordx2 v[136:137], v[142:143], off
.LBB100_113:                            ;   in Loop: Header=BB100_74 Depth=1
	s_or_b64 exec, exec, s[4:5]
	v_cmp_gt_i32_e32 vcc, s22, v162
	s_and_saveexec_b64 s[4:5], vcc
	s_cbranch_execz .LBB100_115
; %bb.114:                              ;   in Loop: Header=BB100_74 Depth=1
	v_lshl_add_u64 v[134:135], v[90:91], 0, v[58:59]
	global_load_dwordx2 v[134:135], v[134:135], off
.LBB100_115:                            ;   in Loop: Header=BB100_74 Depth=1
	s_or_b64 exec, exec, s[4:5]
	v_cmp_gt_i32_e32 vcc, s22, v163
	v_mov_b64_e32 v[138:139], 0
	v_mov_b64_e32 v[140:141], 0
	s_and_saveexec_b64 s[4:5], vcc
	s_cbranch_execz .LBB100_117
; %bb.116:                              ;   in Loop: Header=BB100_74 Depth=1
	v_lshl_add_u64 v[140:141], v[92:93], 0, v[58:59]
	global_load_dwordx2 v[140:141], v[140:141], off
.LBB100_117:                            ;   in Loop: Header=BB100_74 Depth=1
	s_or_b64 exec, exec, s[4:5]
	v_cmp_gt_i32_e32 vcc, s22, v164
	s_and_saveexec_b64 s[4:5], vcc
	s_cbranch_execz .LBB100_119
; %bb.118:                              ;   in Loop: Header=BB100_74 Depth=1
	v_lshl_add_u64 v[138:139], v[94:95], 0, v[58:59]
	global_load_dwordx2 v[138:139], v[138:139], off
.LBB100_119:                            ;   in Loop: Header=BB100_74 Depth=1
	s_or_b64 exec, exec, s[4:5]
	s_mov_b64 s[4:5], 0
.LBB100_120:                            ;   in Loop: Header=BB100_74 Depth=1
	s_and_b64 vcc, exec, s[4:5]
	s_cbranch_vccz .LBB100_122
; %bb.121:                              ;   in Loop: Header=BB100_74 Depth=1
	s_waitcnt vmcnt(0)
	v_lshl_add_u64 v[138:139], v[96:97], 0, v[58:59]
	v_lshl_add_u64 v[134:135], v[90:91], 0, v[58:59]
	global_load_dwordx2 v[140:141], v[138:139], off
	v_lshl_add_u64 v[138:139], v[98:99], 0, v[58:59]
	global_load_dwordx2 v[136:137], v[142:143], off
	s_nop 0
	global_load_dwordx2 v[134:135], v[134:135], off
	s_nop 0
	global_load_dwordx2 v[138:139], v[138:139], off
.LBB100_122:                            ;   in Loop: Header=BB100_74 Depth=1
	v_add_f64 v[44:45], v[44:45], 0
	v_add_f64 v[44:45], v[44:45], v[46:47]
	;; [unrolled: 1-line block ×4, first 2 shown]
	ds_read_b64 v[40:41], v150
	v_add_f64 v[36:37], v[36:37], 0
	v_add_f64 v[36:37], v[36:37], v[38:39]
	;; [unrolled: 1-line block ×4, first 2 shown]
	s_waitcnt vmcnt(0) lgkmcnt(0)
	v_mul_f64 v[42:43], v[136:137], v[40:41]
	v_mul_f64 v[142:143], v[134:135], v[40:41]
	ds_read_b128 v[36:39], v145 offset:384
	ds_read_b128 v[32:35], v145 offset:400
	ds_write2_b64 v151, v[42:43], v[142:143] offset1:67
	v_mul_f64 v[42:43], v[140:141], v[40:41]
	v_mul_f64 v[40:41], v[138:139], v[40:41]
	ds_write2_b64 v151, v[42:43], v[40:41] offset0:134 offset1:201
	s_waitcnt lgkmcnt(0)
	s_barrier
	ds_read2_b64 v[40:43], v146 offset1:1
	v_add_f64 v[20:21], v[20:21], 0
	v_add_f64 v[142:143], v[20:21], v[22:23]
	ds_read2_b64 v[20:23], v146 offset0:2 offset1:3
	v_add_f64 v[16:17], v[142:143], v[16:17]
	v_add_f64 v[16:17], v[16:17], v[18:19]
	s_waitcnt lgkmcnt(1)
	v_add_f64 v[18:19], v[40:41], 0
	v_cmp_gt_i32_e32 vcc, s22, v50
	v_add_f64 v[18:19], v[18:19], v[42:43]
	s_or_b64 s[4:5], s[12:13], vcc
	s_waitcnt lgkmcnt(0)
	v_add_f64 v[18:19], v[18:19], v[20:21]
	s_and_b64 s[12:13], s[0:1], s[4:5]
	v_add_f64 v[18:19], v[18:19], v[22:23]
	s_barrier
	ds_write2_b64 v149, v[16:17], v[46:47] offset1:16
	ds_write2_b64 v149, v[44:45], v[18:19] offset0:32 offset1:48
	s_waitcnt lgkmcnt(0)
	s_barrier
	s_and_saveexec_b64 s[4:5], s[12:13]
	s_cbranch_execz .LBB100_124
; %bb.123:                              ;   in Loop: Header=BB100_74 Depth=1
	ds_read2_b64 v[16:19], v147 offset1:1
	ds_read2_b64 v[20:23], v147 offset0:2 offset1:3
	ds_read2_b64 v[40:43], v147 offset0:4 offset1:5
	;; [unrolled: 1-line block ×4, first 2 shown]
	s_waitcnt lgkmcnt(4)
	v_add_f64 v[16:17], v[16:17], v[18:19]
	s_waitcnt lgkmcnt(3)
	v_add_f64 v[16:17], v[16:17], v[20:21]
	v_add_f64 v[16:17], v[16:17], v[22:23]
	s_waitcnt lgkmcnt(2)
	v_add_f64 v[16:17], v[16:17], v[40:41]
	;; [unrolled: 3-line block ×3, first 2 shown]
	ds_read2_b64 v[16:19], v147 offset0:10 offset1:11
	v_add_f64 v[20:21], v[20:21], v[46:47]
	s_waitcnt lgkmcnt(1)
	v_add_f64 v[20:21], v[20:21], v[166:167]
	v_add_f64 v[40:41], v[20:21], v[168:169]
	ds_read2_b64 v[20:23], v147 offset0:12 offset1:13
	s_waitcnt lgkmcnt(1)
	v_add_f64 v[16:17], v[40:41], v[16:17]
	ds_read_b64 v[40:41], v147 offset:112
	ds_read_b64 v[42:43], v148
	v_add_f64 v[16:17], v[16:17], v[18:19]
	v_ashrrev_i32_e32 v109, 31, v108
	s_waitcnt lgkmcnt(2)
	v_add_f64 v[16:17], v[16:17], v[20:21]
	v_add_f64 v[16:17], v[16:17], v[22:23]
	s_waitcnt lgkmcnt(1)
	v_add_f64 v[16:17], v[16:17], v[40:41]
	s_waitcnt lgkmcnt(0)
	v_add_f64 v[16:17], v[16:17], v[42:43]
	v_lshl_add_u64 v[18:19], v[108:109], 3, s[6:7]
	global_store_dwordx2 v[18:19], v[16:17], off
.LBB100_124:                            ;   in Loop: Header=BB100_74 Depth=1
	s_or_b64 exec, exec, s[4:5]
	v_fmac_f64_e32 v[52:53], v[112:113], v[4:5]
	v_fmac_f64_e32 v[52:53], v[110:111], v[6:7]
	;; [unrolled: 1-line block ×15, first 2 shown]
	s_add_i32 s4, s2, 1
	s_add_i32 s8, s8, s19
	;; [unrolled: 1-line block ×3, first 2 shown]
	v_fmac_f64_e32 v[52:53], v[138:139], v[34:35]
	v_add_u32_e32 v108, 64, v108
	v_lshl_add_u64 v[56:57], v[56:57], 0, s[10:11]
	v_lshl_add_u64 v[62:63], v[62:63], 0, s[10:11]
	;; [unrolled: 1-line block ×23, first 2 shown]
	s_cmp_ge_u32 s2, s33
	v_lshl_add_u64 v[98:99], v[98:99], 0, s[10:11]
	s_barrier
	s_cbranch_scc1 .LBB100_126
; %bb.125:                              ;   in Loop: Header=BB100_74 Depth=1
	s_mov_b32 s2, s4
	s_cmp_eq_u32 s3, s2
	s_cselect_b32 s22, s34, 0
	s_and_saveexec_b64 s[4:5], s[14:15]
	s_cbranch_execnz .LBB100_71
	s_branch .LBB100_74
.LBB100_126:
	s_movk_i32 s0, 0x218
	v_cmp_gt_i32_e32 vcc, s18, v50
	v_mad_u32_u24 v0, v49, s0, v51
	s_or_b64 s[0:1], s[20:21], vcc
	s_and_b64 s[0:1], s[14:15], s[0:1]
	ds_write_b64 v0, v[52:53]
	s_waitcnt lgkmcnt(0)
	s_barrier
	s_and_saveexec_b64 s[2:3], s[0:1]
	s_cbranch_execz .LBB100_128
; %bb.127:
	ds_read2_b64 v[0:3], v51 offset1:67
	ds_read2_b64 v[4:7], v51 offset0:134 offset1:201
	v_ashrrev_i32_e32 v49, 31, v48
	s_waitcnt lgkmcnt(1)
	v_add_f64 v[0:1], v[0:1], v[2:3]
	s_waitcnt lgkmcnt(0)
	v_add_f64 v[0:1], v[0:1], v[4:5]
	v_add_f64 v[0:1], v[0:1], v[6:7]
	v_lshl_add_u64 v[2:3], v[48:49], 3, s[6:7]
	global_store_dwordx2 v[2:3], v[0:1], off
.LBB100_128:
	s_endpgm
	.section	.rodata,"a",@progbits
	.p2align	6, 0x0
	.amdhsa_kernel _ZL26rocblas_hemvn_kernel_upperILb0ELi64ELi4ELi33ELi32ELi16EidPKdPdEviT6_lT7_lT5_lS4_lS5_lS3_lT8_i
		.amdhsa_group_segment_fixed_size 9600
		.amdhsa_private_segment_fixed_size 0
		.amdhsa_kernarg_size 376
		.amdhsa_user_sgpr_count 2
		.amdhsa_user_sgpr_dispatch_ptr 0
		.amdhsa_user_sgpr_queue_ptr 0
		.amdhsa_user_sgpr_kernarg_segment_ptr 1
		.amdhsa_user_sgpr_dispatch_id 0
		.amdhsa_user_sgpr_kernarg_preload_length 0
		.amdhsa_user_sgpr_kernarg_preload_offset 0
		.amdhsa_user_sgpr_private_segment_size 0
		.amdhsa_uses_dynamic_stack 0
		.amdhsa_enable_private_segment 0
		.amdhsa_system_sgpr_workgroup_id_x 1
		.amdhsa_system_sgpr_workgroup_id_y 0
		.amdhsa_system_sgpr_workgroup_id_z 1
		.amdhsa_system_sgpr_workgroup_info 0
		.amdhsa_system_vgpr_workitem_id 1
		.amdhsa_next_free_vgpr 170
		.amdhsa_next_free_sgpr 45
		.amdhsa_accum_offset 172
		.amdhsa_reserve_vcc 1
		.amdhsa_float_round_mode_32 0
		.amdhsa_float_round_mode_16_64 0
		.amdhsa_float_denorm_mode_32 3
		.amdhsa_float_denorm_mode_16_64 3
		.amdhsa_dx10_clamp 1
		.amdhsa_ieee_mode 1
		.amdhsa_fp16_overflow 0
		.amdhsa_tg_split 0
		.amdhsa_exception_fp_ieee_invalid_op 0
		.amdhsa_exception_fp_denorm_src 0
		.amdhsa_exception_fp_ieee_div_zero 0
		.amdhsa_exception_fp_ieee_overflow 0
		.amdhsa_exception_fp_ieee_underflow 0
		.amdhsa_exception_fp_ieee_inexact 0
		.amdhsa_exception_int_div_zero 0
	.end_amdhsa_kernel
	.section	.text._ZL26rocblas_hemvn_kernel_upperILb0ELi64ELi4ELi33ELi32ELi16EidPKdPdEviT6_lT7_lT5_lS4_lS5_lS3_lT8_i,"axG",@progbits,_ZL26rocblas_hemvn_kernel_upperILb0ELi64ELi4ELi33ELi32ELi16EidPKdPdEviT6_lT7_lT5_lS4_lS5_lS3_lT8_i,comdat
.Lfunc_end100:
	.size	_ZL26rocblas_hemvn_kernel_upperILb0ELi64ELi4ELi33ELi32ELi16EidPKdPdEviT6_lT7_lT5_lS4_lS5_lS3_lT8_i, .Lfunc_end100-_ZL26rocblas_hemvn_kernel_upperILb0ELi64ELi4ELi33ELi32ELi16EidPKdPdEviT6_lT7_lT5_lS4_lS5_lS3_lT8_i
                                        ; -- End function
	.set _ZL26rocblas_hemvn_kernel_upperILb0ELi64ELi4ELi33ELi32ELi16EidPKdPdEviT6_lT7_lT5_lS4_lS5_lS3_lT8_i.num_vgpr, 170
	.set _ZL26rocblas_hemvn_kernel_upperILb0ELi64ELi4ELi33ELi32ELi16EidPKdPdEviT6_lT7_lT5_lS4_lS5_lS3_lT8_i.num_agpr, 0
	.set _ZL26rocblas_hemvn_kernel_upperILb0ELi64ELi4ELi33ELi32ELi16EidPKdPdEviT6_lT7_lT5_lS4_lS5_lS3_lT8_i.numbered_sgpr, 45
	.set _ZL26rocblas_hemvn_kernel_upperILb0ELi64ELi4ELi33ELi32ELi16EidPKdPdEviT6_lT7_lT5_lS4_lS5_lS3_lT8_i.num_named_barrier, 0
	.set _ZL26rocblas_hemvn_kernel_upperILb0ELi64ELi4ELi33ELi32ELi16EidPKdPdEviT6_lT7_lT5_lS4_lS5_lS3_lT8_i.private_seg_size, 0
	.set _ZL26rocblas_hemvn_kernel_upperILb0ELi64ELi4ELi33ELi32ELi16EidPKdPdEviT6_lT7_lT5_lS4_lS5_lS3_lT8_i.uses_vcc, 1
	.set _ZL26rocblas_hemvn_kernel_upperILb0ELi64ELi4ELi33ELi32ELi16EidPKdPdEviT6_lT7_lT5_lS4_lS5_lS3_lT8_i.uses_flat_scratch, 0
	.set _ZL26rocblas_hemvn_kernel_upperILb0ELi64ELi4ELi33ELi32ELi16EidPKdPdEviT6_lT7_lT5_lS4_lS5_lS3_lT8_i.has_dyn_sized_stack, 0
	.set _ZL26rocblas_hemvn_kernel_upperILb0ELi64ELi4ELi33ELi32ELi16EidPKdPdEviT6_lT7_lT5_lS4_lS5_lS3_lT8_i.has_recursion, 0
	.set _ZL26rocblas_hemvn_kernel_upperILb0ELi64ELi4ELi33ELi32ELi16EidPKdPdEviT6_lT7_lT5_lS4_lS5_lS3_lT8_i.has_indirect_call, 0
	.section	.AMDGPU.csdata,"",@progbits
; Kernel info:
; codeLenInByte = 6872
; TotalNumSgprs: 51
; NumVgprs: 170
; NumAgprs: 0
; TotalNumVgprs: 170
; ScratchSize: 0
; MemoryBound: 0
; FloatMode: 240
; IeeeMode: 1
; LDSByteSize: 9600 bytes/workgroup (compile time only)
; SGPRBlocks: 6
; VGPRBlocks: 21
; NumSGPRsForWavesPerEU: 51
; NumVGPRsForWavesPerEU: 170
; AccumOffset: 172
; Occupancy: 2
; WaveLimiterHint : 1
; COMPUTE_PGM_RSRC2:SCRATCH_EN: 0
; COMPUTE_PGM_RSRC2:USER_SGPR: 2
; COMPUTE_PGM_RSRC2:TRAP_HANDLER: 0
; COMPUTE_PGM_RSRC2:TGID_X_EN: 1
; COMPUTE_PGM_RSRC2:TGID_Y_EN: 0
; COMPUTE_PGM_RSRC2:TGID_Z_EN: 1
; COMPUTE_PGM_RSRC2:TIDIG_COMP_CNT: 1
; COMPUTE_PGM_RSRC3_GFX90A:ACCUM_OFFSET: 42
; COMPUTE_PGM_RSRC3_GFX90A:TG_SPLIT: 0
	.section	.text._ZL36rocblas_hemvn_kernel_upper_block_sumILi64EidPddEviT1_lS1_lT2_lT0_lPT3_i,"axG",@progbits,_ZL36rocblas_hemvn_kernel_upper_block_sumILi64EidPddEviT1_lS1_lT2_lT0_lPT3_i,comdat
	.globl	_ZL36rocblas_hemvn_kernel_upper_block_sumILi64EidPddEviT1_lS1_lT2_lT0_lPT3_i ; -- Begin function _ZL36rocblas_hemvn_kernel_upper_block_sumILi64EidPddEviT1_lS1_lT2_lT0_lPT3_i
	.p2align	8
	.type	_ZL36rocblas_hemvn_kernel_upper_block_sumILi64EidPddEviT1_lS1_lT2_lT0_lPT3_i,@function
_ZL36rocblas_hemvn_kernel_upper_block_sumILi64EidPddEviT1_lS1_lT2_lT0_lPT3_i: ; @_ZL36rocblas_hemvn_kernel_upper_block_sumILi64EidPddEviT1_lS1_lT2_lT0_lPT3_i
; %bb.0:
	s_load_dwordx2 s[10:11], s[0:1], 0x8
	s_load_dwordx2 s[12:13], s[0:1], 0x18
	s_waitcnt lgkmcnt(0)
	v_cmp_eq_f64_e64 s[4:5], s[10:11], 0
	v_cmp_eq_f64_e64 s[6:7], s[12:13], 1.0
	s_and_b64 s[4:5], s[4:5], s[6:7]
	s_and_b64 vcc, exec, s[4:5]
	s_cbranch_vccnz .LBB101_19
; %bb.1:
	s_load_dwordx4 s[4:7], s[0:1], 0x40
	s_load_dwordx4 s[24:27], s[0:1], 0x28
	s_load_dword s22, s[0:1], 0x38
	s_load_dword s16, s[0:1], 0x0
	v_lshl_or_b32 v0, s2, 6, v0
	s_waitcnt lgkmcnt(0)
	s_mul_i32 s5, s5, s3
	s_mul_hi_u32 s8, s4, s3
	s_add_i32 s5, s8, s5
	s_mul_i32 s4, s4, s3
	s_lshl_b64 s[4:5], s[4:5], 3
	s_add_u32 s8, s24, s4
	s_addc_u32 s9, s25, s5
	s_lshl_b64 s[4:5], s[26:27], 3
	s_add_u32 s8, s8, s4
	s_addc_u32 s9, s9, s5
	v_cmp_neq_f64_e64 s[4:5], s[10:11], 0
	s_mov_b64 s[14:15], 0
	s_and_b64 vcc, exec, s[4:5]
	v_cmp_gt_i32_e64 s[4:5], s16, v0
	s_cbranch_vccnz .LBB101_6
; %bb.2:
	s_mov_b64 s[18:19], 0
                                        ; implicit-def: $vgpr4_vgpr5
                                        ; implicit-def: $vgpr2_vgpr3
	s_and_saveexec_b64 s[20:21], s[4:5]
	s_cbranch_execz .LBB101_7
; %bb.3:
	v_cmp_eq_f64_e64 s[4:5], s[12:13], 0
	v_mul_lo_u32 v2, s22, v0
	v_mov_b64_e32 v[4:5], 0
	v_ashrrev_i32_e32 v3, 31, v2
	s_and_b64 vcc, exec, s[4:5]
	s_cbranch_vccnz .LBB101_5
; %bb.4:
	v_lshl_add_u64 v[4:5], v[2:3], 3, s[8:9]
	global_load_dwordx2 v[4:5], v[4:5], off
	s_waitcnt vmcnt(0)
	v_mul_f64 v[4:5], s[12:13], v[4:5]
.LBB101_5:
	s_mov_b64 s[14:15], exec
	s_or_b64 exec, exec, s[20:21]
	s_and_b64 vcc, exec, s[18:19]
	s_cbranch_vccnz .LBB101_8
	s_branch .LBB101_17
.LBB101_6:
                                        ; implicit-def: $vgpr4_vgpr5
                                        ; implicit-def: $vgpr2_vgpr3
	s_cbranch_execnz .LBB101_8
	s_branch .LBB101_17
.LBB101_7:
	s_or_b64 exec, exec, s[20:21]
	s_and_b64 vcc, exec, s[18:19]
	s_cbranch_vccz .LBB101_17
.LBB101_8:
	v_cmp_gt_i32_e32 vcc, s16, v0
                                        ; implicit-def: $vgpr4_vgpr5
                                        ; implicit-def: $vgpr2_vgpr3
	s_and_saveexec_b64 s[4:5], vcc
	s_cbranch_execz .LBB101_16
; %bb.9:
	s_cmp_lt_i32 s2, 0
	v_mov_b64_e32 v[6:7], 0
	s_cbranch_scc1 .LBB101_12
; %bb.10:
	s_load_dword s0, s[0:1], 0x58
	s_ashr_i32 s17, s16, 31
	s_mul_hi_u32 s1, s16, s3
	s_mul_i32 s18, s17, s3
	s_add_i32 s1, s1, s18
	s_mul_i32 s3, s16, s3
	s_waitcnt lgkmcnt(0)
	s_mul_i32 s1, s1, s0
	s_mul_hi_u32 s18, s3, s0
	s_add_i32 s1, s18, s1
	s_mul_i32 s0, s3, s0
	s_lshl_b64 s[0:1], s[0:1], 3
	s_add_u32 s0, s6, s0
	s_addc_u32 s1, s7, s1
	v_mov_b32_e32 v1, 0
	v_lshl_add_u64 v[2:3], v[0:1], 3, s[0:1]
	s_add_i32 s2, s2, 1
	s_lshl_b64 s[0:1], s[16:17], 3
	v_mov_b64_e32 v[6:7], 0
.LBB101_11:                             ; =>This Inner Loop Header: Depth=1
	global_load_dwordx2 v[4:5], v[2:3], off
	s_add_i32 s2, s2, -1
	v_lshl_add_u64 v[2:3], v[2:3], 0, s[0:1]
	s_cmp_eq_u32 s2, 0
	s_waitcnt vmcnt(0)
	v_add_f64 v[6:7], v[6:7], v[4:5]
	s_cbranch_scc0 .LBB101_11
.LBB101_12:
	v_cmp_eq_f64_e64 s[2:3], s[12:13], 0
	v_mul_lo_u32 v2, s22, v0
	s_mov_b64 s[0:1], 0
	s_and_b64 vcc, exec, s[2:3]
	v_ashrrev_i32_e32 v3, 31, v2
	s_cbranch_vccz .LBB101_20
; %bb.13:
	v_mul_f64 v[4:5], s[10:11], v[6:7]
	s_andn2_b64 vcc, exec, s[0:1]
	s_cbranch_vccnz .LBB101_15
.LBB101_14:
	v_lshl_add_u64 v[0:1], v[2:3], 3, s[8:9]
	global_load_dwordx2 v[0:1], v[0:1], off
	s_waitcnt vmcnt(0)
	v_mul_f64 v[4:5], s[12:13], v[0:1]
	v_fmac_f64_e32 v[4:5], s[10:11], v[6:7]
.LBB101_15:
	s_or_b64 s[14:15], s[14:15], exec
.LBB101_16:
	s_or_b64 exec, exec, s[4:5]
.LBB101_17:
	s_and_saveexec_b64 s[0:1], s[14:15]
	s_cbranch_execz .LBB101_19
; %bb.18:
	v_lshl_add_u64 v[0:1], v[2:3], 3, s[8:9]
	global_store_dwordx2 v[0:1], v[4:5], off
.LBB101_19:
	s_endpgm
.LBB101_20:
                                        ; implicit-def: $vgpr4_vgpr5
	s_branch .LBB101_14
	.section	.rodata,"a",@progbits
	.p2align	6, 0x0
	.amdhsa_kernel _ZL36rocblas_hemvn_kernel_upper_block_sumILi64EidPddEviT1_lS1_lT2_lT0_lPT3_i
		.amdhsa_group_segment_fixed_size 0
		.amdhsa_private_segment_fixed_size 0
		.amdhsa_kernarg_size 344
		.amdhsa_user_sgpr_count 2
		.amdhsa_user_sgpr_dispatch_ptr 0
		.amdhsa_user_sgpr_queue_ptr 0
		.amdhsa_user_sgpr_kernarg_segment_ptr 1
		.amdhsa_user_sgpr_dispatch_id 0
		.amdhsa_user_sgpr_kernarg_preload_length 0
		.amdhsa_user_sgpr_kernarg_preload_offset 0
		.amdhsa_user_sgpr_private_segment_size 0
		.amdhsa_uses_dynamic_stack 0
		.amdhsa_enable_private_segment 0
		.amdhsa_system_sgpr_workgroup_id_x 1
		.amdhsa_system_sgpr_workgroup_id_y 0
		.amdhsa_system_sgpr_workgroup_id_z 1
		.amdhsa_system_sgpr_workgroup_info 0
		.amdhsa_system_vgpr_workitem_id 0
		.amdhsa_next_free_vgpr 8
		.amdhsa_next_free_sgpr 28
		.amdhsa_accum_offset 8
		.amdhsa_reserve_vcc 1
		.amdhsa_float_round_mode_32 0
		.amdhsa_float_round_mode_16_64 0
		.amdhsa_float_denorm_mode_32 3
		.amdhsa_float_denorm_mode_16_64 3
		.amdhsa_dx10_clamp 1
		.amdhsa_ieee_mode 1
		.amdhsa_fp16_overflow 0
		.amdhsa_tg_split 0
		.amdhsa_exception_fp_ieee_invalid_op 0
		.amdhsa_exception_fp_denorm_src 0
		.amdhsa_exception_fp_ieee_div_zero 0
		.amdhsa_exception_fp_ieee_overflow 0
		.amdhsa_exception_fp_ieee_underflow 0
		.amdhsa_exception_fp_ieee_inexact 0
		.amdhsa_exception_int_div_zero 0
	.end_amdhsa_kernel
	.section	.text._ZL36rocblas_hemvn_kernel_upper_block_sumILi64EidPddEviT1_lS1_lT2_lT0_lPT3_i,"axG",@progbits,_ZL36rocblas_hemvn_kernel_upper_block_sumILi64EidPddEviT1_lS1_lT2_lT0_lPT3_i,comdat
.Lfunc_end101:
	.size	_ZL36rocblas_hemvn_kernel_upper_block_sumILi64EidPddEviT1_lS1_lT2_lT0_lPT3_i, .Lfunc_end101-_ZL36rocblas_hemvn_kernel_upper_block_sumILi64EidPddEviT1_lS1_lT2_lT0_lPT3_i
                                        ; -- End function
	.set _ZL36rocblas_hemvn_kernel_upper_block_sumILi64EidPddEviT1_lS1_lT2_lT0_lPT3_i.num_vgpr, 8
	.set _ZL36rocblas_hemvn_kernel_upper_block_sumILi64EidPddEviT1_lS1_lT2_lT0_lPT3_i.num_agpr, 0
	.set _ZL36rocblas_hemvn_kernel_upper_block_sumILi64EidPddEviT1_lS1_lT2_lT0_lPT3_i.numbered_sgpr, 28
	.set _ZL36rocblas_hemvn_kernel_upper_block_sumILi64EidPddEviT1_lS1_lT2_lT0_lPT3_i.num_named_barrier, 0
	.set _ZL36rocblas_hemvn_kernel_upper_block_sumILi64EidPddEviT1_lS1_lT2_lT0_lPT3_i.private_seg_size, 0
	.set _ZL36rocblas_hemvn_kernel_upper_block_sumILi64EidPddEviT1_lS1_lT2_lT0_lPT3_i.uses_vcc, 1
	.set _ZL36rocblas_hemvn_kernel_upper_block_sumILi64EidPddEviT1_lS1_lT2_lT0_lPT3_i.uses_flat_scratch, 0
	.set _ZL36rocblas_hemvn_kernel_upper_block_sumILi64EidPddEviT1_lS1_lT2_lT0_lPT3_i.has_dyn_sized_stack, 0
	.set _ZL36rocblas_hemvn_kernel_upper_block_sumILi64EidPddEviT1_lS1_lT2_lT0_lPT3_i.has_recursion, 0
	.set _ZL36rocblas_hemvn_kernel_upper_block_sumILi64EidPddEviT1_lS1_lT2_lT0_lPT3_i.has_indirect_call, 0
	.section	.AMDGPU.csdata,"",@progbits
; Kernel info:
; codeLenInByte = 540
; TotalNumSgprs: 34
; NumVgprs: 8
; NumAgprs: 0
; TotalNumVgprs: 8
; ScratchSize: 0
; MemoryBound: 0
; FloatMode: 240
; IeeeMode: 1
; LDSByteSize: 0 bytes/workgroup (compile time only)
; SGPRBlocks: 4
; VGPRBlocks: 0
; NumSGPRsForWavesPerEU: 34
; NumVGPRsForWavesPerEU: 8
; AccumOffset: 8
; Occupancy: 8
; WaveLimiterHint : 0
; COMPUTE_PGM_RSRC2:SCRATCH_EN: 0
; COMPUTE_PGM_RSRC2:USER_SGPR: 2
; COMPUTE_PGM_RSRC2:TRAP_HANDLER: 0
; COMPUTE_PGM_RSRC2:TGID_X_EN: 1
; COMPUTE_PGM_RSRC2:TGID_Y_EN: 0
; COMPUTE_PGM_RSRC2:TGID_Z_EN: 1
; COMPUTE_PGM_RSRC2:TIDIG_COMP_CNT: 0
; COMPUTE_PGM_RSRC3_GFX90A:ACCUM_OFFSET: 1
; COMPUTE_PGM_RSRC3_GFX90A:TG_SPLIT: 0
	.section	.text._ZL50rocblas_symv_kernel_lower_double_buffered_diagonalILi32ELi4E24rocblas_internal_val_ptrIdEPKdPdEvbiT1_lT2_lllS6_lllS5_lT3_llli,"axG",@progbits,_ZL50rocblas_symv_kernel_lower_double_buffered_diagonalILi32ELi4E24rocblas_internal_val_ptrIdEPKdPdEvbiT1_lT2_lllS6_lllS5_lT3_llli,comdat
	.globl	_ZL50rocblas_symv_kernel_lower_double_buffered_diagonalILi32ELi4E24rocblas_internal_val_ptrIdEPKdPdEvbiT1_lT2_lllS6_lllS5_lT3_llli ; -- Begin function _ZL50rocblas_symv_kernel_lower_double_buffered_diagonalILi32ELi4E24rocblas_internal_val_ptrIdEPKdPdEvbiT1_lT2_lllS6_lllS5_lT3_llli
	.p2align	8
	.type	_ZL50rocblas_symv_kernel_lower_double_buffered_diagonalILi32ELi4E24rocblas_internal_val_ptrIdEPKdPdEvbiT1_lT2_lllS6_lllS5_lT3_llli,@function
_ZL50rocblas_symv_kernel_lower_double_buffered_diagonalILi32ELi4E24rocblas_internal_val_ptrIdEPKdPdEvbiT1_lT2_lllS6_lllS5_lT3_llli: ; @_ZL50rocblas_symv_kernel_lower_double_buffered_diagonalILi32ELi4E24rocblas_internal_val_ptrIdEPKdPdEvbiT1_lT2_lllS6_lllS5_lT3_llli
; %bb.0:
	s_load_dword s20, s[0:1], 0x0
	s_load_dwordx16 s[4:19], s[0:1], 0x8
	s_waitcnt lgkmcnt(0)
	s_bitcmp1_b32 s20, 0
	s_load_dwordx8 s[20:27], s[0:1], 0x48
	s_cselect_b64 s[30:31], -1, 0
	s_xor_b64 s[28:29], s[30:31], -1
	s_and_b64 vcc, exec, s[30:31]
	v_mov_b64_e32 v[2:3], s[4:5]
	s_cbranch_vccnz .LBB102_2
; %bb.1:
	s_mul_i32 s7, s7, s3
	s_mul_hi_u32 s30, s6, s3
	s_add_i32 s7, s30, s7
	s_mul_i32 s6, s6, s3
	s_lshl_b64 s[6:7], s[6:7], 3
	s_add_u32 s4, s4, s6
	s_addc_u32 s5, s5, s7
	v_mov_b64_e32 v[2:3], s[4:5]
	flat_load_dwordx2 v[2:3], v[2:3]
.LBB102_2:
	s_andn2_b64 vcc, exec, s[28:29]
	s_waitcnt lgkmcnt(0)
	v_mov_b64_e32 v[4:5], s[24:25]
	s_cbranch_vccnz .LBB102_4
; %bb.3:
	s_mul_i32 s4, s27, s3
	s_mul_hi_u32 s5, s26, s3
	s_add_i32 s5, s5, s4
	s_mul_i32 s4, s26, s3
	s_lshl_b64 s[4:5], s[4:5], 3
	s_add_u32 s4, s24, s4
	s_addc_u32 s5, s25, s5
	v_mov_b64_e32 v[4:5], s[4:5]
	flat_load_dwordx2 v[4:5], v[4:5]
.LBB102_4:
	s_waitcnt vmcnt(0)
	v_cmp_neq_f64_e32 vcc, 0, v[2:3]
	s_waitcnt lgkmcnt(0)
	v_cmp_neq_f64_e64 s[4:5], 1.0, v[4:5]
	s_or_b64 s[4:5], vcc, s[4:5]
	s_and_saveexec_b64 s[6:7], s[4:5]
	s_cbranch_execz .LBB102_33
; %bb.5:
	s_load_dwordx2 s[24:25], s[0:1], 0x80
	s_load_dwordx2 s[26:27], s[0:1], 0x68
	s_load_dwordx4 s[4:7], s[0:1], 0x70
	v_and_b32_e32 v10, 0x3ff, v0
	v_bfe_u32 v11, v0, 10, 10
	s_waitcnt lgkmcnt(0)
	s_mul_i32 s1, s25, s3
	s_mul_hi_u32 s25, s24, s3
	s_mul_i32 s0, s24, s3
	s_add_i32 s1, s25, s1
	s_lshl_b64 s[0:1], s[0:1], 3
	s_add_u32 s24, s26, s0
	s_addc_u32 s25, s27, s1
	s_lshl_b64 s[0:1], s[4:5], 3
	s_add_u32 s4, s24, s0
	s_addc_u32 s5, s25, s1
	s_lshl_b32 s2, s2, 5
	s_ashr_i32 s28, s2, 31
	s_mul_i32 s0, s6, s28
	s_mul_hi_u32 s1, s6, s2
	s_add_i32 s0, s1, s0
	s_mul_i32 s1, s7, s2
	s_add_i32 s1, s0, s1
	s_mul_i32 s0, s6, s2
	s_lshl_b64 s[0:1], s[0:1], 3
	s_add_u32 s4, s4, s0
	s_addc_u32 s5, s5, s1
	v_cmp_eq_f64_e32 vcc, 0, v[2:3]
	s_and_saveexec_b64 s[0:1], vcc
	s_xor_b64 s[0:1], exec, s[0:1]
	s_cbranch_execz .LBB102_9
; %bb.6:
	v_cmp_eq_u32_e32 vcc, 0, v11
	s_and_saveexec_b64 s[24:25], vcc
	s_cbranch_execz .LBB102_8
; %bb.7:
	v_mad_u64_u32 v[0:1], s[26:27], s6, v10, 0
	v_mov_b32_e32 v2, v1
	v_mad_u64_u32 v[2:3], s[26:27], s7, v10, v[2:3]
	v_mov_b32_e32 v1, v2
	v_lshl_add_u64 v[0:1], v[0:1], 3, s[4:5]
	global_load_dwordx2 v[2:3], v[0:1], off
	s_waitcnt vmcnt(0)
	v_mul_f64 v[2:3], v[4:5], v[2:3]
	global_store_dwordx2 v[0:1], v[2:3], off
.LBB102_8:
	s_or_b64 exec, exec, s[24:25]
                                        ; implicit-def: $vgpr11
                                        ; implicit-def: $vgpr10
                                        ; implicit-def: $vgpr2_vgpr3
                                        ; implicit-def: $vgpr4_vgpr5
.LBB102_9:
	s_andn2_saveexec_b64 s[0:1], s[0:1]
	s_cbranch_execz .LBB102_33
; %bb.10:
	v_cmp_eq_u32_e32 vcc, 0, v11
	v_mov_b64_e32 v[0:1], 0
	s_and_saveexec_b64 s[24:25], vcc
	s_cbranch_execz .LBB102_14
; %bb.11:
	v_mov_b64_e32 v[0:1], 0
	v_cmp_neq_f64_e64 s[0:1], 0, v[4:5]
	s_and_saveexec_b64 s[26:27], s[0:1]
	s_cbranch_execz .LBB102_13
; %bb.12:
	v_mad_u64_u32 v[0:1], s[0:1], s6, v10, 0
	v_mov_b32_e32 v6, v1
	v_mad_u64_u32 v[6:7], s[0:1], s7, v10, v[6:7]
	v_mov_b32_e32 v1, v6
	v_lshl_add_u64 v[0:1], v[0:1], 3, s[4:5]
	global_load_dwordx2 v[0:1], v[0:1], off
	s_waitcnt vmcnt(0)
	v_mul_f64 v[0:1], v[4:5], v[0:1]
.LBB102_13:
	s_or_b64 exec, exec, s[26:27]
	s_mul_i32 s0, s23, s3
	s_mul_hi_u32 s1, s22, s3
	s_add_i32 s1, s1, s0
	s_mul_i32 s0, s22, s3
	s_lshl_b64 s[0:1], s[0:1], 3
	s_add_u32 s16, s16, s0
	s_addc_u32 s17, s17, s1
	s_lshl_b64 s[0:1], s[18:19], 3
	s_add_u32 s16, s16, s0
	s_addc_u32 s17, s17, s1
	s_mul_i32 s0, s20, s28
	s_mul_hi_u32 s1, s20, s2
	s_add_i32 s0, s1, s0
	s_mul_i32 s1, s21, s2
	s_add_i32 s1, s0, s1
	s_mul_i32 s0, s20, s2
	s_lshl_b64 s[0:1], s[0:1], 3
	s_add_u32 s0, s16, s0
	s_addc_u32 s1, s17, s1
	v_mad_u64_u32 v[6:7], s[16:17], s20, v10, 0
	v_mov_b32_e32 v8, v7
	v_mad_u64_u32 v[8:9], s[16:17], s21, v10, v[8:9]
	v_mov_b32_e32 v7, v8
	v_lshl_add_u64 v[6:7], v[6:7], 3, s[0:1]
	global_load_dwordx2 v[6:7], v[6:7], off
	v_lshlrev_b32_e32 v8, 3, v10
	s_waitcnt vmcnt(0)
	ds_write_b64 v8, v[6:7] offset:10240
.LBB102_14:
	s_or_b64 exec, exec, s[24:25]
	s_mul_i32 s0, s15, s3
	s_mul_hi_u32 s1, s14, s3
	s_add_i32 s1, s1, s0
	s_mul_i32 s0, s14, s3
	s_lshl_b64 s[0:1], s[0:1], 3
	s_add_u32 s3, s8, s0
	s_addc_u32 s8, s9, s1
	s_lshl_b64 s[0:1], s[10:11], 3
	s_add_u32 s3, s3, s0
	s_addc_u32 s8, s8, s1
	s_add_u32 s0, s12, 1
	s_addc_u32 s1, s13, 0
	s_mul_i32 s9, s0, s28
	s_mul_hi_u32 s10, s0, s2
	s_add_i32 s9, s10, s9
	s_mul_i32 s1, s1, s2
	s_add_i32 s1, s9, s1
	s_mul_i32 s0, s0, s2
	s_lshl_b64 s[0:1], s[0:1], 3
	s_add_u32 s0, s3, s0
	v_mad_u64_u32 v[6:7], s[2:3], s12, v11, 0
	v_mov_b32_e32 v8, v7
	v_mad_u64_u32 v[8:9], s[2:3], s13, v11, v[8:9]
	s_addc_u32 s1, s8, s1
	v_mov_b32_e32 v7, v8
	v_lshl_add_u64 v[8:9], v[6:7], 3, s[0:1]
	v_lshlrev_b32_e32 v6, 3, v10
	v_mov_b32_e32 v7, 0
	v_lshl_add_u64 v[12:13], v[8:9], 0, v[6:7]
	s_lshl_b64 s[2:3], s[12:13], 5
	v_lshl_add_u64 v[14:15], v[12:13], 0, s[2:3]
	v_lshl_add_u64 v[16:17], v[14:15], 0, s[2:3]
	;; [unrolled: 1-line block ×3, first 2 shown]
	global_load_dwordx2 v[18:19], v[12:13], off
	global_load_dwordx2 v[20:21], v[14:15], off
	;; [unrolled: 1-line block ×4, first 2 shown]
	v_lshlrev_b32_e32 v12, 8, v11
	v_add_u32_e32 v7, v6, v12
	v_add_u32_e32 v13, 0x400, v12
	v_add_u32_e32 v14, 0x800, v12
	v_add_u32_e32 v12, 0xc00, v12
	v_add_u32_e32 v13, v6, v13
	v_add_u32_e32 v14, v6, v14
	v_add_u32_e32 v12, v6, v12
	v_cmp_lt_u32_e64 s[0:1], 15, v10
	s_waitcnt vmcnt(3)
	ds_write_b64 v7, v[18:19]
	s_waitcnt vmcnt(2)
	ds_write_b64 v13, v[20:21]
	;; [unrolled: 2-line block ×4, first 2 shown]
	s_and_saveexec_b64 s[8:9], s[0:1]
	s_cbranch_execz .LBB102_16
; %bb.15:
	s_lshl_b64 s[0:1], s[12:13], 2
	v_lshl_add_u64 v[8:9], v[8:9], 0, s[2:3]
	v_lshl_add_u64 v[16:17], s[0:1], 3, v[8:9]
	global_load_dwordx2 v[18:19], v[8:9], off
	global_load_dwordx2 v[20:21], v[16:17], off
	v_lshl_add_u64 v[8:9], v[16:17], 0, s[2:3]
	global_load_dwordx2 v[16:17], v[8:9], off
	v_lshl_add_u64 v[8:9], v[8:9], 0, s[2:3]
	global_load_dwordx2 v[8:9], v[8:9], off
	s_waitcnt vmcnt(2)
	ds_write2st64_b64 v7, v[18:19], v[20:21] offset0:8 offset1:10
	s_waitcnt vmcnt(0)
	ds_write2st64_b64 v7, v[16:17], v[8:9] offset0:12 offset1:14
.LBB102_16:
	s_or_b64 exec, exec, s[8:9]
	v_cmp_ge_u32_e64 s[0:1], v10, v11
	v_lshlrev_b32_e32 v15, 8, v10
	s_waitcnt lgkmcnt(0)
	s_barrier
	s_and_saveexec_b64 s[2:3], s[0:1]
	s_xor_b64 s[0:1], exec, s[2:3]
; %bb.17:
	v_lshlrev_b32_e32 v15, 8, v10
; %bb.18:
	s_or_saveexec_b64 s[0:1], s[0:1]
	v_lshlrev_b32_e32 v8, 5, v11
	v_lshlrev_b32_e32 v9, 3, v11
	s_xor_b64 exec, exec, s[0:1]
	s_cbranch_execz .LBB102_20
; %bb.19:
	v_mul_u32_u24_e32 v16, 0xf8, v10
	v_add3_u32 v16, v6, v16, v9
	ds_read_b64 v[16:17], v16
	v_lshl_add_u32 v18, v8, 3, v6
	s_waitcnt lgkmcnt(0)
	ds_write_b64 v18, v[16:17]
.LBB102_20:
	s_or_b64 exec, exec, s[0:1]
	v_sub_u32_e32 v16, v10, v11
	v_sub_u32_e32 v17, 0, v16
	v_max_i32_e32 v16, v16, v17
	v_cmp_gt_u32_e64 s[0:1], 4, v16
	v_lshl_add_u32 v15, v11, 3, v15
	s_and_saveexec_b64 s[2:3], s[0:1]
	s_cbranch_execnz .LBB102_34
; %bb.21:
	s_or_b64 exec, exec, s[2:3]
	v_cmp_gt_u32_e64 s[0:1], 8, v16
	s_and_saveexec_b64 s[2:3], s[0:1]
	s_cbranch_execnz .LBB102_35
.LBB102_22:
	s_or_b64 exec, exec, s[2:3]
	v_cmp_gt_u32_e64 s[0:1], 12, v16
	s_and_saveexec_b64 s[2:3], s[0:1]
	s_cbranch_execnz .LBB102_36
.LBB102_23:
	s_or_b64 exec, exec, s[2:3]
	v_cmp_gt_u32_e64 s[0:1], 16, v16
	s_and_saveexec_b64 s[2:3], s[0:1]
	s_cbranch_execnz .LBB102_37
.LBB102_24:
	s_or_b64 exec, exec, s[2:3]
	v_cmp_gt_u32_e64 s[0:1], 20, v16
	s_and_saveexec_b64 s[2:3], s[0:1]
	s_cbranch_execnz .LBB102_38
.LBB102_25:
	s_or_b64 exec, exec, s[2:3]
	v_cmp_gt_u32_e64 s[0:1], 24, v16
	s_and_saveexec_b64 s[2:3], s[0:1]
	s_cbranch_execz .LBB102_27
.LBB102_26:
	ds_read_b64 v[18:19], v15 offset:192
	s_waitcnt lgkmcnt(0)
	ds_write_b64 v7, v[18:19] offset:6144
.LBB102_27:
	s_or_b64 exec, exec, s[2:3]
	v_cmp_lt_u32_e64 s[0:1], 27, v16
	v_add_u32_e32 v16, 28, v11
                                        ; implicit-def: $vgpr17
	s_and_saveexec_b64 s[2:3], s[0:1]
	s_xor_b64 s[0:1], exec, s[2:3]
; %bb.28:
	v_add_u32_e32 v16, 28, v11
	v_lshlrev_b32_e32 v17, 8, v16
                                        ; implicit-def: $vgpr15
; %bb.29:
	s_andn2_saveexec_b64 s[0:1], s[0:1]
	s_cbranch_execz .LBB102_31
; %bb.30:
	ds_read_b64 v[18:19], v15 offset:224
	v_lshlrev_b32_e32 v17, 8, v16
	v_add_u32_e32 v15, v6, v17
	s_waitcnt lgkmcnt(0)
	ds_write_b64 v15, v[18:19]
.LBB102_31:
	s_or_b64 exec, exec, s[0:1]
	v_add_u32_e32 v32, 0x2800, v9
	s_waitcnt lgkmcnt(0)
	s_barrier
	ds_read2_b64 v[18:21], v32 offset1:4
	ds_read2_b64 v[22:25], v32 offset0:8 offset1:12
	ds_read_b64 v[26:27], v7
	ds_read_b64 v[28:29], v13
	;; [unrolled: 1-line block ×4, first 2 shown]
	v_lshl_add_u32 v7, v11, 8, v6
	s_waitcnt lgkmcnt(3)
	v_fma_f64 v[26:27], v[26:27], v[18:19], 0
	s_waitcnt lgkmcnt(2)
	v_fmac_f64_e32 v[26:27], v[28:29], v[20:21]
	s_waitcnt lgkmcnt(1)
	v_fmac_f64_e32 v[26:27], v[14:15], v[22:23]
	ds_read2st64_b64 v[12:15], v7 offset0:8 offset1:10
	ds_read2_b64 v[18:21], v32 offset0:16 offset1:20
	v_lshlrev_b32_e32 v32, 3, v16
	v_add_u32_e32 v11, v6, v17
	ds_read_b64 v[16:17], v7 offset:6144
	ds_read_b64 v[22:23], v9 offset:10432
	ds_read_b64 v[28:29], v11
	ds_read_b64 v[32:33], v32 offset:10240
	s_waitcnt lgkmcnt(6)
	v_fmac_f64_e32 v[26:27], v[30:31], v[24:25]
	s_waitcnt lgkmcnt(4)
	v_fmac_f64_e32 v[26:27], v[12:13], v[18:19]
	v_fmac_f64_e32 v[26:27], v[14:15], v[20:21]
	s_waitcnt lgkmcnt(2)
	v_fmac_f64_e32 v[26:27], v[16:17], v[22:23]
	s_waitcnt lgkmcnt(0)
	v_fmac_f64_e32 v[26:27], v[28:29], v[32:33]
	v_add_lshl_u32 v7, v8, v10, 3
	ds_write_b64 v7, v[26:27] offset:8192
	s_waitcnt lgkmcnt(0)
	s_barrier
	s_and_saveexec_b64 s[0:1], vcc
	s_cbranch_execz .LBB102_33
; %bb.32:
	v_add_u32_e32 v11, 0x2000, v6
	ds_read2_b64 v[6:9], v11 offset1:32
	ds_read2_b64 v[12:15], v11 offset0:64 offset1:96
	v_cmp_neq_f64_e32 vcc, 0, v[4:5]
	s_waitcnt lgkmcnt(1)
	v_add_f64 v[6:7], v[6:7], 0
	v_add_f64 v[6:7], v[6:7], v[8:9]
	s_waitcnt lgkmcnt(0)
	v_add_f64 v[6:7], v[6:7], v[12:13]
	v_add_f64 v[6:7], v[6:7], v[14:15]
	v_mul_f64 v[8:9], v[2:3], v[6:7]
	v_fmac_f64_e32 v[0:1], v[2:3], v[6:7]
	v_mad_u64_u32 v[2:3], s[0:1], s6, v10, 0
	v_mov_b32_e32 v4, v3
	v_mad_u64_u32 v[4:5], s[0:1], s7, v10, v[4:5]
	v_mov_b32_e32 v3, v4
	v_cndmask_b32_e32 v1, v9, v1, vcc
	v_cndmask_b32_e32 v0, v8, v0, vcc
	v_lshl_add_u64 v[2:3], v[2:3], 3, s[4:5]
	global_store_dwordx2 v[2:3], v[0:1], off
.LBB102_33:
	s_endpgm
.LBB102_34:
	ds_read_b64 v[18:19], v15 offset:32
	s_waitcnt lgkmcnt(0)
	ds_write_b64 v13, v[18:19]
	s_or_b64 exec, exec, s[2:3]
	v_cmp_gt_u32_e64 s[0:1], 8, v16
	s_and_saveexec_b64 s[2:3], s[0:1]
	s_cbranch_execz .LBB102_22
.LBB102_35:
	ds_read_b64 v[18:19], v15 offset:64
	s_waitcnt lgkmcnt(0)
	ds_write_b64 v14, v[18:19]
	s_or_b64 exec, exec, s[2:3]
	v_cmp_gt_u32_e64 s[0:1], 12, v16
	s_and_saveexec_b64 s[2:3], s[0:1]
	s_cbranch_execz .LBB102_23
.LBB102_36:
	ds_read_b64 v[18:19], v15 offset:96
	s_waitcnt lgkmcnt(0)
	ds_write_b64 v12, v[18:19]
	s_or_b64 exec, exec, s[2:3]
	v_cmp_gt_u32_e64 s[0:1], 16, v16
	s_and_saveexec_b64 s[2:3], s[0:1]
	s_cbranch_execz .LBB102_24
.LBB102_37:
	ds_read_b64 v[18:19], v15 offset:128
	s_waitcnt lgkmcnt(0)
	ds_write_b64 v7, v[18:19] offset:4096
	s_or_b64 exec, exec, s[2:3]
	v_cmp_gt_u32_e64 s[0:1], 20, v16
	s_and_saveexec_b64 s[2:3], s[0:1]
	s_cbranch_execz .LBB102_25
.LBB102_38:
	ds_read_b64 v[18:19], v15 offset:160
	s_waitcnt lgkmcnt(0)
	ds_write_b64 v7, v[18:19] offset:5120
	s_or_b64 exec, exec, s[2:3]
	v_cmp_gt_u32_e64 s[0:1], 24, v16
	s_and_saveexec_b64 s[2:3], s[0:1]
	s_cbranch_execnz .LBB102_26
	s_branch .LBB102_27
	.section	.rodata,"a",@progbits
	.p2align	6, 0x0
	.amdhsa_kernel _ZL50rocblas_symv_kernel_lower_double_buffered_diagonalILi32ELi4E24rocblas_internal_val_ptrIdEPKdPdEvbiT1_lT2_lllS6_lllS5_lT3_llli
		.amdhsa_group_segment_fixed_size 10496
		.amdhsa_private_segment_fixed_size 0
		.amdhsa_kernarg_size 140
		.amdhsa_user_sgpr_count 2
		.amdhsa_user_sgpr_dispatch_ptr 0
		.amdhsa_user_sgpr_queue_ptr 0
		.amdhsa_user_sgpr_kernarg_segment_ptr 1
		.amdhsa_user_sgpr_dispatch_id 0
		.amdhsa_user_sgpr_kernarg_preload_length 0
		.amdhsa_user_sgpr_kernarg_preload_offset 0
		.amdhsa_user_sgpr_private_segment_size 0
		.amdhsa_uses_dynamic_stack 0
		.amdhsa_enable_private_segment 0
		.amdhsa_system_sgpr_workgroup_id_x 1
		.amdhsa_system_sgpr_workgroup_id_y 0
		.amdhsa_system_sgpr_workgroup_id_z 1
		.amdhsa_system_sgpr_workgroup_info 0
		.amdhsa_system_vgpr_workitem_id 1
		.amdhsa_next_free_vgpr 34
		.amdhsa_next_free_sgpr 32
		.amdhsa_accum_offset 36
		.amdhsa_reserve_vcc 1
		.amdhsa_float_round_mode_32 0
		.amdhsa_float_round_mode_16_64 0
		.amdhsa_float_denorm_mode_32 3
		.amdhsa_float_denorm_mode_16_64 3
		.amdhsa_dx10_clamp 1
		.amdhsa_ieee_mode 1
		.amdhsa_fp16_overflow 0
		.amdhsa_tg_split 0
		.amdhsa_exception_fp_ieee_invalid_op 0
		.amdhsa_exception_fp_denorm_src 0
		.amdhsa_exception_fp_ieee_div_zero 0
		.amdhsa_exception_fp_ieee_overflow 0
		.amdhsa_exception_fp_ieee_underflow 0
		.amdhsa_exception_fp_ieee_inexact 0
		.amdhsa_exception_int_div_zero 0
	.end_amdhsa_kernel
	.section	.text._ZL50rocblas_symv_kernel_lower_double_buffered_diagonalILi32ELi4E24rocblas_internal_val_ptrIdEPKdPdEvbiT1_lT2_lllS6_lllS5_lT3_llli,"axG",@progbits,_ZL50rocblas_symv_kernel_lower_double_buffered_diagonalILi32ELi4E24rocblas_internal_val_ptrIdEPKdPdEvbiT1_lT2_lllS6_lllS5_lT3_llli,comdat
.Lfunc_end102:
	.size	_ZL50rocblas_symv_kernel_lower_double_buffered_diagonalILi32ELi4E24rocblas_internal_val_ptrIdEPKdPdEvbiT1_lT2_lllS6_lllS5_lT3_llli, .Lfunc_end102-_ZL50rocblas_symv_kernel_lower_double_buffered_diagonalILi32ELi4E24rocblas_internal_val_ptrIdEPKdPdEvbiT1_lT2_lllS6_lllS5_lT3_llli
                                        ; -- End function
	.set _ZL50rocblas_symv_kernel_lower_double_buffered_diagonalILi32ELi4E24rocblas_internal_val_ptrIdEPKdPdEvbiT1_lT2_lllS6_lllS5_lT3_llli.num_vgpr, 34
	.set _ZL50rocblas_symv_kernel_lower_double_buffered_diagonalILi32ELi4E24rocblas_internal_val_ptrIdEPKdPdEvbiT1_lT2_lllS6_lllS5_lT3_llli.num_agpr, 0
	.set _ZL50rocblas_symv_kernel_lower_double_buffered_diagonalILi32ELi4E24rocblas_internal_val_ptrIdEPKdPdEvbiT1_lT2_lllS6_lllS5_lT3_llli.numbered_sgpr, 32
	.set _ZL50rocblas_symv_kernel_lower_double_buffered_diagonalILi32ELi4E24rocblas_internal_val_ptrIdEPKdPdEvbiT1_lT2_lllS6_lllS5_lT3_llli.num_named_barrier, 0
	.set _ZL50rocblas_symv_kernel_lower_double_buffered_diagonalILi32ELi4E24rocblas_internal_val_ptrIdEPKdPdEvbiT1_lT2_lllS6_lllS5_lT3_llli.private_seg_size, 0
	.set _ZL50rocblas_symv_kernel_lower_double_buffered_diagonalILi32ELi4E24rocblas_internal_val_ptrIdEPKdPdEvbiT1_lT2_lllS6_lllS5_lT3_llli.uses_vcc, 1
	.set _ZL50rocblas_symv_kernel_lower_double_buffered_diagonalILi32ELi4E24rocblas_internal_val_ptrIdEPKdPdEvbiT1_lT2_lllS6_lllS5_lT3_llli.uses_flat_scratch, 0
	.set _ZL50rocblas_symv_kernel_lower_double_buffered_diagonalILi32ELi4E24rocblas_internal_val_ptrIdEPKdPdEvbiT1_lT2_lllS6_lllS5_lT3_llli.has_dyn_sized_stack, 0
	.set _ZL50rocblas_symv_kernel_lower_double_buffered_diagonalILi32ELi4E24rocblas_internal_val_ptrIdEPKdPdEvbiT1_lT2_lllS6_lllS5_lT3_llli.has_recursion, 0
	.set _ZL50rocblas_symv_kernel_lower_double_buffered_diagonalILi32ELi4E24rocblas_internal_val_ptrIdEPKdPdEvbiT1_lT2_lllS6_lllS5_lT3_llli.has_indirect_call, 0
	.section	.AMDGPU.csdata,"",@progbits
; Kernel info:
; codeLenInByte = 1920
; TotalNumSgprs: 38
; NumVgprs: 34
; NumAgprs: 0
; TotalNumVgprs: 34
; ScratchSize: 0
; MemoryBound: 0
; FloatMode: 240
; IeeeMode: 1
; LDSByteSize: 10496 bytes/workgroup (compile time only)
; SGPRBlocks: 4
; VGPRBlocks: 4
; NumSGPRsForWavesPerEU: 38
; NumVGPRsForWavesPerEU: 34
; AccumOffset: 36
; Occupancy: 8
; WaveLimiterHint : 0
; COMPUTE_PGM_RSRC2:SCRATCH_EN: 0
; COMPUTE_PGM_RSRC2:USER_SGPR: 2
; COMPUTE_PGM_RSRC2:TRAP_HANDLER: 0
; COMPUTE_PGM_RSRC2:TGID_X_EN: 1
; COMPUTE_PGM_RSRC2:TGID_Y_EN: 0
; COMPUTE_PGM_RSRC2:TGID_Z_EN: 1
; COMPUTE_PGM_RSRC2:TIDIG_COMP_CNT: 1
; COMPUTE_PGM_RSRC3_GFX90A:ACCUM_OFFSET: 8
; COMPUTE_PGM_RSRC3_GFX90A:TG_SPLIT: 0
	.section	.text._ZL54rocblas_symv_kernel_lower_double_buffered_non_diagonalILi32ELi4ELi4E24rocblas_internal_val_ptrIdEPKdPdEvbiT2_lT3_lllS6_lllT4_llli,"axG",@progbits,_ZL54rocblas_symv_kernel_lower_double_buffered_non_diagonalILi32ELi4ELi4E24rocblas_internal_val_ptrIdEPKdPdEvbiT2_lT3_lllS6_lllT4_llli,comdat
	.globl	_ZL54rocblas_symv_kernel_lower_double_buffered_non_diagonalILi32ELi4ELi4E24rocblas_internal_val_ptrIdEPKdPdEvbiT2_lT3_lllS6_lllT4_llli ; -- Begin function _ZL54rocblas_symv_kernel_lower_double_buffered_non_diagonalILi32ELi4ELi4E24rocblas_internal_val_ptrIdEPKdPdEvbiT2_lT3_lllS6_lllT4_llli
	.p2align	8
	.type	_ZL54rocblas_symv_kernel_lower_double_buffered_non_diagonalILi32ELi4ELi4E24rocblas_internal_val_ptrIdEPKdPdEvbiT2_lT3_lllS6_lllT4_llli,@function
_ZL54rocblas_symv_kernel_lower_double_buffered_non_diagonalILi32ELi4ELi4E24rocblas_internal_val_ptrIdEPKdPdEvbiT2_lT3_lllS6_lllT4_llli: ; @_ZL54rocblas_symv_kernel_lower_double_buffered_non_diagonalILi32ELi4ELi4E24rocblas_internal_val_ptrIdEPKdPdEvbiT2_lT3_lllS6_lllT4_llli
; %bb.0:
	s_load_dword s5, s[0:1], 0x0
	s_load_dwordx16 s[8:23], s[0:1], 0x8
	s_waitcnt lgkmcnt(0)
	s_bitcmp1_b32 s5, 0
	s_cselect_b64 s[6:7], -1, 0
	s_and_b64 vcc, exec, s[6:7]
	v_mov_b64_e32 v[2:3], s[8:9]
	s_cbranch_vccnz .LBB103_2
; %bb.1:
	s_mul_i32 s5, s11, s4
	s_mul_hi_u32 s6, s10, s4
	s_add_i32 s7, s6, s5
	s_mul_i32 s6, s10, s4
	s_lshl_b64 s[6:7], s[6:7], 3
	s_add_u32 s6, s8, s6
	s_addc_u32 s7, s9, s7
	v_mov_b64_e32 v[2:3], s[6:7]
	flat_load_dwordx2 v[2:3], v[2:3]
.LBB103_2:
	s_waitcnt vmcnt(0) lgkmcnt(0)
	v_cmp_neq_f64_e32 vcc, 0, v[2:3]
	s_and_saveexec_b64 s[6:7], vcc
	s_cbranch_execz .LBB103_24
; %bb.3:
	s_load_dwordx2 s[8:9], s[0:1], 0x80
	s_waitcnt lgkmcnt(0)
	v_cvt_f32_u32_e32 v1, s9
	s_add_i32 s5, s8, -1
	s_cmp_eq_u32 s2, s5
	v_rcp_iflag_f32_e32 v1, v1
	s_nop 0
	v_mul_f32_e32 v1, 0x4f7ffffe, v1
	v_cvt_u32_f32_e32 v1, v1
	s_nop 0
	v_readfirstlane_b32 s6, v1
	s_cbranch_scc1 .LBB103_24
; %bb.4:
	s_load_dwordx4 s[24:27], s[0:1], 0x48
	s_sub_i32 s7, 0, s9
	s_mul_i32 s7, s7, s6
	s_not_b32 s5, s2
	s_mul_hi_u32 s7, s6, s7
	s_add_i32 s5, s8, s5
	s_add_i32 s6, s6, s7
	s_mul_hi_u32 s8, s5, s6
	s_waitcnt lgkmcnt(0)
	s_mul_i32 s6, s27, s4
	s_mul_hi_u32 s7, s26, s4
	s_add_i32 s27, s7, s6
	s_mul_i32 s26, s26, s4
	s_lshl_b64 s[6:7], s[26:27], 3
	s_add_u32 s10, s20, s6
	s_addc_u32 s11, s21, s7
	s_lshl_b64 s[6:7], s[22:23], 3
	s_add_u32 s6, s10, s6
	s_addc_u32 s7, s11, s7
	s_lshl_b32 s28, s2, 5
	s_ashr_i32 s29, s28, 31
	s_mul_i32 s2, s24, s29
	s_mul_hi_u32 s10, s24, s28
	s_add_i32 s2, s10, s2
	s_mul_i32 s10, s25, s28
	s_add_i32 s11, s2, s10
	s_mul_i32 s10, s24, s28
	s_lshl_b64 s[10:11], s[10:11], 3
	v_and_b32_e32 v58, 0x3ff, v0
	v_bfe_u32 v0, v0, 10, 10
	s_add_u32 s30, s6, s10
	s_addc_u32 s31, s7, s11
	v_cmp_eq_u32_e32 vcc, 0, v0
	s_and_saveexec_b64 s[10:11], vcc
	s_cbranch_execz .LBB103_6
; %bb.5:
	v_mad_u64_u32 v[4:5], s[34:35], s24, v58, 0
	v_mov_b32_e32 v6, v5
	v_mad_u64_u32 v[6:7], s[34:35], s25, v58, v[6:7]
	v_mov_b32_e32 v5, v6
	v_lshl_add_u64 v[4:5], v[4:5], 3, s[30:31]
	global_load_dwordx2 v[4:5], v[4:5], off
	v_lshlrev_b32_e32 v1, 3, v58
	s_waitcnt vmcnt(0)
	ds_write_b64 v1, v[4:5] offset:6144
.LBB103_6:
	s_or_b64 exec, exec, s[10:11]
	s_mul_i32 s2, s8, s9
	s_sub_i32 s2, s5, s2
	s_add_i32 s10, s8, 1
	s_sub_i32 s11, s2, s9
	s_cmp_ge_u32 s2, s9
	s_cselect_b32 s8, s10, s8
	s_cselect_b32 s2, s11, s2
	s_add_i32 s10, s8, 1
	s_cmp_ge_u32 s2, s9
	s_cselect_b32 s2, s10, s8
	s_add_i32 s8, s9, -1
	s_cmp_lg_u32 s3, s8
	s_mov_b32 s33, s2
	s_cbranch_scc1 .LBB103_8
; %bb.7:
	s_mul_i32 s8, s2, s9
	s_sub_i32 s5, s5, s8
	s_add_i32 s33, s5, s2
.LBB103_8:
	s_cmp_eq_u32 s33, 0
	s_cbranch_scc1 .LBB103_24
; %bb.9:
	s_load_dwordx2 s[34:35], s[0:1], 0x70
	s_load_dwordx2 s[36:37], s[0:1], 0x58
	s_load_dwordx4 s[8:11], s[0:1], 0x60
	v_lshl_add_u32 v1, v0, 5, v58
	v_and_b32_e32 v0, 15, v58
	s_waitcnt lgkmcnt(0)
	s_mul_i32 s1, s35, s4
	s_mul_hi_u32 s5, s34, s4
	s_mul_i32 s0, s34, s4
	s_add_i32 s1, s5, s1
	s_lshl_b64 s[0:1], s[0:1], 3
	s_add_u32 s5, s36, s0
	s_addc_u32 s34, s37, s1
	s_lshl_b64 s[0:1], s[8:9], 3
	s_add_u32 s5, s5, s0
	s_addc_u32 s8, s34, s1
	s_mul_i32 s0, s10, s29
	s_mul_hi_u32 s1, s10, s28
	s_add_i32 s0, s1, s0
	s_mul_i32 s1, s11, s28
	s_add_i32 s1, s0, s1
	s_mul_i32 s0, s10, s28
	s_lshl_b64 s[0:1], s[0:1], 3
	s_add_u32 s0, s5, s0
	s_addc_u32 s1, s8, s1
	v_lshrrev_b32_e32 v59, 4, v1
	s_cmp_lt_i32 s33, 1
	s_barrier
	s_cbranch_scc1 .LBB103_16
; %bb.10:
	s_mul_i32 s3, s3, s2
	s_mul_i32 s5, s19, s4
	s_mul_hi_u32 s8, s18, s4
	s_lshl_b32 s2, s3, 5
	s_add_i32 s5, s8, s5
	s_mul_i32 s4, s18, s4
	s_ashr_i32 s3, s2, 31
	s_lshl_b64 s[18:19], s[4:5], 3
	s_add_u32 s4, s12, s18
	s_addc_u32 s5, s13, s19
	s_lshl_b64 s[34:35], s[14:15], 3
	s_add_u32 s8, s4, s34
	s_addc_u32 s9, s5, s35
	s_add_u32 s4, s16, 1
	s_addc_u32 s5, s17, 0
	s_mul_i32 s14, s4, s29
	s_mul_hi_u32 s15, s4, s28
	s_add_i32 s14, s15, s14
	s_mul_i32 s5, s5, s28
	s_add_i32 s5, s14, s5
	s_mul_i32 s4, s4, s28
	s_lshl_b64 s[38:39], s[4:5], 3
	s_add_u32 s4, s8, s38
	s_addc_u32 s5, s9, s39
	s_lshl_b64 s[36:37], s[2:3], 3
	s_add_u32 s14, s4, s36
	v_lshlrev_b32_e32 v5, 2, v59
	v_mov_b32_e32 v1, 0
	s_addc_u32 s15, s5, s37
	v_mad_u64_u32 v[14:15], s[4:5], s16, v5, v[0:1]
	v_mov_b32_e32 v4, v15
	v_mad_u64_u32 v[4:5], s[4:5], s17, v5, v[4:5]
	v_mov_b32_e32 v15, v4
	v_lshl_add_u64 v[4:5], v[14:15], 3, s[14:15]
	s_lshl_b64 s[4:5], s[16:17], 3
	v_lshl_add_u64 v[16:17], v[4:5], 0, s[4:5]
	v_lshl_add_u64 v[18:19], v[16:17], 0, s[4:5]
	;; [unrolled: 1-line block ×3, first 2 shown]
	global_load_dwordx2 v[12:13], v[4:5], off offset:256
	global_load_dwordx2 v[10:11], v[16:17], off offset:256
	global_load_dwordx2 v[8:9], v[18:19], off offset:256
	global_load_dwordx2 v[6:7], v[20:21], off offset:256
	s_mul_i32 s40, s10, s3
	s_mul_hi_u32 s41, s10, s2
	s_add_i32 s40, s41, s40
	s_mul_i32 s41, s11, s2
	s_add_i32 s41, s40, s41
	s_mul_i32 s40, s10, s2
	s_lshl_b64 s[8:9], s[24:25], 8
	s_lshl_b64 s[40:41], s[40:41], 3
	s_add_u32 s40, s0, s40
	s_mul_i32 s3, s24, s3
	s_mul_hi_u32 s42, s24, s2
	s_addc_u32 s41, s1, s41
	s_add_i32 s3, s42, s3
	s_mul_i32 s42, s25, s2
	s_add_i32 s3, s3, s42
	s_mul_i32 s2, s24, s2
	v_mov_b32_e32 v4, 0x1000
	v_mov_b32_e32 v5, 0x1800
	s_lshl_b64 s[2:3], s[2:3], 3
	v_lshl_or_b32 v61, v0, 3, v4
	v_lshl_add_u32 v63, v59, 5, v5
	v_lshl_add_u32 v60, v58, 3, v4
	v_mad_u64_u32 v[4:5], s[42:43], s10, v58, 0
	s_add_u32 s30, s30, s2
	v_mov_b32_e32 v16, v5
	s_addc_u32 s31, s31, s3
	s_lshl_b64 s[2:3], s[10:11], 8
	v_mad_u64_u32 v[16:17], s[42:43], s11, v58, v[16:17]
	v_lshlrev_b32_e32 v62, 8, v59
	v_mov_b32_e32 v5, v16
	s_cmp_eq_u32 s33, 1
	s_cbranch_scc1 .LBB103_17
; %bb.11:
	s_lshl_b64 s[14:15], s[28:29], 3
	s_add_u32 s14, s36, s14
	s_addc_u32 s15, s37, s15
	s_mul_i32 s28, s24, s15
	s_mul_hi_u32 s29, s24, s14
	s_add_i32 s28, s29, s28
	s_mul_i32 s29, s25, s14
	v_lshlrev_b32_e32 v16, 3, v0
	v_mov_b32_e32 v17, v1
	s_add_i32 s28, s28, s29
	s_mul_i32 s29, s24, s14
	v_lshl_add_u64 v[18:19], s[14:15], 0, v[16:17]
	s_mov_b64 s[14:15], 0x100
	s_add_u32 s22, s22, s26
	v_lshl_add_u64 v[20:21], v[18:19], 0, s[14:15]
	s_addc_u32 s23, s23, s27
	v_mad_u64_u32 v[26:27], s[14:15], s24, v20, 0
	s_lshl_b64 s[22:23], s[22:23], 3
	s_mov_b64 s[14:15], 0x180
	s_add_u32 s20, s20, s22
	v_lshl_add_u64 v[18:19], v[18:19], 0, s[14:15]
	s_addc_u32 s21, s21, s23
	v_mad_u64_u32 v[28:29], s[14:15], s24, v18, 0
	s_add_i32 s22, s33, -1
	s_add_u32 s14, s38, s18
	s_addc_u32 s15, s39, s19
	s_add_u32 s14, s14, s34
	s_addc_u32 s15, s15, s35
	s_add_u32 s14, s14, s36
	v_mul_lo_u32 v1, s25, v20
	v_mul_lo_u32 v21, s24, v21
	s_addc_u32 s15, s15, s37
	v_add3_u32 v27, v27, v21, v1
	v_mul_lo_u32 v1, s25, v18
	v_mul_lo_u32 v19, s24, v19
	s_add_u32 s14, s12, s14
	v_add3_u32 v29, v29, v19, v1
	s_addc_u32 s15, s13, s15
	v_mad_u64_u32 v[18:19], s[12:13], s16, v59, 0
	v_mov_b32_e32 v20, v19
	v_mad_u64_u32 v[20:21], s[12:13], s17, v59, v[20:21]
	v_mov_b32_e32 v19, v20
	v_lshlrev_b64 v[18:19], 5, v[18:19]
	v_lshlrev_b32_e32 v1, 5, v59
	v_lshl_add_u64 v[30:31], v[18:19], 0, v[16:17]
	v_or_b32_e32 v19, 16, v1
	v_mad_u64_u32 v[32:33], s[12:13], s16, v19, v[16:17]
	v_mov_b32_e32 v18, v33
	v_mad_u64_u32 v[18:19], s[12:13], s17, v19, v[18:19]
	v_or_b32_e32 v19, 24, v1
	v_or_b32_e32 v1, 8, v1
	v_mad_u64_u32 v[34:35], s[12:13], s16, v19, v[16:17]
	v_mad_u64_u32 v[36:37], s[12:13], s16, v1, v[16:17]
	v_mov_b32_e32 v33, v18
	v_mov_b32_e32 v18, v35
	;; [unrolled: 1-line block ×3, first 2 shown]
	v_mad_u64_u32 v[18:19], s[12:13], s17, v19, v[18:19]
	v_mad_u64_u32 v[16:17], s[12:13], s17, v1, v[16:17]
	v_mov_b32_e32 v35, v18
	v_mov_b32_e32 v37, v16
	v_mov_b64_e32 v[18:19], 0
	v_mov_b64_e32 v[24:25], s[40:41]
	;; [unrolled: 1-line block ×5, first 2 shown]
.LBB103_12:                             ; =>This Inner Loop Header: Depth=1
	v_lshl_add_u64 v[68:69], s[14:15], 0, v[30:31]
	v_lshl_add_u64 v[70:71], s[14:15], 0, v[36:37]
	global_load_dwordx2 v[52:53], v[68:69], off offset:384
	global_load_dwordx2 v[50:51], v[70:71], off offset:384
	v_lshl_add_u64 v[72:73], s[14:15], 0, v[32:33]
	v_lshl_add_u64 v[64:65], s[6:7], 0, v[26:27]
	;; [unrolled: 1-line block ×4, first 2 shown]
	global_load_dwordx2 v[54:55], v[72:73], off offset:384
	global_load_dwordx2 v[38:39], v[74:75], off offset:384
	global_load_dwordx2 v[56:57], v[64:65], off
	global_load_dwordx2 v[40:41], v[66:67], off
	global_load_dwordx2 v[42:43], v[70:71], off offset:512
	global_load_dwordx2 v[44:45], v[68:69], off offset:512
	;; [unrolled: 1-line block ×4, first 2 shown]
	ds_read_b128 v[64:67], v63
	ds_read_b128 v[68:71], v63 offset:16
	v_add_u32_e32 v1, v61, v62
	s_waitcnt lgkmcnt(0)
	s_barrier
	s_waitcnt vmcnt(13)
	v_fma_f64 v[72:73], v[12:13], v[64:65], 0
	s_waitcnt vmcnt(12)
	v_fmac_f64_e32 v[72:73], v[10:11], v[66:67]
	s_waitcnt vmcnt(11)
	v_fmac_f64_e32 v[72:73], v[8:9], v[68:69]
	;; [unrolled: 2-line block ×3, first 2 shown]
	s_waitcnt vmcnt(9)
	v_fma_f64 v[64:65], v[52:53], v[64:65], 0
	s_waitcnt vmcnt(8)
	v_fmac_f64_e32 v[64:65], v[50:51], v[66:67]
	s_waitcnt vmcnt(7)
	v_fmac_f64_e32 v[64:65], v[54:55], v[68:69]
	;; [unrolled: 2-line block ×3, first 2 shown]
	ds_write2_b64 v1, v[72:73], v[64:65] offset1:16
	s_waitcnt lgkmcnt(0)
	s_barrier
	s_and_saveexec_b64 s[12:13], vcc
	s_cbranch_execz .LBB103_14
; %bb.13:                               ;   in Loop: Header=BB103_12 Depth=1
	ds_read2_b64 v[64:67], v60 offset1:32
	v_lshl_add_u64 v[24:25], v[24:25], 0, s[2:3]
	s_waitcnt lgkmcnt(0)
	v_add_f64 v[64:65], v[64:65], 0
	v_add_f64 v[68:69], v[64:65], v[66:67]
	ds_read2_b64 v[64:67], v60 offset0:64 offset1:96
	s_waitcnt lgkmcnt(0)
	v_add_f64 v[64:65], v[68:69], v[64:65]
	v_add_f64 v[68:69], v[64:65], v[66:67]
	ds_read2_b64 v[64:67], v60 offset0:128 offset1:160
	;; [unrolled: 4-line block ×3, first 2 shown]
	s_waitcnt lgkmcnt(0)
	v_add_f64 v[64:65], v[68:69], v[64:65]
	v_add_f64 v[64:65], v[64:65], v[66:67]
	v_lshl_add_u64 v[66:67], v[4:5], 3, v[24:25]
	v_mul_f64 v[64:65], v[2:3], v[64:65]
	global_atomic_add_f64 v[66:67], v[64:65], off
.LBB103_14:                             ;   in Loop: Header=BB103_12 Depth=1
	s_or_b64 exec, exec, s[12:13]
	s_add_u32 s20, s20, s8
	s_addc_u32 s21, s21, s9
	s_add_u32 s6, s6, s8
	s_addc_u32 s7, s7, s9
	s_add_i32 s22, s22, -1
	s_add_u32 s14, s14, 0x100
	s_addc_u32 s15, s15, 0
	s_add_u32 s30, s20, s29
	s_waitcnt vmcnt(5)
	v_fmac_f64_e32 v[18:19], v[56:57], v[12:13]
	v_fmac_f64_e32 v[22:23], v[56:57], v[10:11]
	;; [unrolled: 1-line block ×4, first 2 shown]
	s_addc_u32 s31, s21, s28
	s_waitcnt vmcnt(4)
	v_fmac_f64_e32 v[18:19], v[40:41], v[52:53]
	v_fmac_f64_e32 v[22:23], v[40:41], v[50:51]
	;; [unrolled: 1-line block ×3, first 2 shown]
	s_cmp_eq_u32 s22, 0
	v_fmac_f64_e32 v[16:17], v[40:41], v[38:39]
	s_cbranch_scc1 .LBB103_18
; %bb.15:                               ;   in Loop: Header=BB103_12 Depth=1
	s_waitcnt vmcnt(2)
	v_mov_b64_e32 v[12:13], v[44:45]
	v_mov_b64_e32 v[10:11], v[42:43]
	s_waitcnt vmcnt(0)
	v_mov_b64_e32 v[8:9], v[48:49]
	v_mov_b64_e32 v[6:7], v[46:47]
	s_branch .LBB103_12
.LBB103_16:
	v_mov_b64_e32 v[16:17], 0
	v_mov_b64_e32 v[20:21], 0
	;; [unrolled: 1-line block ×4, first 2 shown]
	s_branch .LBB103_22
.LBB103_17:
	v_mov_b64_e32 v[24:25], s[40:41]
	v_mov_b64_e32 v[16:17], 0
	;; [unrolled: 1-line block ×5, first 2 shown]
	s_branch .LBB103_19
.LBB103_18:
	s_waitcnt vmcnt(1)
	v_mov_b64_e32 v[6:7], v[46:47]
	s_waitcnt vmcnt(0)
	v_mov_b64_e32 v[8:9], v[48:49]
	v_mov_b64_e32 v[10:11], v[42:43]
	;; [unrolled: 1-line block ×3, first 2 shown]
.LBB103_19:
	v_mad_u64_u32 v[26:27], s[6:7], s24, v0, 0
	v_mov_b32_e32 v28, v27
	v_mad_u64_u32 v[28:29], s[6:7], s25, v0, v[28:29]
	s_add_u32 s6, s30, s8
	v_lshl_add_u64 v[34:35], v[14:15], 3, s[14:15]
	v_mov_b32_e32 v27, v28
	s_addc_u32 s7, s31, s9
	v_lshl_add_u64 v[36:37], s[16:17], 3, v[34:35]
	v_or_b32_e32 v1, 16, v0
	v_lshl_add_u64 v[32:33], v[26:27], 3, s[6:7]
	v_lshl_add_u64 v[38:39], v[36:37], 0, s[4:5]
	v_lshl_add_u64 v[40:41], v[38:39], 0, s[4:5]
	global_load_dwordx2 v[30:31], v[34:35], off offset:384
	global_load_dwordx2 v[28:29], v[36:37], off offset:384
	;; [unrolled: 1-line block ×4, first 2 shown]
	global_load_dwordx2 v[42:43], v[32:33], off
	v_mad_u64_u32 v[32:33], s[4:5], s24, v1, 0
	v_mov_b32_e32 v34, v33
	v_mad_u64_u32 v[34:35], s[4:5], s25, v1, v[34:35]
	v_mov_b32_e32 v33, v34
	v_lshl_add_u64 v[32:33], v[32:33], 3, s[6:7]
	global_load_dwordx2 v[32:33], v[32:33], off
	ds_read_b128 v[34:37], v63
	ds_read_b128 v[38:41], v63 offset:16
	v_add_u32_e32 v1, v61, v62
	s_waitcnt lgkmcnt(0)
	s_barrier
	s_waitcnt vmcnt(9)
	v_fma_f64 v[44:45], v[12:13], v[34:35], 0
	s_waitcnt vmcnt(8)
	v_fmac_f64_e32 v[44:45], v[10:11], v[36:37]
	s_waitcnt vmcnt(7)
	v_fmac_f64_e32 v[44:45], v[8:9], v[38:39]
	;; [unrolled: 2-line block ×3, first 2 shown]
	s_waitcnt vmcnt(5)
	v_fma_f64 v[34:35], v[30:31], v[34:35], 0
	s_waitcnt vmcnt(4)
	v_fmac_f64_e32 v[34:35], v[28:29], v[36:37]
	s_waitcnt vmcnt(3)
	v_fmac_f64_e32 v[34:35], v[26:27], v[38:39]
	;; [unrolled: 2-line block ×4, first 2 shown]
	v_fmac_f64_e32 v[22:23], v[42:43], v[10:11]
	v_fmac_f64_e32 v[20:21], v[42:43], v[8:9]
	;; [unrolled: 1-line block ×3, first 2 shown]
	ds_write2_b64 v1, v[44:45], v[34:35] offset1:16
	s_waitcnt lgkmcnt(0)
	s_barrier
	s_and_saveexec_b64 s[4:5], vcc
	s_cbranch_execz .LBB103_21
; %bb.20:
	ds_read2_b64 v[6:9], v60 offset1:32
	ds_read2_b64 v[10:13], v60 offset0:64 offset1:96
	ds_read2_b64 v[34:37], v60 offset0:128 offset1:160
	;; [unrolled: 1-line block ×3, first 2 shown]
	v_lshl_add_u64 v[24:25], v[24:25], 0, s[2:3]
	s_waitcnt lgkmcnt(3)
	v_add_f64 v[6:7], v[6:7], 0
	v_add_f64 v[6:7], v[6:7], v[8:9]
	s_waitcnt lgkmcnt(2)
	v_add_f64 v[6:7], v[6:7], v[10:11]
	v_add_f64 v[6:7], v[6:7], v[12:13]
	;; [unrolled: 3-line block ×4, first 2 shown]
	v_lshl_add_u64 v[4:5], v[4:5], 3, v[24:25]
	v_mul_f64 v[6:7], v[2:3], v[6:7]
	global_atomic_add_f64 v[4:5], v[6:7], off
.LBB103_21:
	s_or_b64 exec, exec, s[4:5]
	s_waitcnt vmcnt(0)
	v_fmac_f64_e32 v[18:19], v[32:33], v[30:31]
	v_fmac_f64_e32 v[22:23], v[32:33], v[28:29]
	;; [unrolled: 1-line block ×4, first 2 shown]
.LBB103_22:
	v_lshlrev_b32_e32 v1, 9, v59
	v_lshl_or_b32 v1, v0, 3, v1
	ds_write2_b64 v1, v[18:19], v[22:23] offset1:16
	ds_write2_b64 v1, v[20:21], v[16:17] offset0:32 offset1:48
	s_waitcnt lgkmcnt(0)
	s_barrier
	s_and_b64 exec, exec, vcc
	s_cbranch_execz .LBB103_24
; %bb.23:
	v_add_u32_e32 v4, 1, v58
	v_lshlrev_b32_e32 v16, 7, v58
	v_and_b32_e32 v4, 15, v4
	v_lshl_or_b32 v6, v4, 3, v16
	v_add_u32_e32 v4, 2, v58
	v_and_b32_e32 v4, 15, v4
	v_lshl_or_b32 v1, v0, 3, v16
	v_lshl_or_b32 v8, v4, 3, v16
	ds_read_b64 v[4:5], v1
	ds_read_b64 v[6:7], v6
	;; [unrolled: 1-line block ×3, first 2 shown]
	v_add_u32_e32 v1, 3, v58
	v_and_b32_e32 v1, 15, v1
	s_waitcnt lgkmcnt(2)
	v_add_f64 v[4:5], v[4:5], 0
	s_waitcnt lgkmcnt(1)
	v_add_f64 v[4:5], v[4:5], v[6:7]
	v_add_u32_e32 v6, 5, v58
	v_and_b32_e32 v6, 15, v6
	v_lshl_or_b32 v1, v1, 3, v16
	s_waitcnt lgkmcnt(0)
	v_add_f64 v[4:5], v[4:5], v[8:9]
	v_lshl_or_b32 v8, v6, 3, v16
	v_add_u32_e32 v6, 6, v58
	ds_read_b64 v[10:11], v1
	v_and_b32_e32 v6, 15, v6
	v_add_u32_e32 v1, 4, v58
	v_lshl_or_b32 v12, v6, 3, v16
	v_add_u32_e32 v6, 7, v58
	v_and_b32_e32 v1, 15, v1
	v_and_b32_e32 v6, 15, v6
	v_lshl_or_b32 v1, v1, 3, v16
	v_lshl_or_b32 v14, v6, 3, v16
	ds_read_b64 v[6:7], v1
	ds_read_b64 v[8:9], v8
	;; [unrolled: 1-line block ×4, first 2 shown]
	v_add_u32_e32 v1, 9, v58
	s_waitcnt lgkmcnt(4)
	v_add_f64 v[4:5], v[4:5], v[10:11]
	v_and_b32_e32 v1, 15, v1
	s_waitcnt lgkmcnt(3)
	v_add_f64 v[4:5], v[4:5], v[6:7]
	v_lshl_or_b32 v6, v1, 3, v16
	v_add_u32_e32 v1, 10, v58
	v_xor_b32_e32 v0, 8, v0
	v_and_b32_e32 v1, 15, v1
	s_waitcnt lgkmcnt(2)
	v_add_f64 v[4:5], v[4:5], v[8:9]
	v_lshl_or_b32 v0, v0, 3, v16
	v_lshl_or_b32 v8, v1, 3, v16
	ds_read_b64 v[0:1], v0
	ds_read_b64 v[6:7], v6
	;; [unrolled: 1-line block ×3, first 2 shown]
	s_waitcnt lgkmcnt(4)
	v_add_f64 v[4:5], v[4:5], v[12:13]
	s_waitcnt lgkmcnt(3)
	v_add_f64 v[4:5], v[4:5], v[14:15]
	v_add_u32_e32 v10, 11, v58
	s_waitcnt lgkmcnt(2)
	v_add_f64 v[0:1], v[4:5], v[0:1]
	v_add_u32_e32 v5, 13, v58
	v_and_b32_e32 v10, 15, v10
	v_and_b32_e32 v5, 15, v5
	v_lshl_or_b32 v10, v10, 3, v16
	s_waitcnt lgkmcnt(1)
	v_add_f64 v[0:1], v[0:1], v[6:7]
	v_lshl_or_b32 v6, v5, 3, v16
	v_add_u32_e32 v5, 14, v58
	ds_read_b64 v[10:11], v10
	v_and_b32_e32 v5, 15, v5
	s_waitcnt lgkmcnt(1)
	v_add_f64 v[0:1], v[0:1], v[8:9]
	v_add_u32_e32 v4, 12, v58
	v_lshl_or_b32 v8, v5, 3, v16
	v_add_u32_e32 v5, -1, v58
	v_and_b32_e32 v4, 15, v4
	v_and_b32_e32 v5, 15, v5
	v_lshl_or_b32 v4, v4, 3, v16
	v_lshl_or_b32 v12, v5, 3, v16
	ds_read_b64 v[4:5], v4
	ds_read_b64 v[6:7], v6
	;; [unrolled: 1-line block ×4, first 2 shown]
	s_waitcnt lgkmcnt(4)
	v_add_f64 v[0:1], v[0:1], v[10:11]
	s_waitcnt lgkmcnt(3)
	v_add_f64 v[0:1], v[0:1], v[4:5]
	v_mad_u64_u32 v[4:5], s[2:3], s10, v58, 0
	s_waitcnt lgkmcnt(2)
	v_add_f64 v[0:1], v[0:1], v[6:7]
	v_mov_b32_e32 v6, v5
	s_waitcnt lgkmcnt(1)
	v_add_f64 v[0:1], v[0:1], v[8:9]
	v_mad_u64_u32 v[6:7], s[2:3], s11, v58, v[6:7]
	s_waitcnt lgkmcnt(0)
	v_add_f64 v[0:1], v[0:1], v[12:13]
	v_mov_b32_e32 v5, v6
	v_lshl_add_u64 v[4:5], v[4:5], 3, s[0:1]
	v_mul_f64 v[0:1], v[2:3], v[0:1]
	global_atomic_add_f64 v[4:5], v[0:1], off
.LBB103_24:
	s_endpgm
	.section	.rodata,"a",@progbits
	.p2align	6, 0x0
	.amdhsa_kernel _ZL54rocblas_symv_kernel_lower_double_buffered_non_diagonalILi32ELi4ELi4E24rocblas_internal_val_ptrIdEPKdPdEvbiT2_lT3_lllS6_lllT4_llli
		.amdhsa_group_segment_fixed_size 6400
		.amdhsa_private_segment_fixed_size 0
		.amdhsa_kernarg_size 384
		.amdhsa_user_sgpr_count 2
		.amdhsa_user_sgpr_dispatch_ptr 0
		.amdhsa_user_sgpr_queue_ptr 0
		.amdhsa_user_sgpr_kernarg_segment_ptr 1
		.amdhsa_user_sgpr_dispatch_id 0
		.amdhsa_user_sgpr_kernarg_preload_length 0
		.amdhsa_user_sgpr_kernarg_preload_offset 0
		.amdhsa_user_sgpr_private_segment_size 0
		.amdhsa_uses_dynamic_stack 0
		.amdhsa_enable_private_segment 0
		.amdhsa_system_sgpr_workgroup_id_x 1
		.amdhsa_system_sgpr_workgroup_id_y 1
		.amdhsa_system_sgpr_workgroup_id_z 1
		.amdhsa_system_sgpr_workgroup_info 0
		.amdhsa_system_vgpr_workitem_id 1
		.amdhsa_next_free_vgpr 76
		.amdhsa_next_free_sgpr 44
		.amdhsa_accum_offset 76
		.amdhsa_reserve_vcc 1
		.amdhsa_float_round_mode_32 0
		.amdhsa_float_round_mode_16_64 0
		.amdhsa_float_denorm_mode_32 3
		.amdhsa_float_denorm_mode_16_64 3
		.amdhsa_dx10_clamp 1
		.amdhsa_ieee_mode 1
		.amdhsa_fp16_overflow 0
		.amdhsa_tg_split 0
		.amdhsa_exception_fp_ieee_invalid_op 0
		.amdhsa_exception_fp_denorm_src 0
		.amdhsa_exception_fp_ieee_div_zero 0
		.amdhsa_exception_fp_ieee_overflow 0
		.amdhsa_exception_fp_ieee_underflow 0
		.amdhsa_exception_fp_ieee_inexact 0
		.amdhsa_exception_int_div_zero 0
	.end_amdhsa_kernel
	.section	.text._ZL54rocblas_symv_kernel_lower_double_buffered_non_diagonalILi32ELi4ELi4E24rocblas_internal_val_ptrIdEPKdPdEvbiT2_lT3_lllS6_lllT4_llli,"axG",@progbits,_ZL54rocblas_symv_kernel_lower_double_buffered_non_diagonalILi32ELi4ELi4E24rocblas_internal_val_ptrIdEPKdPdEvbiT2_lT3_lllS6_lllT4_llli,comdat
.Lfunc_end103:
	.size	_ZL54rocblas_symv_kernel_lower_double_buffered_non_diagonalILi32ELi4ELi4E24rocblas_internal_val_ptrIdEPKdPdEvbiT2_lT3_lllS6_lllT4_llli, .Lfunc_end103-_ZL54rocblas_symv_kernel_lower_double_buffered_non_diagonalILi32ELi4ELi4E24rocblas_internal_val_ptrIdEPKdPdEvbiT2_lT3_lllS6_lllT4_llli
                                        ; -- End function
	.set _ZL54rocblas_symv_kernel_lower_double_buffered_non_diagonalILi32ELi4ELi4E24rocblas_internal_val_ptrIdEPKdPdEvbiT2_lT3_lllS6_lllT4_llli.num_vgpr, 76
	.set _ZL54rocblas_symv_kernel_lower_double_buffered_non_diagonalILi32ELi4ELi4E24rocblas_internal_val_ptrIdEPKdPdEvbiT2_lT3_lllS6_lllT4_llli.num_agpr, 0
	.set _ZL54rocblas_symv_kernel_lower_double_buffered_non_diagonalILi32ELi4ELi4E24rocblas_internal_val_ptrIdEPKdPdEvbiT2_lT3_lllS6_lllT4_llli.numbered_sgpr, 44
	.set _ZL54rocblas_symv_kernel_lower_double_buffered_non_diagonalILi32ELi4ELi4E24rocblas_internal_val_ptrIdEPKdPdEvbiT2_lT3_lllS6_lllT4_llli.num_named_barrier, 0
	.set _ZL54rocblas_symv_kernel_lower_double_buffered_non_diagonalILi32ELi4ELi4E24rocblas_internal_val_ptrIdEPKdPdEvbiT2_lT3_lllS6_lllT4_llli.private_seg_size, 0
	.set _ZL54rocblas_symv_kernel_lower_double_buffered_non_diagonalILi32ELi4ELi4E24rocblas_internal_val_ptrIdEPKdPdEvbiT2_lT3_lllS6_lllT4_llli.uses_vcc, 1
	.set _ZL54rocblas_symv_kernel_lower_double_buffered_non_diagonalILi32ELi4ELi4E24rocblas_internal_val_ptrIdEPKdPdEvbiT2_lT3_lllS6_lllT4_llli.uses_flat_scratch, 0
	.set _ZL54rocblas_symv_kernel_lower_double_buffered_non_diagonalILi32ELi4ELi4E24rocblas_internal_val_ptrIdEPKdPdEvbiT2_lT3_lllS6_lllT4_llli.has_dyn_sized_stack, 0
	.set _ZL54rocblas_symv_kernel_lower_double_buffered_non_diagonalILi32ELi4ELi4E24rocblas_internal_val_ptrIdEPKdPdEvbiT2_lT3_lllS6_lllT4_llli.has_recursion, 0
	.set _ZL54rocblas_symv_kernel_lower_double_buffered_non_diagonalILi32ELi4ELi4E24rocblas_internal_val_ptrIdEPKdPdEvbiT2_lT3_lllS6_lllT4_llli.has_indirect_call, 0
	.section	.AMDGPU.csdata,"",@progbits
; Kernel info:
; codeLenInByte = 3004
; TotalNumSgprs: 50
; NumVgprs: 76
; NumAgprs: 0
; TotalNumVgprs: 76
; ScratchSize: 0
; MemoryBound: 0
; FloatMode: 240
; IeeeMode: 1
; LDSByteSize: 6400 bytes/workgroup (compile time only)
; SGPRBlocks: 6
; VGPRBlocks: 9
; NumSGPRsForWavesPerEU: 50
; NumVGPRsForWavesPerEU: 76
; AccumOffset: 76
; Occupancy: 6
; WaveLimiterHint : 0
; COMPUTE_PGM_RSRC2:SCRATCH_EN: 0
; COMPUTE_PGM_RSRC2:USER_SGPR: 2
; COMPUTE_PGM_RSRC2:TRAP_HANDLER: 0
; COMPUTE_PGM_RSRC2:TGID_X_EN: 1
; COMPUTE_PGM_RSRC2:TGID_Y_EN: 1
; COMPUTE_PGM_RSRC2:TGID_Z_EN: 1
; COMPUTE_PGM_RSRC2:TIDIG_COMP_CNT: 1
; COMPUTE_PGM_RSRC3_GFX90A:ACCUM_OFFSET: 18
; COMPUTE_PGM_RSRC3_GFX90A:TG_SPLIT: 0
	.section	.text._ZL58rocblas_symv_kernel_lower_double_buffered_diagonal_genericILi32ELi4E24rocblas_internal_val_ptrIdEPKdPdEvbiT1_lT2_lllS6_lllS5_lT3_lllii,"axG",@progbits,_ZL58rocblas_symv_kernel_lower_double_buffered_diagonal_genericILi32ELi4E24rocblas_internal_val_ptrIdEPKdPdEvbiT1_lT2_lllS6_lllS5_lT3_lllii,comdat
	.globl	_ZL58rocblas_symv_kernel_lower_double_buffered_diagonal_genericILi32ELi4E24rocblas_internal_val_ptrIdEPKdPdEvbiT1_lT2_lllS6_lllS5_lT3_lllii ; -- Begin function _ZL58rocblas_symv_kernel_lower_double_buffered_diagonal_genericILi32ELi4E24rocblas_internal_val_ptrIdEPKdPdEvbiT1_lT2_lllS6_lllS5_lT3_lllii
	.p2align	8
	.type	_ZL58rocblas_symv_kernel_lower_double_buffered_diagonal_genericILi32ELi4E24rocblas_internal_val_ptrIdEPKdPdEvbiT1_lT2_lllS6_lllS5_lT3_lllii,@function
_ZL58rocblas_symv_kernel_lower_double_buffered_diagonal_genericILi32ELi4E24rocblas_internal_val_ptrIdEPKdPdEvbiT1_lT2_lllS6_lllS5_lT3_lllii: ; @_ZL58rocblas_symv_kernel_lower_double_buffered_diagonal_genericILi32ELi4E24rocblas_internal_val_ptrIdEPKdPdEvbiT1_lT2_lllS6_lllS5_lT3_lllii
; %bb.0:
	s_load_dword s20, s[0:1], 0x0
	s_load_dwordx16 s[4:19], s[0:1], 0x8
	s_waitcnt lgkmcnt(0)
	s_bitcmp1_b32 s20, 0
	s_load_dwordx8 s[20:27], s[0:1], 0x48
	s_cselect_b64 s[30:31], -1, 0
	s_xor_b64 s[28:29], s[30:31], -1
	s_and_b64 vcc, exec, s[30:31]
	v_mov_b64_e32 v[4:5], s[4:5]
	s_cbranch_vccnz .LBB104_2
; %bb.1:
	s_mul_i32 s7, s7, s3
	s_mul_hi_u32 s30, s6, s3
	s_add_i32 s7, s30, s7
	s_mul_i32 s6, s6, s3
	s_lshl_b64 s[6:7], s[6:7], 3
	s_add_u32 s4, s4, s6
	s_addc_u32 s5, s5, s7
	v_mov_b64_e32 v[2:3], s[4:5]
	flat_load_dwordx2 v[4:5], v[2:3]
.LBB104_2:
	s_andn2_b64 vcc, exec, s[28:29]
	s_waitcnt lgkmcnt(0)
	v_mov_b64_e32 v[2:3], s[24:25]
	s_cbranch_vccnz .LBB104_4
; %bb.3:
	s_mul_i32 s4, s27, s3
	s_mul_hi_u32 s5, s26, s3
	s_add_i32 s5, s5, s4
	s_mul_i32 s4, s26, s3
	s_lshl_b64 s[4:5], s[4:5], 3
	s_add_u32 s4, s24, s4
	s_addc_u32 s5, s25, s5
	v_mov_b64_e32 v[2:3], s[4:5]
	flat_load_dwordx2 v[2:3], v[2:3]
.LBB104_4:
	s_waitcnt vmcnt(0)
	v_cmp_neq_f64_e32 vcc, 0, v[4:5]
	s_waitcnt lgkmcnt(0)
	v_cmp_neq_f64_e64 s[4:5], 1.0, v[2:3]
	s_or_b64 s[4:5], vcc, s[4:5]
	s_and_saveexec_b64 s[6:7], s[4:5]
	s_cbranch_execz .LBB104_60
; %bb.5:
	s_load_dwordx2 s[24:25], s[0:1], 0x80
	s_load_dwordx2 s[26:27], s[0:1], 0x68
	s_load_dwordx4 s[4:7], s[0:1], 0x70
	s_load_dword s33, s[0:1], 0x88
	v_and_b32_e32 v12, 0x3ff, v0
	s_waitcnt lgkmcnt(0)
	s_mul_i32 s25, s25, s3
	s_mul_hi_u32 s28, s24, s3
	s_add_i32 s25, s28, s25
	s_mul_i32 s24, s24, s3
	s_lshl_b64 s[24:25], s[24:25], 3
	s_add_u32 s24, s26, s24
	s_addc_u32 s25, s27, s25
	s_lshl_b64 s[4:5], s[4:5], 3
	s_add_u32 s24, s24, s4
	s_addc_u32 s25, s25, s5
	s_lshl_b32 s34, s2, 5
	s_ashr_i32 s35, s34, 31
	s_mul_i32 s4, s6, s35
	s_mul_hi_u32 s5, s6, s34
	s_add_i32 s4, s5, s4
	s_mul_i32 s5, s7, s34
	s_add_i32 s5, s4, s5
	s_mul_i32 s4, s6, s34
	s_lshl_b64 s[4:5], s[4:5], 3
	s_add_u32 s4, s24, s4
	v_bfe_u32 v13, v0, 10, 10
	s_addc_u32 s5, s25, s5
	v_cmp_eq_f64_e32 vcc, 0, v[4:5]
	s_and_saveexec_b64 s[24:25], vcc
	s_xor_b64 s[24:25], exec, s[24:25]
	s_cbranch_execz .LBB104_12
; %bb.6:
	v_cmp_eq_u32_e32 vcc, 0, v13
	s_and_saveexec_b64 s[26:27], vcc
	s_cbranch_execz .LBB104_11
; %bb.7:
	v_cmp_gt_i32_e64 s[28:29], s33, v12
	v_cmp_le_i32_e32 vcc, s33, v12
	s_and_saveexec_b64 s[30:31], vcc
	s_cbranch_execz .LBB104_9
; %bb.8:
	s_load_dword s36, s[0:1], 0x90
	s_waitcnt lgkmcnt(0)
	s_add_i32 s36, s36, -1
	s_cmp_lt_u32 s2, s36
	s_cselect_b64 s[36:37], -1, 0
	s_andn2_b64 s[28:29], s[28:29], exec
	s_and_b64 s[36:37], s[36:37], exec
	s_or_b64 s[28:29], s[28:29], s[36:37]
.LBB104_9:
	s_or_b64 exec, exec, s[30:31]
	s_and_b64 exec, exec, s[28:29]
	s_cbranch_execz .LBB104_11
; %bb.10:
	v_mad_u64_u32 v[0:1], s[28:29], s6, v12, 0
	v_mov_b32_e32 v4, v1
	v_mad_u64_u32 v[4:5], s[28:29], s7, v12, v[4:5]
	v_mov_b32_e32 v1, v4
	v_lshl_add_u64 v[0:1], v[0:1], 3, s[4:5]
	global_load_dwordx2 v[4:5], v[0:1], off
	s_waitcnt vmcnt(0)
	v_mul_f64 v[2:3], v[2:3], v[4:5]
	global_store_dwordx2 v[0:1], v[2:3], off
.LBB104_11:
	s_or_b64 exec, exec, s[26:27]
                                        ; implicit-def: $vgpr13
                                        ; implicit-def: $vgpr4_vgpr5
                                        ; implicit-def: $vgpr2_vgpr3
                                        ; implicit-def: $vgpr12
.LBB104_12:
	s_andn2_saveexec_b64 s[24:25], s[24:25]
	s_cbranch_execz .LBB104_60
; %bb.13:
	s_mul_i32 s23, s23, s3
	s_mul_hi_u32 s24, s22, s3
	s_add_i32 s23, s24, s23
	s_mul_i32 s22, s22, s3
	s_lshl_b64 s[22:23], s[22:23], 3
	s_add_u32 s22, s16, s22
	s_addc_u32 s23, s17, s23
	s_lshl_b64 s[16:17], s[18:19], 3
	s_add_u32 s18, s22, s16
	s_addc_u32 s19, s23, s17
	s_mul_i32 s16, s20, s35
	s_mul_hi_u32 s17, s20, s34
	s_load_dword s22, s[0:1], 0x90
	s_add_i32 s16, s17, s16
	s_mul_i32 s17, s21, s34
	s_add_i32 s17, s16, s17
	s_mul_i32 s16, s20, s34
	s_lshl_b64 s[0:1], s[16:17], 3
	s_add_u32 s18, s18, s0
	s_addc_u32 s19, s19, s1
	s_waitcnt lgkmcnt(0)
	s_add_i32 s22, s22, -1
	s_cmp_lg_u32 s2, s22
	s_cselect_b64 s[16:17], -1, 0
	v_cmp_eq_u32_e64 s[0:1], 0, v13
	s_and_b64 vcc, exec, s[16:17]
	s_cbranch_vccz .LBB104_19
; %bb.14:
	v_mov_b64_e32 v[0:1], 0
	s_and_saveexec_b64 s[22:23], s[0:1]
	s_cbranch_execz .LBB104_18
; %bb.15:
	v_mad_u64_u32 v[0:1], s[24:25], s20, v12, 0
	v_mov_b32_e32 v6, v1
	v_mad_u64_u32 v[6:7], s[24:25], s21, v12, v[6:7]
	v_mov_b32_e32 v1, v6
	v_lshl_add_u64 v[0:1], v[0:1], 3, s[18:19]
	global_load_dwordx2 v[6:7], v[0:1], off
	v_lshlrev_b32_e32 v8, 3, v12
	v_mov_b64_e32 v[0:1], 0
	v_cmp_neq_f64_e32 vcc, 0, v[2:3]
	s_waitcnt vmcnt(0)
	ds_write_b64 v8, v[6:7] offset:10240
	s_and_saveexec_b64 s[24:25], vcc
	s_cbranch_execz .LBB104_17
; %bb.16:
	v_mad_u64_u32 v[0:1], s[26:27], s6, v12, 0
	v_mov_b32_e32 v6, v1
	v_mad_u64_u32 v[6:7], s[26:27], s7, v12, v[6:7]
	v_mov_b32_e32 v1, v6
	v_lshl_add_u64 v[0:1], v[0:1], 3, s[4:5]
	global_load_dwordx2 v[0:1], v[0:1], off
	s_waitcnt vmcnt(0)
	v_mul_f64 v[0:1], v[2:3], v[0:1]
.LBB104_17:
	s_or_b64 exec, exec, s[24:25]
.LBB104_18:
	s_or_b64 exec, exec, s[22:23]
	s_cbranch_execz .LBB104_20
	s_branch .LBB104_29
.LBB104_19:
                                        ; implicit-def: $vgpr0_vgpr1
.LBB104_20:
	v_mov_b64_e32 v[0:1], 0
	s_and_saveexec_b64 s[22:23], s[0:1]
	s_cbranch_execz .LBB104_28
; %bb.21:
	v_cmp_le_i32_e32 vcc, s33, v12
	s_and_saveexec_b64 s[24:25], vcc
	s_xor_b64 s[24:25], exec, s[24:25]
; %bb.22:
	v_mov_b32_e32 v6, 0
	v_lshlrev_b32_e32 v0, 3, v12
	v_mov_b32_e32 v7, v6
	ds_write_b64 v0, v[6:7] offset:10240
; %bb.23:
	s_or_saveexec_b64 s[24:25], s[24:25]
	v_mov_b64_e32 v[0:1], 0
	s_xor_b64 exec, exec, s[24:25]
	s_cbranch_execz .LBB104_27
; %bb.24:
	v_mad_u64_u32 v[0:1], s[26:27], s20, v12, 0
	v_mov_b32_e32 v6, v1
	v_mad_u64_u32 v[6:7], s[20:21], s21, v12, v[6:7]
	v_mov_b32_e32 v1, v6
	v_lshl_add_u64 v[0:1], v[0:1], 3, s[18:19]
	global_load_dwordx2 v[6:7], v[0:1], off
	v_lshlrev_b32_e32 v8, 3, v12
	v_mov_b64_e32 v[0:1], 0
	v_cmp_neq_f64_e32 vcc, 0, v[2:3]
	s_waitcnt vmcnt(0)
	ds_write_b64 v8, v[6:7] offset:10240
	s_and_saveexec_b64 s[18:19], vcc
	s_cbranch_execz .LBB104_26
; %bb.25:
	v_mad_u64_u32 v[0:1], s[20:21], s6, v12, 0
	v_mov_b32_e32 v6, v1
	v_mad_u64_u32 v[6:7], s[20:21], s7, v12, v[6:7]
	v_mov_b32_e32 v1, v6
	v_lshl_add_u64 v[0:1], v[0:1], 3, s[4:5]
	global_load_dwordx2 v[0:1], v[0:1], off
	s_waitcnt vmcnt(0)
	v_mul_f64 v[0:1], v[2:3], v[0:1]
.LBB104_26:
	s_or_b64 exec, exec, s[18:19]
.LBB104_27:
	s_or_b64 exec, exec, s[24:25]
.LBB104_28:
	s_or_b64 exec, exec, s[22:23]
.LBB104_29:
	s_mul_i32 s2, s15, s3
	s_mul_hi_u32 s15, s14, s3
	s_add_i32 s15, s15, s2
	s_mul_i32 s14, s14, s3
	s_lshl_b64 s[2:3], s[14:15], 3
	s_add_u32 s14, s8, s2
	s_addc_u32 s15, s9, s3
	s_lshl_b64 s[10:11], s[10:11], 3
	s_add_u32 s18, s14, s10
	s_addc_u32 s19, s15, s11
	s_add_u32 s14, s12, 1
	s_addc_u32 s15, s13, 0
	s_mul_i32 s20, s14, s35
	s_mul_hi_u32 s21, s14, s34
	s_add_i32 s20, s21, s20
	s_mul_i32 s15, s15, s34
	s_add_i32 s15, s20, s15
	s_mul_i32 s14, s14, s34
	v_mad_u64_u32 v[10:11], s[20:21], s12, v13, 0
	s_lshl_b64 s[14:15], s[14:15], 3
	v_mov_b32_e32 v6, v11
	s_add_u32 s18, s18, s14
	v_mad_u64_u32 v[6:7], s[20:21], s13, v13, v[6:7]
	s_addc_u32 s19, s19, s15
	v_mov_b32_e32 v11, v6
	v_lshl_add_u64 v[8:9], v[10:11], 3, s[18:19]
	v_lshlrev_b32_e32 v6, 3, v12
	v_mov_b32_e32 v7, 0
	v_lshl_add_u64 v[8:9], v[8:9], 0, v[6:7]
	v_lshlrev_b32_e32 v7, 8, v13
	v_lshlrev_b32_e32 v16, 5, v13
	s_mov_b64 s[18:19], -1
	s_andn2_b64 vcc, exec, s[16:17]
	v_add_u32_e32 v14, v6, v7
	s_cbranch_vccnz .LBB104_31
; %bb.30:
	s_lshl_b64 s[18:19], s[12:13], 5
	v_lshl_add_u64 v[18:19], v[8:9], 0, s[18:19]
	v_lshl_add_u64 v[20:21], v[18:19], 0, s[18:19]
	;; [unrolled: 1-line block ×3, first 2 shown]
	global_load_dwordx2 v[24:25], v[8:9], off
	global_load_dwordx2 v[26:27], v[18:19], off
	;; [unrolled: 1-line block ×4, first 2 shown]
	v_lshl_add_u64 v[18:19], v[22:23], 0, s[18:19]
	v_lshl_add_u64 v[20:21], v[18:19], 0, s[18:19]
	global_load_dwordx2 v[22:23], v[18:19], off
	global_load_dwordx2 v[32:33], v[20:21], off
	v_lshl_add_u64 v[18:19], v[20:21], 0, s[18:19]
	global_load_dwordx2 v[20:21], v[18:19], off
	v_lshl_add_u64 v[18:19], v[18:19], 0, s[18:19]
	global_load_dwordx2 v[18:19], v[18:19], off
	s_mov_b64 s[18:19], 0
	s_waitcnt vmcnt(6)
	ds_write2st64_b64 v14, v[24:25], v[26:27] offset1:2
	s_waitcnt vmcnt(4)
	ds_write2st64_b64 v14, v[28:29], v[30:31] offset0:4 offset1:6
	s_waitcnt vmcnt(2)
	ds_write2st64_b64 v14, v[22:23], v[32:33] offset0:8 offset1:10
	;; [unrolled: 2-line block ×3, first 2 shown]
.LBB104_31:
	s_andn2_b64 vcc, exec, s[18:19]
	v_add_u32_e32 v15, v16, v12
	s_cbranch_vccnz .LBB104_39
; %bb.32:
	s_mov_b32 s18, 0
	s_mov_b32 s19, s18
	v_mov_b64_e32 v[18:19], s[18:19]
	v_cmp_gt_i32_e32 vcc, s33, v12
	ds_write2st64_b64 v14, v[18:19], v[18:19] offset1:2
	ds_write2st64_b64 v14, v[18:19], v[18:19] offset0:4 offset1:6
	ds_write2st64_b64 v14, v[18:19], v[18:19] offset0:8 offset1:10
	;; [unrolled: 1-line block ×3, first 2 shown]
	s_and_saveexec_b64 s[20:21], vcc
	s_cbranch_execz .LBB104_38
; %bb.33:
	s_cmp_lt_u32 s33, 4
	s_cbranch_scc1 .LBB104_36
; %bb.34:
	s_lshr_b32 s18, s33, 2
	s_add_u32 s2, s14, s2
	s_addc_u32 s3, s15, s3
	s_add_u32 s2, s10, s2
	s_addc_u32 s3, s11, s3
	v_lshl_add_u64 v[10:11], v[10:11], 3, s[2:3]
	v_mov_b32_e32 v7, 0
	v_lshl_add_u64 v[10:11], v[10:11], 0, v[6:7]
	v_lshl_add_u32 v17, v16, 3, v6
	v_lshl_add_u64 v[10:11], s[8:9], 0, v[10:11]
	s_lshl_b64 s[2:3], s[12:13], 5
	s_mov_b32 s8, s18
.LBB104_35:                             ; =>This Inner Loop Header: Depth=1
	global_load_dwordx2 v[18:19], v[10:11], off
	s_add_i32 s8, s8, -1
	v_lshl_add_u64 v[10:11], v[10:11], 0, s[2:3]
	s_cmp_lg_u32 s8, 0
	s_waitcnt vmcnt(0)
	ds_write_b64 v17, v[18:19]
	v_add_u32_e32 v17, 0x400, v17
	s_cbranch_scc1 .LBB104_35
.LBB104_36:
	s_and_b32 s2, s33, 3
	v_cmp_gt_u32_e32 vcc, s2, v13
	s_and_b64 exec, exec, vcc
	s_cbranch_execz .LBB104_38
; %bb.37:
	s_lshl_b32 s2, s18, 2
	s_mul_i32 s3, s13, s2
	s_mul_hi_u32 s8, s12, s2
	s_add_i32 s3, s8, s3
	s_mul_i32 s2, s12, s2
	v_lshl_add_u64 v[8:9], s[2:3], 3, v[8:9]
	global_load_dwordx2 v[8:9], v[8:9], off
	v_lshlrev_b32_e32 v7, 3, v15
	v_lshl_add_u32 v7, s18, 10, v7
	s_waitcnt vmcnt(0)
	ds_write_b64 v7, v[8:9]
.LBB104_38:
	s_or_b64 exec, exec, s[20:21]
.LBB104_39:
	v_cmp_ge_u32_e32 vcc, v12, v13
	v_lshlrev_b32_e32 v8, 8, v12
	s_waitcnt lgkmcnt(0)
	s_barrier
	s_and_saveexec_b64 s[2:3], vcc
	s_xor_b64 s[2:3], exec, s[2:3]
; %bb.40:
	v_lshlrev_b32_e32 v8, 8, v12
                                        ; implicit-def: $vgpr16
; %bb.41:
	s_or_saveexec_b64 s[2:3], s[2:3]
	v_lshlrev_b32_e32 v7, 3, v13
	s_xor_b64 exec, exec, s[2:3]
	s_cbranch_execz .LBB104_43
; %bb.42:
	v_mul_u32_u24_e32 v9, 0xf8, v12
	v_add3_u32 v9, v6, v9, v7
	ds_read_b64 v[10:11], v9
	v_lshl_add_u32 v9, v16, 3, v6
	s_waitcnt lgkmcnt(0)
	ds_write_b64 v9, v[10:11]
.LBB104_43:
	s_or_b64 exec, exec, s[2:3]
	v_sub_u32_e32 v9, v12, v13
	v_sub_u32_e32 v10, 0, v9
	v_max_i32_e32 v10, v9, v10
	v_cmp_gt_u32_e32 vcc, 4, v10
	v_lshl_add_u32 v9, v13, 3, v8
	v_lshl_add_u32 v8, v13, 8, v6
	s_and_saveexec_b64 s[2:3], vcc
	s_cbranch_execnz .LBB104_61
; %bb.44:
	s_or_b64 exec, exec, s[2:3]
	v_cmp_gt_u32_e32 vcc, 8, v10
	s_and_saveexec_b64 s[2:3], vcc
	s_cbranch_execnz .LBB104_62
.LBB104_45:
	s_or_b64 exec, exec, s[2:3]
	v_cmp_gt_u32_e32 vcc, 12, v10
	s_and_saveexec_b64 s[2:3], vcc
	s_cbranch_execnz .LBB104_63
.LBB104_46:
	s_or_b64 exec, exec, s[2:3]
	v_cmp_gt_u32_e32 vcc, 16, v10
	s_and_saveexec_b64 s[2:3], vcc
	s_cbranch_execnz .LBB104_64
.LBB104_47:
	s_or_b64 exec, exec, s[2:3]
	v_cmp_gt_u32_e32 vcc, 20, v10
	s_and_saveexec_b64 s[2:3], vcc
	s_cbranch_execnz .LBB104_65
.LBB104_48:
	s_or_b64 exec, exec, s[2:3]
	v_cmp_gt_u32_e32 vcc, 24, v10
	s_and_saveexec_b64 s[2:3], vcc
	s_cbranch_execz .LBB104_50
.LBB104_49:
	ds_read_b64 v[16:17], v9 offset:192
	s_waitcnt lgkmcnt(0)
	ds_write_b64 v14, v[16:17] offset:6144
.LBB104_50:
	s_or_b64 exec, exec, s[2:3]
	v_cmp_lt_u32_e32 vcc, 27, v10
	v_add_u32_e32 v10, 28, v13
                                        ; implicit-def: $vgpr11
	s_and_saveexec_b64 s[2:3], vcc
	s_xor_b64 s[2:3], exec, s[2:3]
; %bb.51:
	v_add_u32_e32 v10, 28, v13
	v_lshlrev_b32_e32 v11, 8, v10
                                        ; implicit-def: $vgpr9
; %bb.52:
	s_andn2_saveexec_b64 s[2:3], s[2:3]
	s_cbranch_execz .LBB104_54
; %bb.53:
	ds_read_b64 v[16:17], v9 offset:224
	v_lshlrev_b32_e32 v11, 8, v10
	v_add_u32_e32 v9, v6, v11
	s_waitcnt lgkmcnt(0)
	ds_write_b64 v9, v[16:17]
.LBB104_54:
	s_or_b64 exec, exec, s[2:3]
	v_add_u32_e32 v9, 0x2800, v7
	s_waitcnt lgkmcnt(0)
	s_barrier
	ds_read_b64 v[20:21], v14
	ds_read2_b64 v[16:19], v9 offset1:4
	v_add_u32_e32 v11, v6, v11
	v_lshlrev_b32_e32 v10, 3, v10
	ds_read_b64 v[36:37], v7 offset:10432
	ds_read_b64 v[38:39], v11
	ds_read_b64 v[40:41], v10 offset:10240
	v_lshlrev_b32_e32 v7, 3, v15
	s_waitcnt lgkmcnt(3)
	v_fma_f64 v[16:17], v[20:21], v[16:17], 0
	ds_read2st64_b64 v[20:23], v8 offset0:2 offset1:4
	ds_read2_b64 v[24:27], v9 offset0:8 offset1:12
	ds_read2st64_b64 v[28:31], v8 offset0:6 offset1:8
	ds_read2_b64 v[32:35], v9 offset0:16 offset1:20
	ds_read2st64_b64 v[8:11], v8 offset0:10 offset1:12
	s_waitcnt lgkmcnt(4)
	v_fmac_f64_e32 v[16:17], v[20:21], v[18:19]
	s_waitcnt lgkmcnt(3)
	v_fmac_f64_e32 v[16:17], v[22:23], v[24:25]
	;; [unrolled: 2-line block ×5, first 2 shown]
	v_fmac_f64_e32 v[16:17], v[10:11], v[36:37]
	v_fmac_f64_e32 v[16:17], v[38:39], v[40:41]
	ds_write_b64 v7, v[16:17] offset:8192
	s_waitcnt lgkmcnt(0)
	s_barrier
	s_and_saveexec_b64 s[2:3], s[0:1]
	s_cbranch_execz .LBB104_60
; %bb.55:
	v_add_u32_e32 v10, 0x2000, v6
	ds_read2_b64 v[6:9], v10 offset1:32
	ds_read2_b64 v[14:17], v10 offset0:64 offset1:96
	v_cmp_neq_f64_e32 vcc, 0, v[2:3]
	s_mov_b64 s[0:1], -1
	s_waitcnt lgkmcnt(1)
	v_add_f64 v[6:7], v[6:7], 0
	v_add_f64 v[6:7], v[6:7], v[8:9]
	s_waitcnt lgkmcnt(0)
	v_add_f64 v[6:7], v[6:7], v[14:15]
	v_add_f64 v[6:7], v[6:7], v[16:17]
	v_mul_f64 v[8:9], v[4:5], v[6:7]
	v_fmac_f64_e32 v[0:1], v[4:5], v[6:7]
	v_cndmask_b32_e32 v1, v9, v1, vcc
	v_cndmask_b32_e32 v0, v8, v0, vcc
	s_and_b64 vcc, exec, s[16:17]
	s_cbranch_vccz .LBB104_57
; %bb.56:
	v_mad_u64_u32 v[2:3], s[0:1], s6, v12, 0
	v_mov_b32_e32 v4, v3
	v_mad_u64_u32 v[4:5], s[0:1], s7, v12, v[4:5]
	v_mov_b32_e32 v3, v4
	v_lshl_add_u64 v[2:3], v[2:3], 3, s[4:5]
	global_store_dwordx2 v[2:3], v[0:1], off
	s_mov_b64 s[0:1], 0
.LBB104_57:
	s_andn2_b64 vcc, exec, s[0:1]
	s_cbranch_vccnz .LBB104_60
; %bb.58:
	v_cmp_gt_i32_e32 vcc, s33, v12
	s_and_b64 exec, exec, vcc
	s_cbranch_execz .LBB104_60
; %bb.59:
	v_mad_u64_u32 v[2:3], s[0:1], s6, v12, 0
	v_mov_b32_e32 v4, v3
	v_mad_u64_u32 v[4:5], s[0:1], s7, v12, v[4:5]
	v_mov_b32_e32 v3, v4
	v_lshl_add_u64 v[2:3], v[2:3], 3, s[4:5]
	global_store_dwordx2 v[2:3], v[0:1], off
.LBB104_60:
	s_endpgm
.LBB104_61:
	ds_read_b64 v[16:17], v9 offset:32
	s_waitcnt lgkmcnt(0)
	ds_write_b64 v8, v[16:17] offset:1024
	s_or_b64 exec, exec, s[2:3]
	v_cmp_gt_u32_e32 vcc, 8, v10
	s_and_saveexec_b64 s[2:3], vcc
	s_cbranch_execz .LBB104_45
.LBB104_62:
	ds_read_b64 v[16:17], v9 offset:64
	s_waitcnt lgkmcnt(0)
	ds_write_b64 v8, v[16:17] offset:2048
	s_or_b64 exec, exec, s[2:3]
	v_cmp_gt_u32_e32 vcc, 12, v10
	s_and_saveexec_b64 s[2:3], vcc
	s_cbranch_execz .LBB104_46
.LBB104_63:
	ds_read_b64 v[16:17], v9 offset:96
	s_waitcnt lgkmcnt(0)
	ds_write_b64 v8, v[16:17] offset:3072
	s_or_b64 exec, exec, s[2:3]
	v_cmp_gt_u32_e32 vcc, 16, v10
	s_and_saveexec_b64 s[2:3], vcc
	s_cbranch_execz .LBB104_47
.LBB104_64:
	ds_read_b64 v[16:17], v9 offset:128
	s_waitcnt lgkmcnt(0)
	ds_write_b64 v14, v[16:17] offset:4096
	s_or_b64 exec, exec, s[2:3]
	v_cmp_gt_u32_e32 vcc, 20, v10
	s_and_saveexec_b64 s[2:3], vcc
	s_cbranch_execz .LBB104_48
.LBB104_65:
	ds_read_b64 v[16:17], v9 offset:160
	s_waitcnt lgkmcnt(0)
	ds_write_b64 v14, v[16:17] offset:5120
	s_or_b64 exec, exec, s[2:3]
	v_cmp_gt_u32_e32 vcc, 24, v10
	s_and_saveexec_b64 s[2:3], vcc
	s_cbranch_execnz .LBB104_49
	s_branch .LBB104_50
	.section	.rodata,"a",@progbits
	.p2align	6, 0x0
	.amdhsa_kernel _ZL58rocblas_symv_kernel_lower_double_buffered_diagonal_genericILi32ELi4E24rocblas_internal_val_ptrIdEPKdPdEvbiT1_lT2_lllS6_lllS5_lT3_lllii
		.amdhsa_group_segment_fixed_size 10496
		.amdhsa_private_segment_fixed_size 0
		.amdhsa_kernarg_size 400
		.amdhsa_user_sgpr_count 2
		.amdhsa_user_sgpr_dispatch_ptr 0
		.amdhsa_user_sgpr_queue_ptr 0
		.amdhsa_user_sgpr_kernarg_segment_ptr 1
		.amdhsa_user_sgpr_dispatch_id 0
		.amdhsa_user_sgpr_kernarg_preload_length 0
		.amdhsa_user_sgpr_kernarg_preload_offset 0
		.amdhsa_user_sgpr_private_segment_size 0
		.amdhsa_uses_dynamic_stack 0
		.amdhsa_enable_private_segment 0
		.amdhsa_system_sgpr_workgroup_id_x 1
		.amdhsa_system_sgpr_workgroup_id_y 0
		.amdhsa_system_sgpr_workgroup_id_z 1
		.amdhsa_system_sgpr_workgroup_info 0
		.amdhsa_system_vgpr_workitem_id 1
		.amdhsa_next_free_vgpr 42
		.amdhsa_next_free_sgpr 38
		.amdhsa_accum_offset 44
		.amdhsa_reserve_vcc 1
		.amdhsa_float_round_mode_32 0
		.amdhsa_float_round_mode_16_64 0
		.amdhsa_float_denorm_mode_32 3
		.amdhsa_float_denorm_mode_16_64 3
		.amdhsa_dx10_clamp 1
		.amdhsa_ieee_mode 1
		.amdhsa_fp16_overflow 0
		.amdhsa_tg_split 0
		.amdhsa_exception_fp_ieee_invalid_op 0
		.amdhsa_exception_fp_denorm_src 0
		.amdhsa_exception_fp_ieee_div_zero 0
		.amdhsa_exception_fp_ieee_overflow 0
		.amdhsa_exception_fp_ieee_underflow 0
		.amdhsa_exception_fp_ieee_inexact 0
		.amdhsa_exception_int_div_zero 0
	.end_amdhsa_kernel
	.section	.text._ZL58rocblas_symv_kernel_lower_double_buffered_diagonal_genericILi32ELi4E24rocblas_internal_val_ptrIdEPKdPdEvbiT1_lT2_lllS6_lllS5_lT3_lllii,"axG",@progbits,_ZL58rocblas_symv_kernel_lower_double_buffered_diagonal_genericILi32ELi4E24rocblas_internal_val_ptrIdEPKdPdEvbiT1_lT2_lllS6_lllS5_lT3_lllii,comdat
.Lfunc_end104:
	.size	_ZL58rocblas_symv_kernel_lower_double_buffered_diagonal_genericILi32ELi4E24rocblas_internal_val_ptrIdEPKdPdEvbiT1_lT2_lllS6_lllS5_lT3_lllii, .Lfunc_end104-_ZL58rocblas_symv_kernel_lower_double_buffered_diagonal_genericILi32ELi4E24rocblas_internal_val_ptrIdEPKdPdEvbiT1_lT2_lllS6_lllS5_lT3_lllii
                                        ; -- End function
	.set _ZL58rocblas_symv_kernel_lower_double_buffered_diagonal_genericILi32ELi4E24rocblas_internal_val_ptrIdEPKdPdEvbiT1_lT2_lllS6_lllS5_lT3_lllii.num_vgpr, 42
	.set _ZL58rocblas_symv_kernel_lower_double_buffered_diagonal_genericILi32ELi4E24rocblas_internal_val_ptrIdEPKdPdEvbiT1_lT2_lllS6_lllS5_lT3_lllii.num_agpr, 0
	.set _ZL58rocblas_symv_kernel_lower_double_buffered_diagonal_genericILi32ELi4E24rocblas_internal_val_ptrIdEPKdPdEvbiT1_lT2_lllS6_lllS5_lT3_lllii.numbered_sgpr, 38
	.set _ZL58rocblas_symv_kernel_lower_double_buffered_diagonal_genericILi32ELi4E24rocblas_internal_val_ptrIdEPKdPdEvbiT1_lT2_lllS6_lllS5_lT3_lllii.num_named_barrier, 0
	.set _ZL58rocblas_symv_kernel_lower_double_buffered_diagonal_genericILi32ELi4E24rocblas_internal_val_ptrIdEPKdPdEvbiT1_lT2_lllS6_lllS5_lT3_lllii.private_seg_size, 0
	.set _ZL58rocblas_symv_kernel_lower_double_buffered_diagonal_genericILi32ELi4E24rocblas_internal_val_ptrIdEPKdPdEvbiT1_lT2_lllS6_lllS5_lT3_lllii.uses_vcc, 1
	.set _ZL58rocblas_symv_kernel_lower_double_buffered_diagonal_genericILi32ELi4E24rocblas_internal_val_ptrIdEPKdPdEvbiT1_lT2_lllS6_lllS5_lT3_lllii.uses_flat_scratch, 0
	.set _ZL58rocblas_symv_kernel_lower_double_buffered_diagonal_genericILi32ELi4E24rocblas_internal_val_ptrIdEPKdPdEvbiT1_lT2_lllS6_lllS5_lT3_lllii.has_dyn_sized_stack, 0
	.set _ZL58rocblas_symv_kernel_lower_double_buffered_diagonal_genericILi32ELi4E24rocblas_internal_val_ptrIdEPKdPdEvbiT1_lT2_lllS6_lllS5_lT3_lllii.has_recursion, 0
	.set _ZL58rocblas_symv_kernel_lower_double_buffered_diagonal_genericILi32ELi4E24rocblas_internal_val_ptrIdEPKdPdEvbiT1_lT2_lllS6_lllS5_lT3_lllii.has_indirect_call, 0
	.section	.AMDGPU.csdata,"",@progbits
; Kernel info:
; codeLenInByte = 2432
; TotalNumSgprs: 44
; NumVgprs: 42
; NumAgprs: 0
; TotalNumVgprs: 42
; ScratchSize: 0
; MemoryBound: 0
; FloatMode: 240
; IeeeMode: 1
; LDSByteSize: 10496 bytes/workgroup (compile time only)
; SGPRBlocks: 5
; VGPRBlocks: 5
; NumSGPRsForWavesPerEU: 44
; NumVGPRsForWavesPerEU: 42
; AccumOffset: 44
; Occupancy: 8
; WaveLimiterHint : 0
; COMPUTE_PGM_RSRC2:SCRATCH_EN: 0
; COMPUTE_PGM_RSRC2:USER_SGPR: 2
; COMPUTE_PGM_RSRC2:TRAP_HANDLER: 0
; COMPUTE_PGM_RSRC2:TGID_X_EN: 1
; COMPUTE_PGM_RSRC2:TGID_Y_EN: 0
; COMPUTE_PGM_RSRC2:TGID_Z_EN: 1
; COMPUTE_PGM_RSRC2:TIDIG_COMP_CNT: 1
; COMPUTE_PGM_RSRC3_GFX90A:ACCUM_OFFSET: 10
; COMPUTE_PGM_RSRC3_GFX90A:TG_SPLIT: 0
	.section	.text._ZL62rocblas_symv_kernel_lower_double_buffered_non_diagonal_genericILi32ELi4ELi4E24rocblas_internal_val_ptrIdEPKdPdEvbiT2_lT3_lllS6_lllT4_lllii,"axG",@progbits,_ZL62rocblas_symv_kernel_lower_double_buffered_non_diagonal_genericILi32ELi4ELi4E24rocblas_internal_val_ptrIdEPKdPdEvbiT2_lT3_lllS6_lllT4_lllii,comdat
	.globl	_ZL62rocblas_symv_kernel_lower_double_buffered_non_diagonal_genericILi32ELi4ELi4E24rocblas_internal_val_ptrIdEPKdPdEvbiT2_lT3_lllS6_lllT4_lllii ; -- Begin function _ZL62rocblas_symv_kernel_lower_double_buffered_non_diagonal_genericILi32ELi4ELi4E24rocblas_internal_val_ptrIdEPKdPdEvbiT2_lT3_lllS6_lllT4_lllii
	.p2align	8
	.type	_ZL62rocblas_symv_kernel_lower_double_buffered_non_diagonal_genericILi32ELi4ELi4E24rocblas_internal_val_ptrIdEPKdPdEvbiT2_lT3_lllS6_lllT4_lllii,@function
_ZL62rocblas_symv_kernel_lower_double_buffered_non_diagonal_genericILi32ELi4ELi4E24rocblas_internal_val_ptrIdEPKdPdEvbiT2_lT3_lllS6_lllT4_lllii: ; @_ZL62rocblas_symv_kernel_lower_double_buffered_non_diagonal_genericILi32ELi4ELi4E24rocblas_internal_val_ptrIdEPKdPdEvbiT2_lT3_lllS6_lllT4_lllii
; %bb.0:
	s_load_dword s5, s[0:1], 0x0
	s_load_dwordx16 s[8:23], s[0:1], 0x8
	s_waitcnt lgkmcnt(0)
	s_bitcmp1_b32 s5, 0
	s_cselect_b64 s[6:7], -1, 0
	s_and_b64 vcc, exec, s[6:7]
	v_mov_b64_e32 v[2:3], s[8:9]
	s_cbranch_vccnz .LBB105_2
; %bb.1:
	s_mul_i32 s5, s11, s4
	s_mul_hi_u32 s6, s10, s4
	s_add_i32 s7, s6, s5
	s_mul_i32 s6, s10, s4
	s_lshl_b64 s[6:7], s[6:7], 3
	s_add_u32 s6, s8, s6
	s_addc_u32 s7, s9, s7
	v_mov_b64_e32 v[2:3], s[6:7]
	flat_load_dwordx2 v[2:3], v[2:3]
.LBB105_2:
	s_waitcnt vmcnt(0) lgkmcnt(0)
	v_cmp_neq_f64_e32 vcc, 0, v[2:3]
	s_and_saveexec_b64 s[6:7], vcc
	s_cbranch_execz .LBB105_35
; %bb.3:
	s_load_dwordx2 s[8:9], s[0:1], 0x80
	s_waitcnt lgkmcnt(0)
	v_cvt_f32_u32_e32 v1, s9
	s_add_i32 s5, s8, -1
	s_cmp_eq_u32 s2, s5
	v_rcp_iflag_f32_e32 v1, v1
	s_nop 0
	v_mul_f32_e32 v1, 0x4f7ffffe, v1
	v_cvt_u32_f32_e32 v1, v1
	s_nop 0
	v_readfirstlane_b32 s6, v1
	s_cbranch_scc1 .LBB105_35
; %bb.4:
	s_not_b32 s7, s2
	s_load_dwordx4 s[24:27], s[0:1], 0x48
	s_add_i32 s5, s5, s7
	s_sub_i32 s7, 0, s9
	s_mul_i32 s7, s7, s6
	s_mul_hi_u32 s7, s6, s7
	s_add_i32 s6, s6, s7
	s_mul_hi_u32 s30, s5, s6
	s_waitcnt lgkmcnt(0)
	s_mul_i32 s6, s27, s4
	s_mul_hi_u32 s7, s26, s4
	s_add_i32 s35, s7, s6
	s_mul_i32 s34, s26, s4
	s_lshl_b64 s[6:7], s[34:35], 3
	s_add_u32 s10, s20, s6
	s_addc_u32 s11, s21, s7
	s_lshl_b64 s[6:7], s[22:23], 3
	s_add_u32 s28, s10, s6
	s_addc_u32 s29, s11, s7
	s_lshl_b32 s36, s2, 5
	s_ashr_i32 s37, s36, 31
	s_mul_i32 s6, s24, s37
	s_mul_hi_u32 s7, s24, s36
	s_add_i32 s6, s7, s6
	s_mul_i32 s7, s25, s36
	s_add_i32 s7, s6, s7
	s_mul_i32 s6, s24, s36
	s_lshl_b64 s[6:7], s[6:7], 3
	v_and_b32_e32 v60, 0x3ff, v0
	v_bfe_u32 v0, v0, 10, 10
	s_add_u32 s10, s28, s6
	s_addc_u32 s11, s29, s7
	v_cmp_eq_u32_e64 s[6:7], 0, v0
	s_and_saveexec_b64 s[26:27], s[6:7]
	s_cbranch_execz .LBB105_6
; %bb.5:
	v_mad_u64_u32 v[4:5], s[38:39], s24, v60, 0
	v_mov_b32_e32 v6, v5
	v_mad_u64_u32 v[6:7], s[38:39], s25, v60, v[6:7]
	v_mov_b32_e32 v5, v6
	v_lshl_add_u64 v[4:5], v[4:5], 3, s[10:11]
	global_load_dwordx2 v[4:5], v[4:5], off
	v_lshlrev_b32_e32 v1, 3, v60
	s_waitcnt vmcnt(0)
	ds_write_b64 v1, v[4:5] offset:6144
.LBB105_6:
	s_or_b64 exec, exec, s[26:27]
	s_mul_i32 s26, s30, s9
	s_sub_i32 s26, s5, s26
	s_add_i32 s27, s30, 1
	s_sub_i32 s31, s26, s9
	s_cmp_ge_u32 s26, s9
	s_cselect_b32 s27, s27, s30
	s_cselect_b32 s26, s31, s26
	s_add_i32 s30, s27, 1
	s_cmp_ge_u32 s26, s9
	s_cselect_b32 s30, s30, s27
	s_add_i32 s31, s9, -1
	s_cmp_eq_u32 s3, s31
	s_cselect_b64 s[26:27], -1, 0
	s_cmp_lg_u32 s3, s31
	s_mov_b32 s33, s30
	s_cbranch_scc1 .LBB105_8
; %bb.7:
	s_mul_i32 s9, s30, s9
	s_sub_i32 s5, s5, s9
	s_add_i32 s33, s5, s30
.LBB105_8:
	s_cmp_lg_u32 s3, s31
	s_cselect_b64 s[38:39], -1, 0
	s_cmp_eq_u32 s33, 0
	s_cselect_b64 s[40:41], -1, 0
	s_and_b64 s[38:39], s[38:39], s[40:41]
	s_and_b64 vcc, exec, s[38:39]
	s_cbranch_vccnz .LBB105_35
; %bb.9:
	s_mul_i32 s3, s3, s30
	s_lshl_b32 s30, s3, 5
	s_mul_i32 s3, s19, s4
	s_mul_hi_u32 s5, s18, s4
	s_add_i32 s19, s5, s3
	s_mul_i32 s18, s18, s4
	s_ashr_i32 s31, s30, 31
	s_lshl_b64 s[18:19], s[18:19], 3
	s_add_u32 s3, s12, s18
	s_addc_u32 s5, s13, s19
	s_lshl_b64 s[12:13], s[14:15], 3
	s_add_u32 s3, s3, s12
	s_addc_u32 s5, s5, s13
	s_add_u32 s9, s16, 1
	s_addc_u32 s12, s17, 0
	s_mul_i32 s13, s9, s37
	s_mul_hi_u32 s14, s9, s36
	s_add_i32 s13, s14, s13
	s_mul_i32 s12, s12, s36
	s_add_i32 s13, s13, s12
	s_mul_i32 s12, s9, s36
	s_lshl_b64 s[12:13], s[12:13], 3
	s_add_u32 s3, s3, s12
	s_addc_u32 s5, s5, s13
	s_lshl_b64 s[38:39], s[30:31], 3
	s_add_u32 s14, s3, s38
	s_addc_u32 s15, s5, s39
	s_mul_i32 s3, s24, s31
	s_mul_hi_u32 s5, s24, s30
	s_add_i32 s3, s5, s3
	s_mul_i32 s5, s25, s30
	s_add_i32 s13, s3, s5
	s_mul_i32 s12, s24, s30
	v_lshl_add_u32 v1, v0, 5, v60
	s_lshl_b64 s[12:13], s[12:13], 3
	v_lshrrev_b32_e32 v61, 4, v1
	s_load_dwordx2 s[40:41], s[0:1], 0x58
	s_add_u32 s18, s10, s12
	v_and_b32_e32 v0, 15, v60
	v_lshlrev_b32_e32 v62, 2, v61
	v_mov_b32_e32 v1, 0
	s_addc_u32 s19, s11, s13
	v_mad_u64_u32 v[6:7], s[10:11], s16, v62, v[0:1]
	v_mov_b32_e32 v4, v7
	v_mad_u64_u32 v[4:5], s[10:11], s17, v62, v[4:5]
	s_lshl_b64 s[12:13], s[24:25], 5
	s_add_i32 s3, s8, -2
	v_mov_b32_e32 v7, v4
	v_mov_b64_e32 v[4:5], 0
	s_cmp_ge_u32 s2, s3
	v_mov_b64_e32 v[74:75], 0
	v_mov_b64_e32 v[66:67], 0
	;; [unrolled: 1-line block ×5, first 2 shown]
	s_waitcnt lgkmcnt(0)
	s_barrier
	s_cbranch_scc1 .LBB105_11
; %bb.10:
	v_lshl_add_u64 v[8:9], v[6:7], 3, s[14:15]
	v_lshl_add_u64 v[10:11], s[16:17], 3, v[8:9]
	;; [unrolled: 1-line block ×3, first 2 shown]
	global_load_dwordx2 v[66:67], v[8:9], off offset:256
	global_load_dwordx2 v[68:69], v[10:11], off offset:256
	;; [unrolled: 1-line block ×3, first 2 shown]
	v_mad_u64_u32 v[8:9], s[8:9], s16, 24, v[8:9]
	v_mov_b32_e32 v10, v9
	v_mad_u64_u32 v[10:11], s[8:9], s17, 24, v[10:11]
	v_mov_b32_e32 v9, v10
	global_load_dwordx2 v[72:73], v[8:9], off offset:256
	v_mad_u64_u32 v[8:9], s[8:9], s24, v0, 0
	s_lshl_b64 s[2:3], s[12:13], 3
	v_mov_b32_e32 v10, v9
	s_add_u32 s2, s18, s2
	v_mad_u64_u32 v[10:11], s[8:9], s25, v0, v[10:11]
	s_addc_u32 s3, s19, s3
	v_mov_b32_e32 v9, v10
	v_lshl_add_u64 v[8:9], v[8:9], 3, s[2:3]
	global_load_dwordx2 v[74:75], v[8:9], off
.LBB105_11:
	s_load_dwordx2 s[2:3], s[0:1], 0x70
	s_load_dwordx4 s[8:11], s[0:1], 0x60
	s_waitcnt lgkmcnt(0)
	s_mul_i32 s3, s3, s4
	s_mul_hi_u32 s5, s2, s4
	s_mul_i32 s2, s2, s4
	s_add_i32 s3, s5, s3
	s_lshl_b64 s[2:3], s[2:3], 3
	s_add_u32 s4, s40, s2
	s_addc_u32 s5, s41, s3
	s_lshl_b64 s[2:3], s[8:9], 3
	s_add_u32 s4, s4, s2
	s_addc_u32 s5, s5, s3
	s_mul_i32 s2, s10, s37
	s_mul_hi_u32 s3, s10, s36
	s_add_i32 s2, s3, s2
	s_mul_i32 s3, s11, s36
	s_add_i32 s3, s2, s3
	s_mul_i32 s2, s10, s36
	s_lshl_b64 s[2:3], s[2:3], 3
	s_add_u32 s2, s4, s2
	s_addc_u32 s3, s5, s3
	s_mul_i32 s4, s10, s31
	s_mul_hi_u32 s5, s10, s30
	s_add_i32 s4, s5, s4
	s_mul_i32 s5, s11, s30
	s_add_i32 s5, s4, s5
	s_mul_i32 s4, s10, s30
	s_lshl_b64 s[4:5], s[4:5], 3
	s_add_u32 s30, s2, s4
	s_addc_u32 s31, s3, s5
	s_cmp_lt_i32 s33, 1
	s_cbranch_scc1 .LBB105_18
; %bb.12:
	v_mov_b32_e32 v4, 0x1800
	v_mad_u64_u32 v[16:17], s[8:9], s10, v60, 0
	v_mov_b32_e32 v1, 0x1000
	v_lshl_add_u32 v64, v62, 3, v4
	v_mov_b32_e32 v4, v17
	v_lshl_or_b32 v8, v0, 3, v1
	v_lshlrev_b32_e32 v9, 8, v61
	s_lshl_b64 s[4:5], s[10:11], 8
	v_mad_u64_u32 v[4:5], s[8:9], s11, v60, v[4:5]
	v_lshl_add_u32 v1, v60, 3, v1
	v_mov_b32_e32 v17, v4
	s_cmp_lg_u32 s33, 1
	v_add_u32_e32 v63, v8, v9
	s_cbranch_scc0 .LBB105_19
; %bb.13:
	v_mad_u64_u32 v[4:5], s[40:41], s16, v61, 0
	v_mov_b32_e32 v8, v5
	v_mad_u64_u32 v[8:9], s[40:41], s17, v61, v[8:9]
	v_mov_b32_e32 v5, v8
	v_lshlrev_b64 v[4:5], 5, v[4:5]
	v_lshlrev_b32_e32 v8, 3, v0
	v_mov_b32_e32 v9, 0
	v_lshlrev_b32_e32 v10, 5, v61
	v_lshl_add_u64 v[22:23], v[4:5], 0, v[8:9]
	v_or_b32_e32 v5, 16, v10
	v_mad_u64_u32 v[30:31], s[40:41], s16, v5, v[8:9]
	v_mov_b32_e32 v4, v31
	v_mad_u64_u32 v[4:5], s[40:41], s17, v5, v[4:5]
	v_or_b32_e32 v5, 24, v10
	v_mad_u64_u32 v[32:33], s[40:41], s16, v5, v[8:9]
	v_mov_b32_e32 v31, v4
	v_mov_b32_e32 v4, v33
	v_mad_u64_u32 v[4:5], s[40:41], s17, v5, v[4:5]
	v_or_b32_e32 v5, 8, v10
	v_mad_u64_u32 v[34:35], s[40:41], s16, v5, v[8:9]
	v_mov_b32_e32 v33, v4
	v_mov_b32_e32 v4, v35
	s_lshl_b64 s[8:9], s[16:17], 3
	s_add_i32 s33, s33, -1
	v_mad_u64_u32 v[4:5], s[40:41], s17, v5, v[4:5]
	s_lshl_b64 s[36:37], s[36:37], 3
	s_add_u32 s40, s38, s36
	s_addc_u32 s41, s39, s37
	s_mul_i32 s36, s24, s41
	s_mul_hi_u32 s37, s24, s40
	s_add_i32 s36, s37, s36
	s_mul_i32 s37, s25, s40
	s_add_i32 s36, s36, s37
	s_add_u32 s22, s22, s34
	s_addc_u32 s23, s23, s35
	s_lshl_b64 s[22:23], s[22:23], 3
	s_add_u32 s38, s20, s22
	v_mov_b32_e32 v35, v4
	s_addc_u32 s39, s21, s23
	v_lshl_add_u64 v[4:5], s[40:41], 0, v[8:9]
	s_mov_b64 s[20:21], 0x180
	v_lshl_add_u64 v[8:9], v[4:5], 0, s[20:21]
	v_mad_u64_u32 v[36:37], s[20:21], s24, v8, 0
	s_mov_b64 s[20:21], 0x200
	s_nop 0
	v_lshl_add_u64 v[4:5], v[4:5], 0, s[20:21]
	v_mul_lo_u32 v10, s25, v8
	v_mul_lo_u32 v9, s24, v9
	;; [unrolled: 1-line block ×4, first 2 shown]
	v_mad_u64_u32 v[38:39], s[20:21], s24, v4, 0
	s_mul_i32 s37, s24, s40
	s_lshl_b64 s[22:23], s[24:25], 8
	v_add3_u32 v37, v37, v9, v10
	v_add3_u32 v39, v39, v5, v8
	v_mov_b64_e32 v[8:9], 0
	v_mov_b64_e32 v[14:15], s[30:31]
	s_mov_b64 s[20:21], s[14:15]
	s_waitcnt vmcnt(0)
	v_mov_b64_e32 v[40:41], v[74:75]
	v_mov_b64_e32 v[12:13], 0
	;; [unrolled: 1-line block ×8, first 2 shown]
.LBB105_14:                             ; =>This Inner Loop Header: Depth=1
	v_lshl_add_u64 v[18:19], s[28:29], 0, v[36:37]
	global_load_dwordx2 v[42:43], v[18:19], off
	v_lshl_add_u64 v[18:19], s[20:21], 0, v[22:23]
	v_lshl_add_u64 v[76:77], s[20:21], 0, v[34:35]
	global_load_dwordx2 v[56:57], v[18:19], off offset:384
	global_load_dwordx2 v[54:55], v[76:77], off offset:384
	v_lshl_add_u64 v[78:79], s[20:21], 0, v[30:31]
	v_lshl_add_u64 v[80:81], s[20:21], 0, v[32:33]
	global_load_dwordx2 v[58:59], v[78:79], off offset:384
	global_load_dwordx2 v[52:53], v[80:81], off offset:384
	;; [unrolled: 1-line block ×6, first 2 shown]
	v_lshl_add_u64 v[18:19], s[28:29], 0, v[38:39]
	global_load_dwordx2 v[18:19], v[18:19], off
	ds_read_b128 v[76:79], v64
	ds_read_b128 v[80:83], v64 offset:16
	s_waitcnt lgkmcnt(0)
	s_barrier
	v_fma_f64 v[84:85], v[44:45], v[76:77], 0
	v_fmac_f64_e32 v[84:85], v[46:47], v[78:79]
	v_fmac_f64_e32 v[84:85], v[48:49], v[80:81]
	;; [unrolled: 1-line block ×3, first 2 shown]
	s_waitcnt vmcnt(8)
	v_fma_f64 v[76:77], v[56:57], v[76:77], 0
	s_waitcnt vmcnt(7)
	v_fmac_f64_e32 v[76:77], v[54:55], v[78:79]
	s_waitcnt vmcnt(6)
	v_fmac_f64_e32 v[76:77], v[58:59], v[80:81]
	;; [unrolled: 2-line block ×3, first 2 shown]
	ds_write2_b64 v63, v[84:85], v[76:77] offset1:16
	s_waitcnt lgkmcnt(0)
	s_barrier
	s_and_saveexec_b64 s[34:35], s[6:7]
	s_cbranch_execz .LBB105_16
; %bb.15:                               ;   in Loop: Header=BB105_14 Depth=1
	ds_read2_b64 v[76:79], v1 offset1:32
	ds_read2_b64 v[80:83], v1 offset0:64 offset1:96
	ds_read2_b64 v[84:87], v1 offset0:128 offset1:160
	;; [unrolled: 1-line block ×3, first 2 shown]
	v_lshl_add_u64 v[14:15], v[14:15], 0, s[4:5]
	s_waitcnt lgkmcnt(3)
	v_add_f64 v[76:77], v[76:77], 0
	v_add_f64 v[76:77], v[76:77], v[78:79]
	s_waitcnt lgkmcnt(2)
	v_add_f64 v[76:77], v[76:77], v[80:81]
	v_add_f64 v[76:77], v[76:77], v[82:83]
	;; [unrolled: 3-line block ×4, first 2 shown]
	v_lshl_add_u64 v[78:79], v[16:17], 3, v[14:15]
	v_mul_f64 v[76:77], v[2:3], v[76:77]
	global_atomic_add_f64 v[78:79], v[76:77], off
.LBB105_16:                             ;   in Loop: Header=BB105_14 Depth=1
	s_or_b64 exec, exec, s[34:35]
	s_add_u32 s20, s20, 0x100
	s_addc_u32 s21, s21, 0
	s_add_i32 s33, s33, -1
	s_add_u32 s38, s38, s22
	s_addc_u32 s39, s39, s23
	s_add_u32 s28, s28, s22
	s_addc_u32 s29, s29, s23
	s_add_u32 s34, s38, s37
	v_fmac_f64_e32 v[8:9], v[40:41], v[44:45]
	v_fmac_f64_e32 v[12:13], v[40:41], v[46:47]
	;; [unrolled: 1-line block ×4, first 2 shown]
	s_addc_u32 s35, s39, s36
	v_fmac_f64_e32 v[8:9], v[42:43], v[56:57]
	v_fmac_f64_e32 v[12:13], v[42:43], v[54:55]
	;; [unrolled: 1-line block ×3, first 2 shown]
	s_cmp_eq_u32 s33, 0
	v_fmac_f64_e32 v[4:5], v[42:43], v[52:53]
	s_cbranch_scc1 .LBB105_20
; %bb.17:                               ;   in Loop: Header=BB105_14 Depth=1
	s_waitcnt vmcnt(0)
	v_mov_b64_e32 v[40:41], v[18:19]
	v_mov_b64_e32 v[44:45], v[28:29]
	;; [unrolled: 1-line block ×5, first 2 shown]
	s_branch .LBB105_14
.LBB105_18:
	v_mov_b64_e32 v[14:15], s[30:31]
	v_mov_b64_e32 v[10:11], 0
	;; [unrolled: 1-line block ×5, first 2 shown]
	s_waitcnt vmcnt(0)
	v_mov_b64_e32 v[18:19], v[74:75]
	s_and_b64 vcc, exec, s[26:27]
	s_cbranch_vccnz .LBB105_26
	s_branch .LBB105_33
.LBB105_19:
	s_mov_b64 s[22:23], -1
                                        ; implicit-def: $vgpr20_vgpr21
                                        ; implicit-def: $vgpr26_vgpr27
                                        ; implicit-def: $vgpr24_vgpr25
                                        ; implicit-def: $vgpr28_vgpr29
                                        ; implicit-def: $vgpr4_vgpr5
                                        ; implicit-def: $vgpr10_vgpr11
                                        ; implicit-def: $vgpr12_vgpr13
                                        ; implicit-def: $vgpr8_vgpr9
                                        ; implicit-def: $sgpr34_sgpr35
                                        ; implicit-def: $vgpr14_vgpr15
                                        ; implicit-def: $vgpr18_vgpr19
                                        ; implicit-def: $sgpr20_sgpr21
                                        ; implicit-def: $sgpr8_sgpr9
	s_branch .LBB105_21
.LBB105_20:
	s_mov_b64 s[22:23], 0
.LBB105_21:
	s_and_b64 vcc, exec, s[22:23]
	s_cbranch_vccz .LBB105_23
; %bb.22:
	s_lshl_b64 s[8:9], s[16:17], 3
	v_mov_b64_e32 v[8:9], 0
	v_mov_b64_e32 v[14:15], s[30:31]
	s_mov_b64 s[20:21], s[14:15]
	s_waitcnt vmcnt(0)
	v_mov_b64_e32 v[18:19], v[74:75]
	s_mov_b64 s[34:35], s[18:19]
	v_mov_b64_e32 v[12:13], 0
	v_mov_b64_e32 v[10:11], 0
	;; [unrolled: 1-line block ×7, first 2 shown]
.LBB105_23:
	s_lshl_b64 s[14:15], s[12:13], 3
	s_add_u32 s18, s34, s14
	v_lshl_add_u64 v[22:23], v[6:7], 3, s[20:21]
	s_addc_u32 s19, s35, s15
	v_mad_u64_u32 v[38:39], s[14:15], s16, 24, v[22:23]
	v_mov_b32_e32 v30, v39
	v_mad_u64_u32 v[30:31], s[14:15], s17, 24, v[30:31]
	s_sub_u32 s8, 0, s8
	v_mov_b32_e32 v39, v30
	s_subb_u32 s9, 0, s9
	v_or_b32_e32 v44, 16, v0
	v_lshl_add_u64 v[40:41], v[38:39], 0, s[8:9]
	v_lshl_add_u64 v[42:43], v[40:41], 0, s[8:9]
	global_load_dwordx2 v[30:31], v[38:39], off offset:384
	global_load_dwordx2 v[32:33], v[40:41], off offset:384
	global_load_dwordx2 v[34:35], v[42:43], off offset:384
	global_load_dwordx2 v[36:37], v[22:23], off offset:384
	v_mad_u64_u32 v[22:23], s[8:9], s24, v44, 0
	v_mov_b32_e32 v38, v23
	v_mad_u64_u32 v[38:39], s[8:9], s25, v44, v[38:39]
	v_mov_b32_e32 v23, v38
	v_lshl_add_u64 v[22:23], v[22:23], 3, s[18:19]
	global_load_dwordx2 v[22:23], v[22:23], off
	ds_read_b128 v[38:41], v64
	ds_read_b128 v[42:45], v64 offset:16
	s_waitcnt vmcnt(5)
	v_fmac_f64_e32 v[8:9], v[18:19], v[28:29]
	v_fmac_f64_e32 v[4:5], v[18:19], v[20:21]
	s_add_u32 s14, s20, 0x100
	s_waitcnt lgkmcnt(1)
	v_fma_f64 v[28:29], v[28:29], v[38:39], 0
	v_fmac_f64_e32 v[28:29], v[24:25], v[40:41]
	s_waitcnt lgkmcnt(0)
	v_fmac_f64_e32 v[28:29], v[26:27], v[42:43]
	v_fmac_f64_e32 v[28:29], v[20:21], v[44:45]
	;; [unrolled: 1-line block ×4, first 2 shown]
	s_addc_u32 s15, s21, 0
	s_barrier
	s_waitcnt vmcnt(1)
	v_fma_f64 v[20:21], v[36:37], v[38:39], 0
	v_fmac_f64_e32 v[20:21], v[34:35], v[40:41]
	v_fmac_f64_e32 v[20:21], v[32:33], v[42:43]
	;; [unrolled: 1-line block ×3, first 2 shown]
	ds_write2_b64 v63, v[28:29], v[20:21] offset1:16
	s_waitcnt lgkmcnt(0)
	s_barrier
	s_and_saveexec_b64 s[8:9], s[6:7]
	s_cbranch_execz .LBB105_25
; %bb.24:
	ds_read2_b64 v[24:27], v1 offset1:32
	ds_read2_b64 v[38:41], v1 offset0:64 offset1:96
	ds_read2_b64 v[42:45], v1 offset0:128 offset1:160
	;; [unrolled: 1-line block ×3, first 2 shown]
	v_lshl_add_u64 v[14:15], v[14:15], 0, s[4:5]
	s_waitcnt lgkmcnt(3)
	v_add_f64 v[20:21], v[24:25], 0
	v_add_f64 v[20:21], v[20:21], v[26:27]
	s_waitcnt lgkmcnt(2)
	v_add_f64 v[20:21], v[20:21], v[38:39]
	v_add_f64 v[20:21], v[20:21], v[40:41]
	;; [unrolled: 3-line block ×4, first 2 shown]
	v_lshl_add_u64 v[16:17], v[16:17], 3, v[14:15]
	v_mul_f64 v[20:21], v[2:3], v[20:21]
	global_atomic_add_f64 v[16:17], v[20:21], off
.LBB105_25:
	s_or_b64 exec, exec, s[8:9]
	s_waitcnt vmcnt(0)
	v_fmac_f64_e32 v[8:9], v[22:23], v[36:37]
	v_fmac_f64_e32 v[12:13], v[22:23], v[34:35]
	;; [unrolled: 1-line block ×4, first 2 shown]
	s_and_b64 vcc, exec, s[26:27]
	s_cbranch_vccz .LBB105_33
.LBB105_26:
	s_load_dword s8, s[0:1], 0x78
	s_lshl_b64 s[0:1], s[12:13], 3
	s_add_u32 s0, s18, s0
	s_addc_u32 s1, s19, s1
	v_mov_b64_e32 v[16:17], 0
	s_waitcnt lgkmcnt(0)
	v_cmp_gt_i32_e32 vcc, s8, v0
	v_mov_b64_e32 v[26:27], 0
	v_mov_b64_e32 v[28:29], 0
	;; [unrolled: 1-line block ×4, first 2 shown]
	s_and_saveexec_b64 s[4:5], vcc
	s_cbranch_execz .LBB105_28
; %bb.27:
	v_lshl_add_u64 v[18:19], v[6:7], 3, s[14:15]
	v_lshl_add_u64 v[20:21], s[16:17], 3, v[18:19]
	v_lshl_add_u64 v[24:25], s[16:17], 4, v[18:19]
	global_load_dwordx2 v[26:27], v[18:19], off offset:256
	global_load_dwordx2 v[28:29], v[20:21], off offset:256
	;; [unrolled: 1-line block ×3, first 2 shown]
	v_mad_u64_u32 v[18:19], s[12:13], s16, 24, v[18:19]
	v_mov_b32_e32 v20, v19
	v_mad_u64_u32 v[20:21], s[12:13], s17, 24, v[20:21]
	v_mov_b32_e32 v19, v20
	global_load_dwordx2 v[34:35], v[18:19], off offset:256
	v_mad_u64_u32 v[18:19], s[12:13], s24, v0, 0
	v_mov_b32_e32 v20, v19
	v_mad_u64_u32 v[20:21], s[12:13], s25, v0, v[20:21]
	v_mov_b32_e32 v19, v20
	v_lshl_add_u64 v[18:19], v[18:19], 3, s[0:1]
	global_load_dwordx2 v[18:19], v[18:19], off
.LBB105_28:
	s_or_b64 exec, exec, s[4:5]
	v_or_b32_e32 v1, 16, v0
	v_cmp_gt_i32_e32 vcc, s8, v1
	v_mov_b64_e32 v[20:21], 0
	v_mov_b64_e32 v[24:25], 0
	;; [unrolled: 1-line block ×3, first 2 shown]
	s_and_saveexec_b64 s[4:5], vcc
	s_cbranch_execz .LBB105_30
; %bb.29:
	v_lshl_add_u64 v[6:7], v[6:7], 3, s[14:15]
	v_lshl_add_u64 v[22:23], s[16:17], 3, v[6:7]
	v_lshl_add_u64 v[32:33], s[16:17], 4, v[6:7]
	global_load_dwordx2 v[16:17], v[6:7], off offset:384
	global_load_dwordx2 v[20:21], v[22:23], off offset:384
	;; [unrolled: 1-line block ×3, first 2 shown]
	v_mad_u64_u32 v[6:7], s[12:13], s16, 24, v[6:7]
	v_mov_b32_e32 v22, v7
	v_mad_u64_u32 v[22:23], s[12:13], s17, 24, v[22:23]
	v_mov_b32_e32 v7, v22
	global_load_dwordx2 v[32:33], v[6:7], off offset:384
	v_mad_u64_u32 v[6:7], s[12:13], s24, v1, 0
	v_mov_b32_e32 v22, v7
	v_mad_u64_u32 v[22:23], s[12:13], s25, v1, v[22:23]
	v_mov_b32_e32 v7, v22
	v_lshl_add_u64 v[6:7], v[6:7], 3, s[0:1]
	global_load_dwordx2 v[22:23], v[6:7], off
.LBB105_30:
	s_or_b64 exec, exec, s[4:5]
	v_lshlrev_b32_e32 v1, 3, v62
	ds_read_b128 v[36:39], v1 offset:6144
	ds_read_b128 v[40:43], v1 offset:6160
	s_waitcnt vmcnt(0)
	v_fmac_f64_e32 v[8:9], v[18:19], v[26:27]
	v_fmac_f64_e32 v[12:13], v[18:19], v[28:29]
	;; [unrolled: 1-line block ×4, first 2 shown]
	s_waitcnt lgkmcnt(1)
	v_fma_f64 v[6:7], v[16:17], v[36:37], 0
	v_fma_f64 v[18:19], v[26:27], v[36:37], 0
	v_fmac_f64_e32 v[6:7], v[20:21], v[38:39]
	v_fmac_f64_e32 v[18:19], v[28:29], v[38:39]
	v_lshlrev_b32_e32 v1, 3, v0
	s_waitcnt lgkmcnt(0)
	v_fmac_f64_e32 v[6:7], v[24:25], v[40:41]
	v_fmac_f64_e32 v[18:19], v[30:31], v[40:41]
	v_lshl_or_b32 v1, v61, 8, v1
	v_cmp_gt_i32_e32 vcc, s8, v60
	v_fmac_f64_e32 v[6:7], v[32:33], v[42:43]
	v_fmac_f64_e32 v[18:19], v[34:35], v[42:43]
	v_add_u32_e32 v1, 0x1000, v1
	s_and_b64 s[4:5], s[6:7], vcc
	s_barrier
	ds_write2_b64 v1, v[18:19], v[6:7] offset1:16
	s_waitcnt lgkmcnt(0)
	s_barrier
	s_and_saveexec_b64 s[0:1], s[4:5]
	s_cbranch_execz .LBB105_32
; %bb.31:
	v_lshlrev_b32_e32 v1, 3, v60
	v_add_u32_e32 v1, 0x1000, v1
	ds_read2_b64 v[26:29], v1 offset1:32
	ds_read2_b64 v[34:37], v1 offset0:64 offset1:96
	ds_read2_b64 v[38:41], v1 offset0:128 offset1:160
	s_lshl_b64 s[4:5], s[10:11], 8
	v_lshl_add_u64 v[6:7], v[14:15], 0, s[4:5]
	v_mad_u64_u32 v[18:19], s[4:5], s10, v60, 0
	s_waitcnt lgkmcnt(2)
	v_add_f64 v[14:15], v[26:27], 0
	v_add_f64 v[14:15], v[14:15], v[28:29]
	ds_read2_b64 v[26:29], v1 offset0:192 offset1:224
	s_waitcnt lgkmcnt(2)
	v_add_f64 v[14:15], v[14:15], v[34:35]
	v_add_f64 v[14:15], v[14:15], v[36:37]
	s_waitcnt lgkmcnt(1)
	v_add_f64 v[14:15], v[14:15], v[38:39]
	v_add_f64 v[14:15], v[14:15], v[40:41]
	s_waitcnt lgkmcnt(0)
	v_add_f64 v[14:15], v[14:15], v[26:27]
	v_mov_b32_e32 v26, v19
	v_mad_u64_u32 v[26:27], s[4:5], s11, v60, v[26:27]
	v_add_f64 v[14:15], v[14:15], v[28:29]
	v_mov_b32_e32 v19, v26
	v_lshl_add_u64 v[6:7], v[18:19], 3, v[6:7]
	v_mul_f64 v[14:15], v[2:3], v[14:15]
	global_atomic_add_f64 v[6:7], v[14:15], off
.LBB105_32:
	s_or_b64 exec, exec, s[0:1]
	v_fmac_f64_e32 v[8:9], v[22:23], v[16:17]
	v_fmac_f64_e32 v[12:13], v[22:23], v[20:21]
	;; [unrolled: 1-line block ×4, first 2 shown]
.LBB105_33:
	v_lshlrev_b32_e32 v1, 9, v61
	v_lshl_or_b32 v1, v0, 3, v1
	ds_write2_b64 v1, v[8:9], v[12:13] offset1:16
	ds_write2_b64 v1, v[10:11], v[4:5] offset0:32 offset1:48
	s_waitcnt lgkmcnt(0)
	s_barrier
	s_and_b64 exec, exec, s[6:7]
	s_cbranch_execz .LBB105_35
; %bb.34:
	v_add_u32_e32 v4, 1, v60
	v_lshlrev_b32_e32 v16, 7, v60
	v_and_b32_e32 v4, 15, v4
	v_lshl_or_b32 v6, v4, 3, v16
	v_add_u32_e32 v4, 2, v60
	v_and_b32_e32 v4, 15, v4
	v_lshl_or_b32 v1, v0, 3, v16
	v_lshl_or_b32 v8, v4, 3, v16
	ds_read_b64 v[4:5], v1
	ds_read_b64 v[6:7], v6
	;; [unrolled: 1-line block ×3, first 2 shown]
	v_add_u32_e32 v1, 3, v60
	v_and_b32_e32 v1, 15, v1
	s_waitcnt lgkmcnt(2)
	v_add_f64 v[4:5], v[4:5], 0
	s_waitcnt lgkmcnt(1)
	v_add_f64 v[4:5], v[4:5], v[6:7]
	v_add_u32_e32 v6, 5, v60
	v_and_b32_e32 v6, 15, v6
	v_lshl_or_b32 v1, v1, 3, v16
	s_waitcnt lgkmcnt(0)
	v_add_f64 v[4:5], v[4:5], v[8:9]
	v_lshl_or_b32 v8, v6, 3, v16
	v_add_u32_e32 v6, 6, v60
	ds_read_b64 v[10:11], v1
	v_and_b32_e32 v6, 15, v6
	v_add_u32_e32 v1, 4, v60
	v_lshl_or_b32 v12, v6, 3, v16
	v_add_u32_e32 v6, 7, v60
	v_and_b32_e32 v1, 15, v1
	v_and_b32_e32 v6, 15, v6
	v_lshl_or_b32 v1, v1, 3, v16
	v_lshl_or_b32 v14, v6, 3, v16
	ds_read_b64 v[6:7], v1
	ds_read_b64 v[8:9], v8
	;; [unrolled: 1-line block ×4, first 2 shown]
	v_add_u32_e32 v1, 9, v60
	s_waitcnt lgkmcnt(4)
	v_add_f64 v[4:5], v[4:5], v[10:11]
	v_and_b32_e32 v1, 15, v1
	s_waitcnt lgkmcnt(3)
	v_add_f64 v[4:5], v[4:5], v[6:7]
	v_lshl_or_b32 v6, v1, 3, v16
	v_add_u32_e32 v1, 10, v60
	v_xor_b32_e32 v0, 8, v0
	v_and_b32_e32 v1, 15, v1
	s_waitcnt lgkmcnt(2)
	v_add_f64 v[4:5], v[4:5], v[8:9]
	v_lshl_or_b32 v0, v0, 3, v16
	v_lshl_or_b32 v8, v1, 3, v16
	ds_read_b64 v[0:1], v0
	ds_read_b64 v[6:7], v6
	;; [unrolled: 1-line block ×3, first 2 shown]
	s_waitcnt lgkmcnt(4)
	v_add_f64 v[4:5], v[4:5], v[12:13]
	s_waitcnt lgkmcnt(3)
	v_add_f64 v[4:5], v[4:5], v[14:15]
	v_add_u32_e32 v10, 11, v60
	s_waitcnt lgkmcnt(2)
	v_add_f64 v[0:1], v[4:5], v[0:1]
	v_add_u32_e32 v5, 13, v60
	v_and_b32_e32 v10, 15, v10
	v_and_b32_e32 v5, 15, v5
	v_lshl_or_b32 v10, v10, 3, v16
	s_waitcnt lgkmcnt(1)
	v_add_f64 v[0:1], v[0:1], v[6:7]
	v_lshl_or_b32 v6, v5, 3, v16
	v_add_u32_e32 v5, 14, v60
	ds_read_b64 v[10:11], v10
	v_and_b32_e32 v5, 15, v5
	s_waitcnt lgkmcnt(1)
	v_add_f64 v[0:1], v[0:1], v[8:9]
	v_add_u32_e32 v4, 12, v60
	v_lshl_or_b32 v8, v5, 3, v16
	v_add_u32_e32 v5, -1, v60
	v_and_b32_e32 v4, 15, v4
	v_and_b32_e32 v5, 15, v5
	v_lshl_or_b32 v4, v4, 3, v16
	v_lshl_or_b32 v12, v5, 3, v16
	ds_read_b64 v[4:5], v4
	ds_read_b64 v[6:7], v6
	;; [unrolled: 1-line block ×4, first 2 shown]
	s_waitcnt lgkmcnt(4)
	v_add_f64 v[0:1], v[0:1], v[10:11]
	s_waitcnt lgkmcnt(3)
	v_add_f64 v[0:1], v[0:1], v[4:5]
	v_mad_u64_u32 v[4:5], s[0:1], s10, v60, 0
	s_waitcnt lgkmcnt(2)
	v_add_f64 v[0:1], v[0:1], v[6:7]
	v_mov_b32_e32 v6, v5
	s_waitcnt lgkmcnt(1)
	v_add_f64 v[0:1], v[0:1], v[8:9]
	v_mad_u64_u32 v[6:7], s[0:1], s11, v60, v[6:7]
	s_waitcnt lgkmcnt(0)
	v_add_f64 v[0:1], v[0:1], v[12:13]
	v_mov_b32_e32 v5, v6
	v_lshl_add_u64 v[4:5], v[4:5], 3, s[2:3]
	v_mul_f64 v[0:1], v[2:3], v[0:1]
	global_atomic_add_f64 v[4:5], v[0:1], off
.LBB105_35:
	s_endpgm
	.section	.rodata,"a",@progbits
	.p2align	6, 0x0
	.amdhsa_kernel _ZL62rocblas_symv_kernel_lower_double_buffered_non_diagonal_genericILi32ELi4ELi4E24rocblas_internal_val_ptrIdEPKdPdEvbiT2_lT3_lllS6_lllT4_lllii
		.amdhsa_group_segment_fixed_size 6400
		.amdhsa_private_segment_fixed_size 0
		.amdhsa_kernarg_size 384
		.amdhsa_user_sgpr_count 2
		.amdhsa_user_sgpr_dispatch_ptr 0
		.amdhsa_user_sgpr_queue_ptr 0
		.amdhsa_user_sgpr_kernarg_segment_ptr 1
		.amdhsa_user_sgpr_dispatch_id 0
		.amdhsa_user_sgpr_kernarg_preload_length 0
		.amdhsa_user_sgpr_kernarg_preload_offset 0
		.amdhsa_user_sgpr_private_segment_size 0
		.amdhsa_uses_dynamic_stack 0
		.amdhsa_enable_private_segment 0
		.amdhsa_system_sgpr_workgroup_id_x 1
		.amdhsa_system_sgpr_workgroup_id_y 1
		.amdhsa_system_sgpr_workgroup_id_z 1
		.amdhsa_system_sgpr_workgroup_info 0
		.amdhsa_system_vgpr_workitem_id 1
		.amdhsa_next_free_vgpr 92
		.amdhsa_next_free_sgpr 42
		.amdhsa_accum_offset 92
		.amdhsa_reserve_vcc 1
		.amdhsa_float_round_mode_32 0
		.amdhsa_float_round_mode_16_64 0
		.amdhsa_float_denorm_mode_32 3
		.amdhsa_float_denorm_mode_16_64 3
		.amdhsa_dx10_clamp 1
		.amdhsa_ieee_mode 1
		.amdhsa_fp16_overflow 0
		.amdhsa_tg_split 0
		.amdhsa_exception_fp_ieee_invalid_op 0
		.amdhsa_exception_fp_denorm_src 0
		.amdhsa_exception_fp_ieee_div_zero 0
		.amdhsa_exception_fp_ieee_overflow 0
		.amdhsa_exception_fp_ieee_underflow 0
		.amdhsa_exception_fp_ieee_inexact 0
		.amdhsa_exception_int_div_zero 0
	.end_amdhsa_kernel
	.section	.text._ZL62rocblas_symv_kernel_lower_double_buffered_non_diagonal_genericILi32ELi4ELi4E24rocblas_internal_val_ptrIdEPKdPdEvbiT2_lT3_lllS6_lllT4_lllii,"axG",@progbits,_ZL62rocblas_symv_kernel_lower_double_buffered_non_diagonal_genericILi32ELi4ELi4E24rocblas_internal_val_ptrIdEPKdPdEvbiT2_lT3_lllS6_lllT4_lllii,comdat
.Lfunc_end105:
	.size	_ZL62rocblas_symv_kernel_lower_double_buffered_non_diagonal_genericILi32ELi4ELi4E24rocblas_internal_val_ptrIdEPKdPdEvbiT2_lT3_lllS6_lllT4_lllii, .Lfunc_end105-_ZL62rocblas_symv_kernel_lower_double_buffered_non_diagonal_genericILi32ELi4ELi4E24rocblas_internal_val_ptrIdEPKdPdEvbiT2_lT3_lllS6_lllT4_lllii
                                        ; -- End function
	.set _ZL62rocblas_symv_kernel_lower_double_buffered_non_diagonal_genericILi32ELi4ELi4E24rocblas_internal_val_ptrIdEPKdPdEvbiT2_lT3_lllS6_lllT4_lllii.num_vgpr, 92
	.set _ZL62rocblas_symv_kernel_lower_double_buffered_non_diagonal_genericILi32ELi4ELi4E24rocblas_internal_val_ptrIdEPKdPdEvbiT2_lT3_lllS6_lllT4_lllii.num_agpr, 0
	.set _ZL62rocblas_symv_kernel_lower_double_buffered_non_diagonal_genericILi32ELi4ELi4E24rocblas_internal_val_ptrIdEPKdPdEvbiT2_lT3_lllS6_lllT4_lllii.numbered_sgpr, 42
	.set _ZL62rocblas_symv_kernel_lower_double_buffered_non_diagonal_genericILi32ELi4ELi4E24rocblas_internal_val_ptrIdEPKdPdEvbiT2_lT3_lllS6_lllT4_lllii.num_named_barrier, 0
	.set _ZL62rocblas_symv_kernel_lower_double_buffered_non_diagonal_genericILi32ELi4ELi4E24rocblas_internal_val_ptrIdEPKdPdEvbiT2_lT3_lllS6_lllT4_lllii.private_seg_size, 0
	.set _ZL62rocblas_symv_kernel_lower_double_buffered_non_diagonal_genericILi32ELi4ELi4E24rocblas_internal_val_ptrIdEPKdPdEvbiT2_lT3_lllS6_lllT4_lllii.uses_vcc, 1
	.set _ZL62rocblas_symv_kernel_lower_double_buffered_non_diagonal_genericILi32ELi4ELi4E24rocblas_internal_val_ptrIdEPKdPdEvbiT2_lT3_lllS6_lllT4_lllii.uses_flat_scratch, 0
	.set _ZL62rocblas_symv_kernel_lower_double_buffered_non_diagonal_genericILi32ELi4ELi4E24rocblas_internal_val_ptrIdEPKdPdEvbiT2_lT3_lllS6_lllT4_lllii.has_dyn_sized_stack, 0
	.set _ZL62rocblas_symv_kernel_lower_double_buffered_non_diagonal_genericILi32ELi4ELi4E24rocblas_internal_val_ptrIdEPKdPdEvbiT2_lT3_lllS6_lllT4_lllii.has_recursion, 0
	.set _ZL62rocblas_symv_kernel_lower_double_buffered_non_diagonal_genericILi32ELi4ELi4E24rocblas_internal_val_ptrIdEPKdPdEvbiT2_lT3_lllS6_lllT4_lllii.has_indirect_call, 0
	.section	.AMDGPU.csdata,"",@progbits
; Kernel info:
; codeLenInByte = 3832
; TotalNumSgprs: 48
; NumVgprs: 92
; NumAgprs: 0
; TotalNumVgprs: 92
; ScratchSize: 0
; MemoryBound: 0
; FloatMode: 240
; IeeeMode: 1
; LDSByteSize: 6400 bytes/workgroup (compile time only)
; SGPRBlocks: 5
; VGPRBlocks: 11
; NumSGPRsForWavesPerEU: 48
; NumVGPRsForWavesPerEU: 92
; AccumOffset: 92
; Occupancy: 5
; WaveLimiterHint : 0
; COMPUTE_PGM_RSRC2:SCRATCH_EN: 0
; COMPUTE_PGM_RSRC2:USER_SGPR: 2
; COMPUTE_PGM_RSRC2:TRAP_HANDLER: 0
; COMPUTE_PGM_RSRC2:TGID_X_EN: 1
; COMPUTE_PGM_RSRC2:TGID_Y_EN: 1
; COMPUTE_PGM_RSRC2:TGID_Z_EN: 1
; COMPUTE_PGM_RSRC2:TIDIG_COMP_CNT: 1
; COMPUTE_PGM_RSRC3_GFX90A:ACCUM_OFFSET: 22
; COMPUTE_PGM_RSRC3_GFX90A:TG_SPLIT: 0
	.section	.text._ZL26rocblas_hemvn_kernel_lowerILb0ELi64ELi4ELi33ELi32ELi16ElPKdS1_PdEviT6_lT7_lT5_lS4_lS5_lS3_lT8_i,"axG",@progbits,_ZL26rocblas_hemvn_kernel_lowerILb0ELi64ELi4ELi33ELi32ELi16ElPKdS1_PdEviT6_lT7_lT5_lS4_lS5_lS3_lT8_i,comdat
	.globl	_ZL26rocblas_hemvn_kernel_lowerILb0ELi64ELi4ELi33ELi32ELi16ElPKdS1_PdEviT6_lT7_lT5_lS4_lS5_lS3_lT8_i ; -- Begin function _ZL26rocblas_hemvn_kernel_lowerILb0ELi64ELi4ELi33ELi32ELi16ElPKdS1_PdEviT6_lT7_lT5_lS4_lS5_lS3_lT8_i
	.p2align	8
	.type	_ZL26rocblas_hemvn_kernel_lowerILb0ELi64ELi4ELi33ELi32ELi16ElPKdS1_PdEviT6_lT7_lT5_lS4_lS5_lS3_lT8_i,@function
_ZL26rocblas_hemvn_kernel_lowerILb0ELi64ELi4ELi33ELi32ELi16ElPKdS1_PdEviT6_lT7_lT5_lS4_lS5_lS3_lT8_i: ; @_ZL26rocblas_hemvn_kernel_lowerILb0ELi64ELi4ELi33ELi32ELi16ElPKdS1_PdEviT6_lT7_lT5_lS4_lS5_lS3_lT8_i
; %bb.0:
	s_load_dwordx2 s[6:7], s[0:1], 0x84
	s_add_u32 s4, s0, 0x78
	s_addc_u32 s5, s1, 0
	s_waitcnt lgkmcnt(0)
	s_lshr_b32 s8, s6, 16
	s_and_b32 s6, s6, 0xffff
	s_and_b32 s7, s7, 0xffff
	s_mul_i32 s6, s8, s6
	s_mul_i32 s6, s6, s7
	s_cmpk_lg_i32 s6, 0x100
	s_cbranch_scc1 .LBB106_78
; %bb.1:
	s_load_dwordx16 s[16:31], s[0:1], 0x8
	s_load_dwordx8 s[36:43], s[0:1], 0x48
	s_waitcnt lgkmcnt(0)
	s_mul_i32 s7, s19, s3
	s_mul_hi_u32 s8, s18, s3
	s_mul_i32 s6, s18, s3
	s_add_i32 s7, s8, s7
	s_lshl_b64 s[6:7], s[6:7], 3
	s_mul_i32 s9, s43, s3
	s_add_u32 s6, s16, s6
	s_mul_hi_u32 s8, s42, s3
	s_addc_u32 s7, s17, s7
	s_add_i32 s9, s8, s9
	s_mul_i32 s8, s42, s3
	s_lshl_b64 s[8:9], s[8:9], 3
	s_add_u32 s8, s40, s8
	s_addc_u32 s9, s41, s9
	s_load_dwordx2 s[6:7], s[6:7], 0x0
	s_waitcnt lgkmcnt(0)
	v_cmp_eq_f64_e64 s[6:7], s[6:7], 0
	s_load_dwordx2 s[8:9], s[8:9], 0x0
	s_waitcnt lgkmcnt(0)
	v_cmp_eq_f64_e64 s[8:9], s[8:9], 1.0
	s_and_b64 s[8:9], s[6:7], s[8:9]
	s_and_b64 vcc, exec, s[8:9]
	s_cbranch_vccnz .LBB106_78
; %bb.2:
	s_and_b64 vcc, exec, s[6:7]
	s_cbranch_vccnz .LBB106_78
; %bb.3:
	s_load_dword s40, s[4:5], 0x0
	s_load_dwordx2 s[34:35], s[0:1], 0x68
	s_load_dword s33, s[0:1], 0x0
	s_mul_i32 s0, s39, s3
	s_mul_hi_u32 s1, s38, s3
	s_add_i32 s1, s1, s0
	s_mul_i32 s0, s38, s3
	s_lshl_b64 s[0:1], s[0:1], 3
	s_add_u32 s4, s28, s0
	s_addc_u32 s5, s29, s1
	s_lshl_b64 s[0:1], s[30:31], 3
	s_add_u32 s0, s4, s0
	s_addc_u32 s1, s5, s1
	s_waitcnt lgkmcnt(0)
	s_ashr_i32 s41, s33, 31
	s_lshr_b32 s5, s41, 26
	s_add_i32 s5, s33, s5
	v_and_b32_e32 v77, 0x3ff, v0
	s_lshl_b32 s30, s2, 6
	s_andn2_b32 s5, s5, 63
	s_add_i32 s4, s40, -1
	s_sub_i32 s5, s33, s5
	v_add_u32_e32 v32, s30, v77
	s_cmp_eq_u32 s2, s4
	v_ashrrev_i32_e32 v33, 31, v32
	v_bfe_u32 v76, v0, 10, 10
	s_cselect_b32 s28, s5, 0
	v_mul_lo_u32 v2, s36, v33
	v_mul_lo_u32 v3, s37, v32
	v_mad_u64_u32 v[0:1], s[4:5], s36, v32, 0
	v_add3_u32 v1, v1, v2, v3
	v_lshl_add_u64 v[16:17], v[0:1], 3, s[0:1]
	v_cmp_ne_u32_e64 s[0:1], 0, v76
	v_cmp_eq_u32_e64 s[16:17], 0, v76
	s_and_saveexec_b64 s[4:5], s[16:17]
	s_cbranch_execz .LBB106_7
; %bb.4:
	s_cmp_eq_u32 s28, 0
	s_cselect_b64 s[6:7], -1, 0
	v_cmp_gt_i32_e32 vcc, s28, v77
	s_or_b64 s[8:9], s[6:7], vcc
	v_mov_b64_e32 v[0:1], 0
	s_and_saveexec_b64 s[6:7], s[8:9]
	s_cbranch_execz .LBB106_6
; %bb.5:
	global_load_dwordx2 v[0:1], v[16:17], off
.LBB106_6:
	s_or_b64 exec, exec, s[6:7]
	v_lshlrev_b32_e32 v2, 3, v77
	s_waitcnt vmcnt(0)
	ds_write_b64 v2, v[0:1] offset:9088
.LBB106_7:
	s_or_b64 exec, exec, s[4:5]
	s_mul_i32 s4, s27, s3
	s_mul_hi_u32 s5, s26, s3
	s_add_i32 s5, s5, s4
	s_mul_i32 s4, s26, s3
	s_lshl_b64 s[4:5], s[4:5], 3
	s_add_u32 s6, s20, s4
	s_addc_u32 s7, s21, s5
	s_lshl_b64 s[4:5], s[22:23], 3
	s_add_u32 s6, s6, s4
	s_addc_u32 s7, s7, s5
	s_ashr_i32 s31, s30, 31
	v_lshl_add_u32 v22, v76, 6, v77
	s_lshl_b64 s[4:5], s[30:31], 3
	v_and_b32_e32 v0, 31, v77
	v_lshrrev_b32_e32 v8, 5, v22
	s_add_u32 s4, s6, s4
	v_mov_b32_e32 v1, 0
	s_addc_u32 s5, s7, s5
	v_mad_u64_u32 v[18:19], s[6:7], s24, v8, v[0:1]
	v_mov_b32_e32 v2, v19
	v_mad_u64_u32 v[2:3], s[6:7], s25, v8, v[2:3]
	v_mov_b32_e32 v19, v2
	v_lshl_add_u64 v[2:3], v[18:19], 3, s[4:5]
	s_mul_hi_u32 s4, s24, s30
	s_mul_i32 s5, s24, s31
	s_add_i32 s4, s4, s5
	s_mul_i32 s5, s25, s30
	s_add_i32 s23, s4, s5
	s_cmp_lg_u32 s28, 0
	s_mul_i32 s22, s24, s30
	s_cselect_b64 s[26:27], -1, 0
	s_cmp_eq_u32 s28, 0
	v_lshl_add_u64 v[2:3], s[22:23], 3, v[2:3]
	s_cselect_b64 s[18:19], -1, 0
	s_mov_b64 s[4:5], -1
	s_and_b64 vcc, exec, s[26:27]
	s_cbranch_vccnz .LBB106_9
; %bb.8:
	s_lshl_b64 s[4:5], s[24:25], 6
	v_lshl_add_u64 v[4:5], v[2:3], 0, s[4:5]
	v_lshl_add_u64 v[6:7], v[4:5], 0, s[4:5]
	;; [unrolled: 1-line block ×3, first 2 shown]
	global_load_dwordx2 v[12:13], v[2:3], off
	global_load_dwordx2 v[14:15], v[4:5], off
	;; [unrolled: 1-line block ×4, first 2 shown]
	v_mul_u32_u24_e32 v1, 0x108, v8
	v_lshl_add_u32 v1, v0, 3, v1
	s_mov_b64 s[4:5], 0
	s_waitcnt vmcnt(3)
	ds_write_b64 v1, v[12:13]
	s_waitcnt vmcnt(2)
	ds_write_b64 v1, v[14:15] offset:2112
	s_waitcnt vmcnt(1)
	ds_write_b64 v1, v[20:21] offset:4224
	;; [unrolled: 2-line block ×3, first 2 shown]
.LBB106_9:
	s_andn2_b64 vcc, exec, s[4:5]
	s_cbranch_vccnz .LBB106_19
; %bb.10:
	v_lshlrev_b32_e32 v4, 3, v0
	v_sub_co_u32_e32 v6, vcc, v2, v4
	s_ashr_i32 s29, s28, 31
	s_nop 0
	v_subbrev_co_u32_e32 v7, vcc, 0, v3, vcc
	v_lshl_add_u64 v[6:7], s[28:29], 3, v[6:7]
	v_lshl_add_u64 v[6:7], v[6:7], 0, -8
	v_cmp_gt_i32_e32 vcc, s28, v0
	v_cmp_gt_i32_e64 s[4:5], s28, v8
	v_mov_b64_e32 v[10:11], 0
	v_cndmask_b32_e32 v7, v7, v3, vcc
	v_cndmask_b32_e32 v6, v6, v2, vcc
	v_mov_b64_e32 v[12:13], 0
	s_and_saveexec_b64 s[6:7], s[4:5]
	s_cbranch_execz .LBB106_12
; %bb.11:
	global_load_dwordx2 v[12:13], v[6:7], off
.LBB106_12:
	s_or_b64 exec, exec, s[6:7]
	v_lshlrev_b32_e32 v1, 3, v0
	s_movk_i32 s4, 0x108
	v_mad_u32_u24 v9, v8, s4, v1
	s_waitcnt vmcnt(0)
	ds_write_b64 v9, v[12:13]
	v_add_u32_e32 v9, 8, v8
	v_mul_u32_u24_e32 v5, 0x108, v8
	v_cmp_gt_i32_e64 s[4:5], s28, v9
	s_and_saveexec_b64 s[6:7], s[4:5]
	s_cbranch_execz .LBB106_14
; %bb.13:
	s_lshl_b64 s[4:5], s[24:25], 6
	v_lshl_add_u64 v[10:11], v[6:7], 0, s[4:5]
	global_load_dwordx2 v[10:11], v[10:11], off
.LBB106_14:
	s_or_b64 exec, exec, s[6:7]
	v_add_u32_e32 v1, v5, v1
	v_add_u32_e32 v5, 16, v8
	s_waitcnt vmcnt(0)
	ds_write_b64 v1, v[10:11] offset:2112
	v_cmp_gt_i32_e64 s[4:5], s28, v5
	v_mov_b64_e32 v[10:11], 0
	v_mov_b64_e32 v[12:13], 0
	s_and_saveexec_b64 s[6:7], s[4:5]
	s_cbranch_execz .LBB106_16
; %bb.15:
	s_lshl_b64 s[4:5], s[24:25], 7
	v_lshl_add_u64 v[12:13], v[6:7], 0, s[4:5]
	global_load_dwordx2 v[12:13], v[12:13], off
.LBB106_16:
	s_or_b64 exec, exec, s[6:7]
	v_add_u32_e32 v5, 24, v8
	v_cmp_gt_i32_e64 s[4:5], s28, v5
	s_waitcnt vmcnt(0)
	ds_write_b64 v1, v[12:13] offset:4224
	s_and_saveexec_b64 s[6:7], s[4:5]
	s_cbranch_execz .LBB106_18
; %bb.17:
	v_mov_b32_e32 v5, 0xc0
	v_mad_u64_u32 v[10:11], s[4:5], s24, v5, v[6:7]
	s_mul_i32 s4, s25, 0xc0
	s_nop 0
	v_add_u32_e32 v11, s4, v11
	global_load_dwordx2 v[10:11], v[10:11], off
.LBB106_18:
	s_or_b64 exec, exec, s[6:7]
	v_mov_b32_e32 v5, 0
	v_lshl_add_u64 v[4:5], v[6:7], 0, v[4:5]
	s_lshl_b64 s[4:5], s[28:29], 3
	s_waitcnt vmcnt(0)
	ds_write_b64 v1, v[10:11] offset:6336
	v_mov_b32_e32 v1, s5
	v_subrev_co_u32_e64 v4, s[4:5], s4, v4
	s_nop 1
	v_subb_co_u32_e64 v5, s[4:5], v5, v1, s[4:5]
	v_lshl_add_u64 v[4:5], v[4:5], 0, 8
	v_cndmask_b32_e32 v3, v5, v3, vcc
	v_cndmask_b32_e32 v2, v4, v2, vcc
.LBB106_19:
	v_lshlrev_b32_e32 v9, 2, v8
	v_lshlrev_b32_e32 v10, 3, v0
	v_lshl_or_b32 v4, v0, 8, v10
	v_cmp_lt_u32_e64 s[6:7], v9, v0
	s_waitcnt lgkmcnt(0)
	s_barrier
	s_and_saveexec_b64 s[4:5], s[6:7]
	s_cbranch_execz .LBB106_21
; %bb.20:
	s_movk_i32 s8, 0x420
	v_mad_u32_u24 v1, v8, s8, v10
	ds_read_b64 v[6:7], v1
	v_lshl_add_u32 v1, v9, 3, v4
	s_waitcnt lgkmcnt(0)
	ds_write_b64 v1, v[6:7]
.LBB106_21:
	s_or_b64 exec, exec, s[4:5]
	v_or_b32_e32 v1, 1, v9
	v_cmp_lt_u32_e64 s[8:9], v1, v0
	s_and_saveexec_b64 s[4:5], s[8:9]
	s_cbranch_execz .LBB106_23
; %bb.22:
	s_movk_i32 s10, 0x108
	v_mad_u32_u24 v5, v1, s10, v10
	ds_read_b64 v[6:7], v5
	v_lshl_add_u32 v5, v9, 3, v4
	s_waitcnt lgkmcnt(0)
	ds_write_b64 v5, v[6:7] offset:8
.LBB106_23:
	s_or_b64 exec, exec, s[4:5]
	v_or_b32_e32 v5, 2, v9
	v_cmp_lt_u32_e64 s[10:11], v5, v0
	s_and_saveexec_b64 s[4:5], s[10:11]
	s_cbranch_execz .LBB106_25
; %bb.24:
	s_movk_i32 s12, 0x108
	v_mad_u32_u24 v5, v5, s12, v10
	ds_read_b64 v[6:7], v5
	v_lshl_add_u32 v5, v9, 3, v4
	s_waitcnt lgkmcnt(0)
	ds_write_b64 v5, v[6:7] offset:16
.LBB106_25:
	s_or_b64 exec, exec, s[4:5]
	v_or_b32_e32 v6, 3, v9
	v_cmp_lt_u32_e64 s[12:13], v6, v0
	v_cmp_ge_u32_e32 vcc, v6, v0
                                        ; implicit-def: $vgpr5
	s_and_saveexec_b64 s[4:5], vcc
	s_xor_b64 s[4:5], exec, s[4:5]
; %bb.26:
	v_mul_u32_u24_e32 v5, 0x108, v6
                                        ; implicit-def: $vgpr4
                                        ; implicit-def: $vgpr6
; %bb.27:
	s_andn2_saveexec_b64 s[4:5], s[4:5]
	s_cbranch_execz .LBB106_29
; %bb.28:
	s_movk_i32 s14, 0x108
	v_mad_u32_u24 v5, v6, s14, v10
	ds_read_b64 v[12:13], v5
	v_lshl_add_u32 v4, v9, 3, v4
	v_mul_u32_u24_e32 v5, 0x108, v6
	s_waitcnt lgkmcnt(0)
	ds_write_b64 v4, v[12:13] offset:24
.LBB106_29:
	s_or_b64 exec, exec, s[4:5]
	s_movk_i32 s4, 0x420
	v_mad_u32_u24 v4, v8, s4, v10
	s_movk_i32 s4, 0x108
	s_waitcnt lgkmcnt(0)
	s_barrier
	v_lshlrev_b32_e32 v12, 3, v9
	ds_read_b64 v[14:15], v4
	ds_read_b128 v[24:27], v12 offset:9088
	v_mad_u32_u24 v4, v1, s4, v10
	ds_read2_b64 v[28:31], v4 offset1:33
	v_add_u32_e32 v11, v10, v5
	ds_read_b128 v[4:7], v12 offset:9104
	ds_read_b64 v[20:21], v11
	s_waitcnt lgkmcnt(3)
	v_fma_f64 v[14:15], v[14:15], v[24:25], 0
	v_mov_b64_e32 v[34:35], 0
	s_waitcnt lgkmcnt(2)
	v_fmac_f64_e32 v[14:15], v[28:29], v[26:27]
	s_waitcnt lgkmcnt(1)
	v_fmac_f64_e32 v[14:15], v[30:31], v[4:5]
	v_mul_u32_u24_e32 v4, 33, v0
	v_lshlrev_b32_e32 v23, 3, v4
	s_waitcnt lgkmcnt(0)
	v_fmac_f64_e32 v[14:15], v[20:21], v[6:7]
	v_lshl_add_u32 v24, v8, 3, v23
	v_cmp_gt_u32_e64 s[4:5], 32, v22
	s_barrier
	ds_write_b64 v24, v[14:15]
	s_waitcnt lgkmcnt(0)
	s_barrier
	s_and_saveexec_b64 s[14:15], s[4:5]
	s_cbranch_execz .LBB106_31
; %bb.30:
	ds_read2_b64 v[4:7], v23 offset1:1
	ds_read2_b64 v[26:29], v23 offset0:2 offset1:3
	ds_read2_b64 v[34:37], v23 offset0:4 offset1:5
	s_waitcnt lgkmcnt(2)
	v_add_f64 v[14:15], v[4:5], v[6:7]
	ds_read2_b64 v[4:7], v23 offset0:6 offset1:7
	s_waitcnt lgkmcnt(2)
	v_add_f64 v[14:15], v[14:15], v[26:27]
	v_add_f64 v[14:15], v[14:15], v[28:29]
	s_waitcnt lgkmcnt(1)
	v_add_f64 v[14:15], v[14:15], v[34:35]
	v_add_f64 v[14:15], v[14:15], v[36:37]
	;; [unrolled: 3-line block ×3, first 2 shown]
.LBB106_31:
	s_or_b64 exec, exec, s[14:15]
	s_lshl_b64 s[20:21], s[24:25], 8
	v_lshl_add_u64 v[6:7], v[2:3], 0, s[20:21]
	v_cndmask_b32_e64 v2, 0, 1, s[18:19]
	s_mov_b64 s[38:39], 0x100
	v_cmp_ne_u32_e64 s[14:15], 1, v2
	s_andn2_b64 vcc, exec, s[18:19]
	s_mov_b64 s[18:19], -1
	s_barrier
	s_cbranch_vccnz .LBB106_33
; %bb.32:
	s_lshl_b64 s[18:19], s[24:25], 6
	v_lshl_add_u64 v[2:3], v[6:7], 0, s[18:19]
	v_lshl_add_u64 v[4:5], v[2:3], 0, s[18:19]
	;; [unrolled: 1-line block ×3, first 2 shown]
	global_load_dwordx2 v[20:21], v[6:7], off offset:256
	global_load_dwordx2 v[26:27], v[2:3], off offset:256
	;; [unrolled: 1-line block ×4, first 2 shown]
	s_movk_i32 s18, 0x108
	v_mad_u32_u24 v2, v8, s18, v10
	s_mov_b64 s[18:19], 0
	s_waitcnt vmcnt(3)
	ds_write_b64 v2, v[20:21]
	s_waitcnt vmcnt(2)
	ds_write_b64 v2, v[26:27] offset:2112
	s_waitcnt vmcnt(1)
	ds_write_b64 v2, v[28:29] offset:4224
	;; [unrolled: 2-line block ×3, first 2 shown]
.LBB106_33:
	s_andn2_b64 vcc, exec, s[18:19]
	v_lshl_add_u64 v[2:3], v[6:7], 0, s[38:39]
	s_cbranch_vccnz .LBB106_43
; %bb.34:
	v_lshlrev_b32_e32 v4, 3, v0
	v_sub_co_u32_e32 v6, vcc, v6, v4
	s_ashr_i32 s29, s28, 31
	s_nop 0
	v_subbrev_co_u32_e32 v7, vcc, 0, v7, vcc
	v_or_b32_e32 v5, 32, v0
	v_lshl_add_u64 v[6:7], s[28:29], 3, v[6:7]
	v_lshl_add_u64 v[6:7], v[6:7], 0, -8
	v_cmp_gt_i32_e32 vcc, s28, v5
	s_sub_i32 s42, s28, 32
	v_cmp_gt_i32_e64 s[18:19], s42, v8
	v_cndmask_b32_e32 v7, v7, v3, vcc
	v_cndmask_b32_e32 v6, v6, v2, vcc
	v_mov_b64_e32 v[14:15], 0
	v_mov_b64_e32 v[20:21], 0
	s_and_saveexec_b64 s[38:39], s[18:19]
	s_cbranch_execz .LBB106_36
; %bb.35:
	global_load_dwordx2 v[20:21], v[6:7], off
.LBB106_36:
	s_or_b64 exec, exec, s[38:39]
	s_movk_i32 s18, 0x108
	v_mad_u32_u24 v13, v8, s18, v10
	s_waitcnt vmcnt(0)
	ds_write_b64 v13, v[20:21]
	v_add_u32_e32 v13, 8, v8
	v_mul_u32_u24_e32 v5, 0x108, v8
	v_cmp_gt_i32_e64 s[18:19], s42, v13
	s_and_saveexec_b64 s[38:39], s[18:19]
	s_cbranch_execz .LBB106_38
; %bb.37:
	s_lshl_b64 s[18:19], s[24:25], 6
	v_lshl_add_u64 v[14:15], v[6:7], 0, s[18:19]
	global_load_dwordx2 v[14:15], v[14:15], off
.LBB106_38:
	s_or_b64 exec, exec, s[38:39]
	v_add_u32_e32 v5, v5, v10
	v_add_u32_e32 v13, 16, v8
	s_waitcnt vmcnt(0)
	ds_write_b64 v5, v[14:15] offset:2112
	v_cmp_gt_i32_e64 s[18:19], s42, v13
	v_mov_b64_e32 v[14:15], 0
	v_mov_b64_e32 v[20:21], 0
	s_and_saveexec_b64 s[38:39], s[18:19]
	s_cbranch_execz .LBB106_40
; %bb.39:
	s_lshl_b64 s[18:19], s[24:25], 7
	v_lshl_add_u64 v[20:21], v[6:7], 0, s[18:19]
	global_load_dwordx2 v[20:21], v[20:21], off
.LBB106_40:
	s_or_b64 exec, exec, s[38:39]
	v_add_u32_e32 v13, 24, v8
	v_cmp_gt_i32_e64 s[18:19], s42, v13
	s_waitcnt vmcnt(0)
	ds_write_b64 v5, v[20:21] offset:4224
	s_and_saveexec_b64 s[38:39], s[18:19]
	s_cbranch_execz .LBB106_42
; %bb.41:
	v_mov_b32_e32 v13, 0xc0
	v_mad_u64_u32 v[14:15], s[18:19], s24, v13, v[6:7]
	s_mul_i32 s18, s25, 0xc0
	s_nop 0
	v_add_u32_e32 v15, s18, v15
	global_load_dwordx2 v[14:15], v[14:15], off
.LBB106_42:
	s_or_b64 exec, exec, s[38:39]
	s_waitcnt vmcnt(0)
	ds_write_b64 v5, v[14:15] offset:6336
	v_mov_b32_e32 v5, 0
	v_lshl_add_u64 v[4:5], v[6:7], 0, v[4:5]
	s_lshl_b64 s[18:19], s[28:29], 3
	v_mov_b32_e32 v6, s19
	v_subrev_co_u32_e64 v4, s[18:19], s18, v4
	s_nop 1
	v_subb_co_u32_e64 v5, s[18:19], v5, v6, s[18:19]
	s_mov_b64 s[18:19], 0x108
	s_nop 0
	v_lshl_add_u64 v[4:5], v[4:5], 0, s[18:19]
	v_cndmask_b32_e32 v3, v5, v3, vcc
	v_cndmask_b32_e32 v2, v4, v2, vcc
.LBB106_43:
	v_mul_u32_u24_e32 v6, 0x420, v8
	v_add_u32_e32 v4, 0x2380, v12
	v_mul_u32_u24_e32 v5, 0x108, v1
	s_lshl_b64 s[18:19], s[24:25], 5
	v_add_u32_e32 v1, v10, v6
	s_waitcnt lgkmcnt(0)
	s_barrier
	s_and_saveexec_b64 s[38:39], s[6:7]
	s_cbranch_execnz .LBB106_52
; %bb.44:
	s_or_b64 exec, exec, s[38:39]
	v_add_u32_e32 v5, v10, v5
	s_and_saveexec_b64 s[6:7], s[8:9]
	s_cbranch_execnz .LBB106_53
.LBB106_45:
	s_or_b64 exec, exec, s[6:7]
	s_and_saveexec_b64 s[6:7], s[10:11]
	s_cbranch_execnz .LBB106_54
.LBB106_46:
	s_or_b64 exec, exec, s[6:7]
	s_and_saveexec_b64 s[6:7], s[12:13]
	s_cbranch_execz .LBB106_48
.LBB106_47:
	ds_read_b64 v[6:7], v11
	v_lshl_add_u32 v12, v9, 3, v23
	s_waitcnt lgkmcnt(0)
	ds_write_b64 v12, v[6:7] offset:24
.LBB106_48:
	s_or_b64 exec, exec, s[6:7]
	s_waitcnt lgkmcnt(0)
	s_barrier
	ds_read_b64 v[6:7], v1
	ds_read_b128 v[12:15], v4 offset:256
	ds_read2_b64 v[26:29], v5 offset1:33
	ds_read_b128 v[36:39], v4 offset:272
	ds_read_b64 v[20:21], v11
	v_cmp_eq_u32_e64 s[6:7], 1, v8
	s_waitcnt lgkmcnt(3)
	v_fma_f64 v[6:7], v[6:7], v[12:13], 0
	s_waitcnt lgkmcnt(2)
	v_fmac_f64_e32 v[6:7], v[26:27], v[14:15]
	s_waitcnt lgkmcnt(1)
	v_fmac_f64_e32 v[6:7], v[28:29], v[36:37]
	;; [unrolled: 2-line block ×3, first 2 shown]
	s_barrier
	ds_write_b64 v24, v[6:7]
	s_waitcnt lgkmcnt(0)
	s_barrier
	s_and_saveexec_b64 s[8:9], s[6:7]
	s_cbranch_execz .LBB106_50
; %bb.49:
	ds_read2_b64 v[12:15], v23 offset1:1
	ds_read2_b64 v[26:29], v23 offset0:2 offset1:3
	ds_read2_b64 v[34:37], v23 offset0:4 offset1:5
	s_waitcnt lgkmcnt(2)
	v_add_f64 v[6:7], v[12:13], v[14:15]
	ds_read2_b64 v[12:15], v23 offset0:6 offset1:7
	s_waitcnt lgkmcnt(2)
	v_add_f64 v[6:7], v[6:7], v[26:27]
	v_add_f64 v[6:7], v[6:7], v[28:29]
	s_waitcnt lgkmcnt(1)
	v_add_f64 v[6:7], v[6:7], v[34:35]
	v_add_f64 v[6:7], v[6:7], v[36:37]
	s_waitcnt lgkmcnt(0)
	v_add_f64 v[6:7], v[6:7], v[12:13]
	v_add_f64 v[34:35], v[6:7], v[14:15]
.LBB106_50:
	s_or_b64 exec, exec, s[8:9]
	s_lshl_b64 s[8:9], s[18:19], 3
	v_mov_b32_e32 v1, s9
	v_subrev_co_u32_e64 v20, s[8:9], s8, v2
	s_and_b64 vcc, exec, s[14:15]
	s_nop 0
	v_subb_co_u32_e64 v21, s[8:9], v3, v1, s[8:9]
	s_barrier
	s_cbranch_vccnz .LBB106_55
; %bb.51:
	s_lshl_b64 s[8:9], s[24:25], 6
	v_lshl_add_u64 v[2:3], v[20:21], 0, s[8:9]
	v_lshl_add_u64 v[6:7], v[2:3], 0, s[8:9]
	;; [unrolled: 1-line block ×3, first 2 shown]
	global_load_dwordx2 v[26:27], v[20:21], off
	global_load_dwordx2 v[28:29], v[2:3], off
	;; [unrolled: 1-line block ×4, first 2 shown]
	s_movk_i32 s8, 0x108
	v_mov_b32_e32 v1, 0x840
	v_mov_b32_e32 v2, 0x1080
	;; [unrolled: 1-line block ×3, first 2 shown]
	v_mul_u32_u24_e32 v6, 0x108, v8
	v_add_u32_e32 v5, 8, v8
	v_add_u32_e32 v7, 16, v8
	;; [unrolled: 1-line block ×3, first 2 shown]
	v_mad_u32_u24 v15, v8, s8, v10
	v_mad_u32_u24 v11, v8, s8, v1
	;; [unrolled: 1-line block ×4, first 2 shown]
	v_add_u32_e32 v1, v10, v11
	v_add_u32_e32 v2, v10, v13
	;; [unrolled: 1-line block ×3, first 2 shown]
	s_waitcnt vmcnt(3)
	ds_write_b64 v15, v[26:27]
	s_waitcnt vmcnt(2)
	ds_write_b64 v1, v[28:29]
	;; [unrolled: 2-line block ×4, first 2 shown]
	s_cbranch_execz .LBB106_56
	s_branch .LBB106_65
.LBB106_52:
	ds_read_b64 v[6:7], v1
	v_lshl_add_u32 v12, v9, 3, v23
	s_waitcnt lgkmcnt(0)
	ds_write_b64 v12, v[6:7]
	s_or_b64 exec, exec, s[38:39]
	v_add_u32_e32 v5, v10, v5
	s_and_saveexec_b64 s[6:7], s[8:9]
	s_cbranch_execz .LBB106_45
.LBB106_53:
	ds_read_b64 v[6:7], v5
	v_lshl_add_u32 v12, v9, 3, v23
	s_waitcnt lgkmcnt(0)
	ds_write_b64 v12, v[6:7] offset:8
	s_or_b64 exec, exec, s[6:7]
	s_and_saveexec_b64 s[6:7], s[10:11]
	s_cbranch_execz .LBB106_46
.LBB106_54:
	ds_read_b64 v[6:7], v5 offset:264
	v_lshl_add_u32 v12, v9, 3, v23
	s_waitcnt lgkmcnt(0)
	ds_write_b64 v12, v[6:7] offset:16
	s_or_b64 exec, exec, s[6:7]
	s_and_saveexec_b64 s[6:7], s[12:13]
	s_cbranch_execnz .LBB106_47
	s_branch .LBB106_48
.LBB106_55:
                                        ; implicit-def: $vgpr6
                                        ; implicit-def: $vgpr5
                                        ; implicit-def: $vgpr11
                                        ; implicit-def: $vgpr7
                                        ; implicit-def: $vgpr13
                                        ; implicit-def: $vgpr12
                                        ; implicit-def: $vgpr14
.LBB106_56:
	v_or_b32_e32 v1, 32, v0
	v_lshlrev_b32_e32 v0, 3, v0
	v_sub_co_u32_e32 v2, vcc, v20, v0
	s_ashr_i32 s29, s28, 31
	s_nop 0
	v_subbrev_co_u32_e32 v3, vcc, 0, v21, vcc
	s_movk_i32 s8, 0xfef8
	v_lshl_add_u64 v[2:3], s[28:29], 3, v[2:3]
	s_mov_b32 s9, -1
	v_lshl_add_u64 v[2:3], v[2:3], 0, s[8:9]
	v_cmp_gt_i32_e32 vcc, s28, v1
	v_cmp_gt_i32_e64 s[8:9], s28, v8
	v_mov_b64_e32 v[12:13], 0
	v_cndmask_b32_e32 v3, v3, v21, vcc
	v_cndmask_b32_e32 v2, v2, v20, vcc
	v_mov_b64_e32 v[14:15], 0
	s_and_saveexec_b64 s[10:11], s[8:9]
	s_cbranch_execz .LBB106_58
; %bb.57:
	global_load_dwordx2 v[14:15], v[2:3], off
.LBB106_58:
	s_or_b64 exec, exec, s[10:11]
	s_movk_i32 s8, 0x108
	v_add_u32_e32 v5, 8, v8
	v_mul_u32_u24_e32 v6, 0x108, v8
	v_mad_u32_u24 v1, v8, s8, v10
	v_cmp_gt_i32_e64 s[8:9], s28, v5
	s_waitcnt vmcnt(0)
	ds_write_b64 v1, v[14:15]
	s_and_saveexec_b64 s[10:11], s[8:9]
	s_cbranch_execz .LBB106_60
; %bb.59:
	s_lshl_b64 s[8:9], s[24:25], 6
	v_lshl_add_u64 v[12:13], v[2:3], 0, s[8:9]
	global_load_dwordx2 v[12:13], v[12:13], off
.LBB106_60:
	s_or_b64 exec, exec, s[10:11]
	v_add_u32_e32 v11, 0x840, v6
	v_add_u32_e32 v7, 16, v8
	v_add_u32_e32 v1, v10, v11
	v_cmp_gt_i32_e64 s[8:9], s28, v7
	v_mov_b64_e32 v[26:27], 0
	v_mov_b64_e32 v[14:15], 0
	s_waitcnt vmcnt(0)
	ds_write_b64 v1, v[12:13]
	s_and_saveexec_b64 s[10:11], s[8:9]
	s_cbranch_execz .LBB106_62
; %bb.61:
	s_lshl_b64 s[8:9], s[24:25], 7
	v_lshl_add_u64 v[12:13], v[2:3], 0, s[8:9]
	global_load_dwordx2 v[14:15], v[12:13], off
.LBB106_62:
	s_or_b64 exec, exec, s[10:11]
	v_add_u32_e32 v13, 0x840, v11
	v_add_u32_e32 v12, 24, v8
	;; [unrolled: 1-line block ×3, first 2 shown]
	v_cmp_gt_i32_e64 s[8:9], s28, v12
	s_waitcnt vmcnt(0)
	ds_write_b64 v1, v[14:15]
	s_and_saveexec_b64 s[10:11], s[8:9]
	s_cbranch_execz .LBB106_64
; %bb.63:
	v_mov_b32_e32 v1, 0xc0
	v_mad_u64_u32 v[14:15], s[8:9], s24, v1, v[2:3]
	s_mul_i32 s8, s25, 0xc0
	s_nop 0
	v_add_u32_e32 v15, s8, v15
	global_load_dwordx2 v[26:27], v[14:15], off
.LBB106_64:
	s_or_b64 exec, exec, s[10:11]
	v_add_u32_e32 v14, 0x840, v13
	v_add_u32_e32 v1, v10, v14
	s_waitcnt vmcnt(0)
	ds_write_b64 v1, v[26:27]
	v_mov_b32_e32 v1, 0
	v_lshl_add_u64 v[0:1], v[2:3], 0, v[0:1]
	s_lshl_b64 s[8:9], s[28:29], 3
	v_mov_b32_e32 v2, s9
	v_subrev_co_u32_e64 v0, s[8:9], s8, v0
	s_nop 1
	v_subb_co_u32_e64 v1, s[8:9], v1, v2, s[8:9]
	s_mov_b64 s[8:9], 0x108
	s_nop 0
	v_lshl_add_u64 v[0:1], v[0:1], 0, s[8:9]
	v_cndmask_b32_e32 v21, v1, v21, vcc
	v_cndmask_b32_e32 v20, v0, v20, vcc
.LBB106_65:
	v_add_u32_e32 v0, v10, v6
	v_lshlrev_b32_e32 v1, 3, v8
	v_add_u32_e32 v2, v10, v11
	v_lshlrev_b32_e32 v3, 3, v5
	s_waitcnt lgkmcnt(0)
	s_barrier
	ds_read_b64 v[26:27], v0
	ds_read_b64 v[28:29], v1 offset:9088
	ds_read_b64 v[30:31], v2
	ds_read_b64 v[36:37], v3 offset:9088
	v_add_u32_e32 v0, v10, v13
	v_lshlrev_b32_e32 v1, 3, v7
	v_add_u32_e32 v2, v10, v14
	v_lshlrev_b32_e32 v3, 3, v12
	v_lshl_add_u32 v5, v9, 3, v23
	ds_read_b64 v[38:39], v0
	ds_read_b64 v[40:41], v1 offset:9088
	ds_read_b64 v[42:43], v2
	ds_read_b64 v[44:45], v3 offset:9088
	ds_read_b128 v[8:11], v4 offset:256
	ds_read_b128 v[0:3], v4 offset:272
	ds_read2_b64 v[12:15], v5 offset1:1
	ds_read2_b64 v[4:7], v5 offset0:2 offset1:3
	s_waitcnt lgkmcnt(10)
	v_fma_f64 v[26:27], v[26:27], v[28:29], 0
	s_waitcnt lgkmcnt(8)
	v_fmac_f64_e32 v[26:27], v[30:31], v[36:37]
	s_waitcnt lgkmcnt(6)
	v_fmac_f64_e32 v[26:27], v[38:39], v[40:41]
	s_waitcnt lgkmcnt(4)
	v_fmac_f64_e32 v[26:27], v[42:43], v[44:45]
	s_waitcnt lgkmcnt(0)
	s_barrier
	ds_write_b64 v24, v[26:27]
	s_waitcnt lgkmcnt(0)
	s_barrier
	s_and_saveexec_b64 s[8:9], s[6:7]
	s_cbranch_execz .LBB106_67
; %bb.66:
	ds_read2_b64 v[26:29], v23 offset1:1
	ds_read2_b64 v[36:39], v23 offset0:2 offset1:3
	ds_read2_b64 v[40:43], v23 offset0:4 offset1:5
	s_waitcnt lgkmcnt(2)
	v_add_f64 v[26:27], v[34:35], v[26:27]
	v_add_f64 v[30:31], v[26:27], v[28:29]
	ds_read2_b64 v[26:29], v23 offset0:6 offset1:7
	s_waitcnt lgkmcnt(2)
	v_add_f64 v[30:31], v[30:31], v[36:37]
	v_add_f64 v[30:31], v[30:31], v[38:39]
	s_waitcnt lgkmcnt(1)
	v_add_f64 v[30:31], v[30:31], v[40:41]
	v_add_f64 v[30:31], v[30:31], v[42:43]
	;; [unrolled: 3-line block ×3, first 2 shown]
.LBB106_67:
	s_or_b64 exec, exec, s[8:9]
	v_fma_f64 v[8:9], v[12:13], v[8:9], 0
	v_fmac_f64_e32 v[8:9], v[14:15], v[10:11]
	v_fmac_f64_e32 v[8:9], v[4:5], v[0:1]
	;; [unrolled: 1-line block ×3, first 2 shown]
	s_barrier
	ds_write_b64 v24, v[8:9]
	s_waitcnt lgkmcnt(0)
	s_barrier
	s_and_saveexec_b64 s[6:7], s[4:5]
	s_cbranch_execz .LBB106_69
; %bb.68:
	ds_read2_b64 v[0:3], v23 offset1:1
	ds_read2_b64 v[4:7], v23 offset0:2 offset1:3
	ds_read2_b64 v[8:11], v23 offset0:4 offset1:5
	s_waitcnt lgkmcnt(2)
	v_add_f64 v[0:1], v[34:35], v[0:1]
	v_add_f64 v[12:13], v[0:1], v[2:3]
	ds_read2_b64 v[0:3], v23 offset0:6 offset1:7
	s_waitcnt lgkmcnt(2)
	v_add_f64 v[4:5], v[12:13], v[4:5]
	v_add_f64 v[4:5], v[4:5], v[6:7]
	s_waitcnt lgkmcnt(1)
	v_add_f64 v[4:5], v[4:5], v[8:9]
	v_add_f64 v[4:5], v[4:5], v[10:11]
	;; [unrolled: 3-line block ×3, first 2 shown]
.LBB106_69:
	s_or_b64 exec, exec, s[6:7]
	s_mul_hi_u32 s4, s33, s3
	s_mul_i32 s41, s41, s3
	s_add_i32 s4, s4, s41
	s_mul_i32 s3, s33, s3
	s_mul_i32 s4, s4, s40
	s_mul_hi_u32 s5, s3, s40
	s_add_i32 s5, s5, s4
	s_mul_i32 s4, s3, s40
	s_lshl_b64 s[4:5], s[4:5], 3
	s_add_u32 s3, s34, s4
	s_mul_i32 s4, s33, s2
	s_addc_u32 s7, s35, s5
	s_ashr_i32 s5, s4, 31
	s_lshl_b64 s[4:5], s[4:5], 3
	s_add_u32 s6, s3, s4
	v_cmp_le_i32_e32 vcc, s28, v77
	s_addc_u32 s7, s7, s5
	s_and_b64 vcc, s[26:27], vcc
	s_cmp_lt_i32 s2, 1
	v_lshlrev_b32_e32 v36, 3, v77
	s_barrier
	s_cbranch_scc1 .LBB106_76
; %bb.70:
	s_mul_i32 s3, s36, s31
	s_mul_hi_u32 s4, s36, s30
	s_add_i32 s3, s4, s3
	s_mul_i32 s4, s37, s30
	s_add_i32 s5, s3, s4
	s_mul_i32 s4, s36, s30
	s_lshl_b64 s[4:5], s[4:5], 3
	v_mov_b32_e32 v0, s5
	v_subrev_co_u32_e64 v38, s[4:5], s4, v16
	v_lshlrev_b32_e32 v5, 2, v76
	s_nop 0
	v_subb_co_u32_e64 v39, s[4:5], v17, v0, s[4:5]
	s_lshl_b64 s[4:5], s[22:23], 3
	s_nop 0
	v_mov_b32_e32 v0, s5
	v_subrev_co_u32_e64 v2, s[4:5], s4, v20
	s_ashr_i32 s29, s28, 31
	s_nop 0
	v_subb_co_u32_e64 v3, s[4:5], v21, v0, s[4:5]
	v_lshlrev_b64 v[0:1], 3, v[18:19]
	v_sub_co_u32_e64 v0, s[4:5], v2, v0
	v_mov_b32_e32 v41, 0
	s_nop 0
	v_subb_co_u32_e64 v1, s[4:5], v3, v1, s[4:5]
	v_mad_u64_u32 v[2:3], s[4:5], s24, v5, 0
	v_mov_b32_e32 v4, v3
	v_mad_u64_u32 v[4:5], s[4:5], s25, v5, v[4:5]
	v_mov_b32_e32 v3, v4
	v_lshl_add_u64 v[0:1], v[2:3], 3, v[0:1]
	s_movk_i32 s4, 0xfef8
	v_lshl_add_u64 v[2:3], s[28:29], 3, v[0:1]
	s_mov_b32 s5, -1
	v_lshl_add_u64 v[2:3], v[2:3], 0, s[4:5]
	v_mov_b32_e32 v37, v41
	s_movk_i32 s4, 0xff00
	v_lshl_add_u64 v[0:1], v[0:1], 0, v[36:37]
	s_mov_b32 s5, -1
	v_lshl_add_u64 v[0:1], v[0:1], 0, s[4:5]
	v_cndmask_b32_e32 v43, v1, v3, vcc
	s_movk_i32 s3, 0x860
	v_and_b32_e32 v1, 48, v77
	v_lshrrev_b32_e32 v6, 4, v22
	v_and_b32_e32 v7, 15, v77
	v_cndmask_b32_e32 v42, v0, v2, vcc
	v_mov_b32_e32 v0, 0x2180
	v_mad_u32_u24 v80, v76, s3, v36
	s_movk_i32 s3, 0x218
	v_lshlrev_b32_e32 v1, 3, v1
	v_lshl_add_u32 v78, v76, 5, v0
	v_lshlrev_b32_e32 v0, 5, v6
	v_mad_u32_u24 v82, v7, s3, v1
	v_or_b32_e32 v1, 0x78, v36
	v_mad_u32_u24 v81, v7, s3, v0
	v_mad_u32_u24 v83, v7, s3, v1
	s_mul_i32 s3, s25, 24
	s_mul_hi_u32 s14, s24, 24
	s_add_i32 s15, s14, s3
	s_mul_i32 s3, s25, 0x90
	s_mul_hi_u32 s18, s24, 0x90
	s_add_i32 s19, s18, s3
	;; [unrolled: 3-line block ×9, first 2 shown]
	s_mul_i32 s3, s25, 0x108
	s_mul_hi_u32 s33, s24, 0x108
	v_mul_i32_i24_e32 v0, 0xffffffe8, v6
	s_add_i32 s43, s33, s3
	s_mul_i32 s3, s25, 0x88
	s_mul_hi_u32 s33, s24, 0x88
	v_add_u32_e32 v37, 0x2180, v36
	v_add_u32_e32 v79, 0x2380, v36
	v_cmp_gt_u32_e64 s[4:5], 64, v22
	s_lshl_b64 s[8:9], s[24:25], 3
	s_lshl_b64 s[10:11], s[24:25], 9
	;; [unrolled: 1-line block ×3, first 2 shown]
	s_mul_i32 s14, s24, 24
	s_mul_i32 s18, s24, 0x90
	;; [unrolled: 1-line block ×10, first 2 shown]
	s_add_i32 s45, s33, s3
	s_mul_i32 s44, s24, 0x88
	s_lshl_b64 s[24:25], s[24:25], 7
	s_mov_b32 s3, 0
	v_add_u32_e32 v84, v81, v0
	s_branch .LBB106_72
.LBB106_71:                             ;   in Loop: Header=BB106_72 Depth=1
	s_or_b64 exec, exec, s[46:47]
	v_fmac_f64_e32 v[34:35], v[50:51], v[4:5]
	v_fmac_f64_e32 v[34:35], v[48:49], v[6:7]
	;; [unrolled: 1-line block ×15, first 2 shown]
	s_add_i32 s3, s3, 64
	s_add_i32 s2, s2, -1
	v_fmac_f64_e32 v[34:35], v[68:69], v[26:27]
	s_cmp_eq_u32 s2, 0
	v_lshl_add_u64 v[42:43], v[42:43], 0, s[10:11]
	s_barrier
	s_cbranch_scc1 .LBB106_76
.LBB106_72:                             ; =>This Inner Loop Header: Depth=1
	s_and_saveexec_b64 s[46:47], s[16:17]
	s_cbranch_execz .LBB106_74
; %bb.73:                               ;   in Loop: Header=BB106_72 Depth=1
	s_mul_i32 s33, s37, s3
	s_mul_hi_u32 s48, s36, s3
	s_add_i32 s49, s48, s33
	s_mul_i32 s48, s36, s3
	v_lshl_add_u64 v[0:1], s[48:49], 3, v[38:39]
	global_load_dwordx2 v[0:1], v[0:1], off
	s_waitcnt vmcnt(0)
	ds_write_b64 v37, v[0:1]
.LBB106_74:                             ;   in Loop: Header=BB106_72 Depth=1
	s_or_b64 exec, exec, s[46:47]
	s_waitcnt lgkmcnt(0)
	s_barrier
	v_lshl_add_u64 v[0:1], v[42:43], 0, s[8:9]
	v_lshl_add_u64 v[2:3], v[42:43], 0, s[12:13]
	;; [unrolled: 1-line block ×3, first 2 shown]
	global_load_dwordx2 v[50:51], v[42:43], off
	global_load_dwordx2 v[48:49], v[0:1], off
	;; [unrolled: 1-line block ×4, first 2 shown]
	ds_read_b64 v[8:9], v79
	ds_read_b128 v[4:7], v78
	ds_read_b128 v[0:3], v78 offset:16
	v_lshl_add_u64 v[10:11], v[42:43], 0, s[24:25]
	v_lshl_add_u64 v[12:13], v[42:43], 0, s[44:45]
	;; [unrolled: 1-line block ×9, first 2 shown]
	s_waitcnt vmcnt(3) lgkmcnt(2)
	v_mul_f64 v[18:19], v[50:51], v[8:9]
	s_waitcnt vmcnt(2)
	v_mul_f64 v[20:21], v[48:49], v[8:9]
	s_waitcnt vmcnt(1)
	;; [unrolled: 2-line block ×3, first 2 shown]
	v_mul_f64 v[8:9], v[44:45], v[8:9]
	ds_write2_b64 v80, v[18:19], v[20:21] offset1:67
	ds_write2_b64 v80, v[22:23], v[8:9] offset0:134 offset1:201
	s_waitcnt lgkmcnt(0)
	s_barrier
	ds_read2_b64 v[24:27], v81 offset1:1
	ds_read2_b64 v[28:31], v81 offset0:2 offset1:3
	s_waitcnt lgkmcnt(0)
	s_barrier
	global_load_dwordx2 v[58:59], v[10:11], off
	global_load_dwordx2 v[56:57], v[12:13], off
	;; [unrolled: 1-line block ×4, first 2 shown]
	ds_read_b64 v[20:21], v79
	v_lshl_add_u64 v[16:17], v[42:43], 0, s[20:21]
	v_lshl_add_u64 v[18:19], v[42:43], 0, s[42:43]
	;; [unrolled: 1-line block ×3, first 2 shown]
	ds_read_b128 v[12:15], v78 offset:128
	ds_read_b128 v[8:11], v78 offset:144
	v_add_f64 v[24:25], v[24:25], 0
	v_add_f64 v[24:25], v[24:25], v[26:27]
	;; [unrolled: 1-line block ×3, first 2 shown]
	s_waitcnt vmcnt(3) lgkmcnt(2)
	v_mul_f64 v[60:61], v[58:59], v[20:21]
	s_waitcnt vmcnt(2)
	v_mul_f64 v[62:63], v[56:57], v[20:21]
	s_waitcnt vmcnt(1)
	v_mul_f64 v[64:65], v[54:55], v[20:21]
	s_waitcnt vmcnt(0)
	v_mul_f64 v[20:21], v[52:53], v[20:21]
	ds_write2_b64 v80, v[60:61], v[62:63] offset1:67
	ds_write2_b64 v80, v[64:65], v[20:21] offset0:134 offset1:201
	s_waitcnt lgkmcnt(0)
	s_barrier
	ds_read2_b64 v[86:89], v81 offset1:1
	ds_read2_b64 v[90:93], v81 offset0:2 offset1:3
	s_waitcnt lgkmcnt(0)
	s_barrier
	global_load_dwordx2 v[66:67], v[16:17], off
	global_load_dwordx2 v[64:65], v[18:19], off
	;; [unrolled: 1-line block ×4, first 2 shown]
	ds_read_b64 v[68:69], v79
	ds_read_b128 v[20:23], v78 offset:256
	ds_read_b128 v[16:19], v78 offset:272
	s_waitcnt vmcnt(3) lgkmcnt(2)
	v_mul_f64 v[70:71], v[66:67], v[68:69]
	s_waitcnt vmcnt(2)
	v_mul_f64 v[72:73], v[64:65], v[68:69]
	s_waitcnt vmcnt(1)
	;; [unrolled: 2-line block ×3, first 2 shown]
	v_mul_f64 v[68:69], v[60:61], v[68:69]
	ds_write2_b64 v80, v[70:71], v[72:73] offset1:67
	ds_write2_b64 v80, v[74:75], v[68:69] offset0:134 offset1:201
	s_waitcnt lgkmcnt(0)
	s_barrier
	ds_read2_b64 v[94:97], v81 offset1:1
	ds_read2_b64 v[98:101], v81 offset0:2 offset1:3
	s_waitcnt lgkmcnt(0)
	s_barrier
	global_load_dwordx2 v[74:75], v[102:103], off
	global_load_dwordx2 v[72:73], v[104:105], off
	;; [unrolled: 1-line block ×4, first 2 shown]
	v_add_f64 v[102:103], v[24:25], v[30:31]
	v_add_f64 v[24:25], v[86:87], 0
	;; [unrolled: 1-line block ×5, first 2 shown]
	ds_read_b64 v[86:87], v79
	ds_read_b128 v[28:31], v78 offset:384
	ds_read_b128 v[24:27], v78 offset:400
	v_add_f64 v[88:89], v[94:95], 0
	v_add_f64 v[88:89], v[88:89], v[96:97]
	v_add_f64 v[88:89], v[88:89], v[98:99]
	v_add_f64 v[94:95], v[88:89], v[100:101]
	s_waitcnt vmcnt(3) lgkmcnt(2)
	v_mul_f64 v[88:89], v[74:75], v[86:87]
	s_waitcnt vmcnt(2)
	v_mul_f64 v[90:91], v[72:73], v[86:87]
	s_waitcnt vmcnt(1)
	;; [unrolled: 2-line block ×3, first 2 shown]
	v_mul_f64 v[86:87], v[68:69], v[86:87]
	ds_write2_b64 v80, v[88:89], v[90:91] offset1:67
	ds_write2_b64 v80, v[92:93], v[86:87] offset0:134 offset1:201
	s_waitcnt lgkmcnt(0)
	s_barrier
	ds_read2_b64 v[86:89], v81 offset1:1
	ds_read2_b64 v[90:93], v81 offset0:2 offset1:3
	s_waitcnt lgkmcnt(0)
	s_barrier
	v_add_f64 v[86:87], v[86:87], 0
	v_add_f64 v[86:87], v[86:87], v[88:89]
	;; [unrolled: 1-line block ×4, first 2 shown]
	ds_write2_b64 v84, v[102:103], v[104:105] offset1:16
	ds_write2_b64 v84, v[94:95], v[86:87] offset0:32 offset1:48
	s_waitcnt lgkmcnt(0)
	s_barrier
	s_and_saveexec_b64 s[46:47], s[4:5]
	s_cbranch_execz .LBB106_71
; %bb.75:                               ;   in Loop: Header=BB106_72 Depth=1
	ds_read2_b64 v[86:89], v82 offset1:1
	ds_read2_b64 v[90:93], v82 offset0:2 offset1:3
	ds_read2_b64 v[94:97], v82 offset0:4 offset1:5
	;; [unrolled: 1-line block ×4, first 2 shown]
	s_waitcnt lgkmcnt(4)
	v_add_f64 v[86:87], v[86:87], v[88:89]
	s_waitcnt lgkmcnt(3)
	v_add_f64 v[86:87], v[86:87], v[90:91]
	v_add_f64 v[86:87], v[86:87], v[92:93]
	s_waitcnt lgkmcnt(2)
	v_add_f64 v[86:87], v[86:87], v[94:95]
	;; [unrolled: 3-line block ×3, first 2 shown]
	ds_read2_b64 v[86:89], v82 offset0:10 offset1:11
	v_add_f64 v[90:91], v[90:91], v[100:101]
	s_waitcnt lgkmcnt(1)
	v_add_f64 v[90:91], v[90:91], v[102:103]
	v_add_f64 v[94:95], v[90:91], v[104:105]
	ds_read2_b64 v[90:93], v82 offset0:12 offset1:13
	s_waitcnt lgkmcnt(1)
	v_add_f64 v[86:87], v[94:95], v[86:87]
	ds_read_b64 v[94:95], v82 offset:112
	ds_read_b64 v[96:97], v83
	v_add_f64 v[86:87], v[86:87], v[88:89]
	v_add_u32_e32 v40, s3, v77
	s_waitcnt lgkmcnt(2)
	v_add_f64 v[86:87], v[86:87], v[90:91]
	v_add_f64 v[86:87], v[86:87], v[92:93]
	s_waitcnt lgkmcnt(1)
	v_add_f64 v[86:87], v[86:87], v[94:95]
	s_waitcnt lgkmcnt(0)
	v_add_f64 v[86:87], v[86:87], v[96:97]
	v_lshl_add_u64 v[88:89], v[40:41], 3, s[6:7]
	global_store_dwordx2 v[88:89], v[86:87], off
	s_branch .LBB106_71
.LBB106_76:
	s_movk_i32 s2, 0x218
	v_mad_u32_u24 v0, v76, s2, v36
	s_nor_b64 s[0:1], s[0:1], vcc
	ds_write_b64 v0, v[34:35]
	s_waitcnt lgkmcnt(0)
	s_barrier
	s_and_saveexec_b64 s[2:3], s[0:1]
	s_cbranch_execz .LBB106_78
; %bb.77:
	ds_read2_b64 v[0:3], v36 offset1:67
	ds_read2_b64 v[4:7], v36 offset0:134 offset1:201
	s_waitcnt lgkmcnt(1)
	v_add_f64 v[0:1], v[0:1], v[2:3]
	s_waitcnt lgkmcnt(0)
	v_add_f64 v[0:1], v[0:1], v[4:5]
	v_add_f64 v[0:1], v[0:1], v[6:7]
	v_lshl_add_u64 v[2:3], v[32:33], 3, s[6:7]
	global_store_dwordx2 v[2:3], v[0:1], off
.LBB106_78:
	s_endpgm
	.section	.rodata,"a",@progbits
	.p2align	6, 0x0
	.amdhsa_kernel _ZL26rocblas_hemvn_kernel_lowerILb0ELi64ELi4ELi33ELi32ELi16ElPKdS1_PdEviT6_lT7_lT5_lS4_lS5_lS3_lT8_i
		.amdhsa_group_segment_fixed_size 9600
		.amdhsa_private_segment_fixed_size 0
		.amdhsa_kernarg_size 376
		.amdhsa_user_sgpr_count 2
		.amdhsa_user_sgpr_dispatch_ptr 0
		.amdhsa_user_sgpr_queue_ptr 0
		.amdhsa_user_sgpr_kernarg_segment_ptr 1
		.amdhsa_user_sgpr_dispatch_id 0
		.amdhsa_user_sgpr_kernarg_preload_length 0
		.amdhsa_user_sgpr_kernarg_preload_offset 0
		.amdhsa_user_sgpr_private_segment_size 0
		.amdhsa_uses_dynamic_stack 0
		.amdhsa_enable_private_segment 0
		.amdhsa_system_sgpr_workgroup_id_x 1
		.amdhsa_system_sgpr_workgroup_id_y 0
		.amdhsa_system_sgpr_workgroup_id_z 1
		.amdhsa_system_sgpr_workgroup_info 0
		.amdhsa_system_vgpr_workitem_id 1
		.amdhsa_next_free_vgpr 110
		.amdhsa_next_free_sgpr 50
		.amdhsa_accum_offset 112
		.amdhsa_reserve_vcc 1
		.amdhsa_float_round_mode_32 0
		.amdhsa_float_round_mode_16_64 0
		.amdhsa_float_denorm_mode_32 3
		.amdhsa_float_denorm_mode_16_64 3
		.amdhsa_dx10_clamp 1
		.amdhsa_ieee_mode 1
		.amdhsa_fp16_overflow 0
		.amdhsa_tg_split 0
		.amdhsa_exception_fp_ieee_invalid_op 0
		.amdhsa_exception_fp_denorm_src 0
		.amdhsa_exception_fp_ieee_div_zero 0
		.amdhsa_exception_fp_ieee_overflow 0
		.amdhsa_exception_fp_ieee_underflow 0
		.amdhsa_exception_fp_ieee_inexact 0
		.amdhsa_exception_int_div_zero 0
	.end_amdhsa_kernel
	.section	.text._ZL26rocblas_hemvn_kernel_lowerILb0ELi64ELi4ELi33ELi32ELi16ElPKdS1_PdEviT6_lT7_lT5_lS4_lS5_lS3_lT8_i,"axG",@progbits,_ZL26rocblas_hemvn_kernel_lowerILb0ELi64ELi4ELi33ELi32ELi16ElPKdS1_PdEviT6_lT7_lT5_lS4_lS5_lS3_lT8_i,comdat
.Lfunc_end106:
	.size	_ZL26rocblas_hemvn_kernel_lowerILb0ELi64ELi4ELi33ELi32ELi16ElPKdS1_PdEviT6_lT7_lT5_lS4_lS5_lS3_lT8_i, .Lfunc_end106-_ZL26rocblas_hemvn_kernel_lowerILb0ELi64ELi4ELi33ELi32ELi16ElPKdS1_PdEviT6_lT7_lT5_lS4_lS5_lS3_lT8_i
                                        ; -- End function
	.set _ZL26rocblas_hemvn_kernel_lowerILb0ELi64ELi4ELi33ELi32ELi16ElPKdS1_PdEviT6_lT7_lT5_lS4_lS5_lS3_lT8_i.num_vgpr, 110
	.set _ZL26rocblas_hemvn_kernel_lowerILb0ELi64ELi4ELi33ELi32ELi16ElPKdS1_PdEviT6_lT7_lT5_lS4_lS5_lS3_lT8_i.num_agpr, 0
	.set _ZL26rocblas_hemvn_kernel_lowerILb0ELi64ELi4ELi33ELi32ELi16ElPKdS1_PdEviT6_lT7_lT5_lS4_lS5_lS3_lT8_i.numbered_sgpr, 50
	.set _ZL26rocblas_hemvn_kernel_lowerILb0ELi64ELi4ELi33ELi32ELi16ElPKdS1_PdEviT6_lT7_lT5_lS4_lS5_lS3_lT8_i.num_named_barrier, 0
	.set _ZL26rocblas_hemvn_kernel_lowerILb0ELi64ELi4ELi33ELi32ELi16ElPKdS1_PdEviT6_lT7_lT5_lS4_lS5_lS3_lT8_i.private_seg_size, 0
	.set _ZL26rocblas_hemvn_kernel_lowerILb0ELi64ELi4ELi33ELi32ELi16ElPKdS1_PdEviT6_lT7_lT5_lS4_lS5_lS3_lT8_i.uses_vcc, 1
	.set _ZL26rocblas_hemvn_kernel_lowerILb0ELi64ELi4ELi33ELi32ELi16ElPKdS1_PdEviT6_lT7_lT5_lS4_lS5_lS3_lT8_i.uses_flat_scratch, 0
	.set _ZL26rocblas_hemvn_kernel_lowerILb0ELi64ELi4ELi33ELi32ELi16ElPKdS1_PdEviT6_lT7_lT5_lS4_lS5_lS3_lT8_i.has_dyn_sized_stack, 0
	.set _ZL26rocblas_hemvn_kernel_lowerILb0ELi64ELi4ELi33ELi32ELi16ElPKdS1_PdEviT6_lT7_lT5_lS4_lS5_lS3_lT8_i.has_recursion, 0
	.set _ZL26rocblas_hemvn_kernel_lowerILb0ELi64ELi4ELi33ELi32ELi16ElPKdS1_PdEviT6_lT7_lT5_lS4_lS5_lS3_lT8_i.has_indirect_call, 0
	.section	.AMDGPU.csdata,"",@progbits
; Kernel info:
; codeLenInByte = 6092
; TotalNumSgprs: 56
; NumVgprs: 110
; NumAgprs: 0
; TotalNumVgprs: 110
; ScratchSize: 0
; MemoryBound: 0
; FloatMode: 240
; IeeeMode: 1
; LDSByteSize: 9600 bytes/workgroup (compile time only)
; SGPRBlocks: 6
; VGPRBlocks: 13
; NumSGPRsForWavesPerEU: 56
; NumVGPRsForWavesPerEU: 110
; AccumOffset: 112
; Occupancy: 4
; WaveLimiterHint : 0
; COMPUTE_PGM_RSRC2:SCRATCH_EN: 0
; COMPUTE_PGM_RSRC2:USER_SGPR: 2
; COMPUTE_PGM_RSRC2:TRAP_HANDLER: 0
; COMPUTE_PGM_RSRC2:TGID_X_EN: 1
; COMPUTE_PGM_RSRC2:TGID_Y_EN: 0
; COMPUTE_PGM_RSRC2:TGID_Z_EN: 1
; COMPUTE_PGM_RSRC2:TIDIG_COMP_CNT: 1
; COMPUTE_PGM_RSRC3_GFX90A:ACCUM_OFFSET: 27
; COMPUTE_PGM_RSRC3_GFX90A:TG_SPLIT: 0
	.section	.text._ZL36rocblas_hemvn_kernel_lower_block_sumILi64ElPKdPddEviT1_lS3_lT2_lT0_lPT3_i,"axG",@progbits,_ZL36rocblas_hemvn_kernel_lower_block_sumILi64ElPKdPddEviT1_lS3_lT2_lT0_lPT3_i,comdat
	.globl	_ZL36rocblas_hemvn_kernel_lower_block_sumILi64ElPKdPddEviT1_lS3_lT2_lT0_lPT3_i ; -- Begin function _ZL36rocblas_hemvn_kernel_lower_block_sumILi64ElPKdPddEviT1_lS3_lT2_lT0_lPT3_i
	.p2align	8
	.type	_ZL36rocblas_hemvn_kernel_lower_block_sumILi64ElPKdPddEviT1_lS3_lT2_lT0_lPT3_i,@function
_ZL36rocblas_hemvn_kernel_lower_block_sumILi64ElPKdPddEviT1_lS3_lT2_lT0_lPT3_i: ; @_ZL36rocblas_hemvn_kernel_lower_block_sumILi64ElPKdPddEviT1_lS3_lT2_lT0_lPT3_i
; %bb.0:
	s_load_dwordx8 s[8:15], s[0:1], 0x8
	s_waitcnt lgkmcnt(0)
	s_mul_i32 s4, s11, s3
	s_mul_hi_u32 s5, s10, s3
	s_add_i32 s5, s5, s4
	s_mul_i32 s4, s10, s3
	s_lshl_b64 s[4:5], s[4:5], 3
	s_add_u32 s4, s8, s4
	s_addc_u32 s5, s9, s5
	s_load_dwordx2 s[8:9], s[4:5], 0x0
	s_mul_i32 s4, s15, s3
	s_mul_hi_u32 s5, s14, s3
	s_add_i32 s5, s5, s4
	s_mul_i32 s4, s14, s3
	s_lshl_b64 s[4:5], s[4:5], 3
	s_add_u32 s4, s12, s4
	s_addc_u32 s5, s13, s5
	s_load_dwordx2 s[12:13], s[4:5], 0x0
	s_waitcnt lgkmcnt(0)
	v_cmp_eq_f64_e64 s[4:5], s[8:9], 0
	v_cmp_eq_f64_e64 s[6:7], s[12:13], 1.0
	s_and_b64 s[4:5], s[4:5], s[6:7]
	s_and_b64 vcc, exec, s[4:5]
	s_cbranch_vccnz .LBB107_19
; %bb.1:
	s_load_dwordx2 s[10:11], s[0:1], 0x40
	s_load_dwordx4 s[4:7], s[0:1], 0x30
	s_load_dwordx2 s[14:15], s[0:1], 0x28
	s_load_dword s16, s[0:1], 0x0
	v_lshl_or_b32 v6, s2, 6, v0
	s_waitcnt lgkmcnt(0)
	s_mul_i32 s11, s11, s3
	s_mul_hi_u32 s17, s10, s3
	s_add_i32 s11, s17, s11
	s_mul_i32 s10, s10, s3
	s_lshl_b64 s[10:11], s[10:11], 3
	s_add_u32 s10, s14, s10
	s_addc_u32 s11, s15, s11
	s_lshl_b64 s[4:5], s[4:5], 3
	s_add_u32 s10, s10, s4
	s_addc_u32 s11, s11, s5
	v_cmp_neq_f64_e64 s[4:5], s[8:9], 0
	s_mov_b64 s[14:15], 0
	s_and_b64 vcc, exec, s[4:5]
	v_cmp_gt_i32_e64 s[4:5], s16, v6
	s_cbranch_vccnz .LBB107_6
; %bb.2:
	s_mov_b64 s[18:19], 0
                                        ; implicit-def: $vgpr0_vgpr1
                                        ; implicit-def: $vgpr2_vgpr3
	s_and_saveexec_b64 s[20:21], s[4:5]
	s_cbranch_execz .LBB107_7
; %bb.3:
	v_ashrrev_i32_e32 v2, 31, v6
	v_cmp_eq_f64_e64 s[4:5], s[12:13], 0
	v_mul_lo_u32 v4, s7, v6
	v_mul_lo_u32 v5, s6, v2
	v_mad_u64_u32 v[2:3], s[14:15], s6, v6, 0
	v_mov_b64_e32 v[0:1], 0
	v_add3_u32 v3, v3, v5, v4
	s_and_b64 vcc, exec, s[4:5]
	s_cbranch_vccnz .LBB107_5
; %bb.4:
	v_lshl_add_u64 v[0:1], v[2:3], 3, s[10:11]
	global_load_dwordx2 v[0:1], v[0:1], off
	s_waitcnt vmcnt(0)
	v_mul_f64 v[0:1], s[12:13], v[0:1]
.LBB107_5:
	s_mov_b64 s[14:15], exec
	s_or_b64 exec, exec, s[20:21]
	s_and_b64 vcc, exec, s[18:19]
	s_cbranch_vccnz .LBB107_8
	s_branch .LBB107_17
.LBB107_6:
                                        ; implicit-def: $vgpr0_vgpr1
                                        ; implicit-def: $vgpr2_vgpr3
	s_cbranch_execnz .LBB107_8
	s_branch .LBB107_17
.LBB107_7:
	s_or_b64 exec, exec, s[20:21]
	s_and_b64 vcc, exec, s[18:19]
	s_cbranch_vccz .LBB107_17
.LBB107_8:
	v_cmp_gt_i32_e32 vcc, s16, v6
                                        ; implicit-def: $vgpr0_vgpr1
                                        ; implicit-def: $vgpr2_vgpr3
	s_and_saveexec_b64 s[4:5], vcc
	s_cbranch_execz .LBB107_16
; %bb.9:
	s_load_dword s18, s[0:1], 0x58
	v_mov_b64_e32 v[4:5], 0
	s_waitcnt lgkmcnt(0)
	s_cmp_ge_i32 s2, s18
	s_cbranch_scc1 .LBB107_12
; %bb.10:
	s_ashr_i32 s17, s16, 31
	s_mul_i32 s19, s16, s2
	s_load_dwordx2 s[0:1], s[0:1], 0x48
	v_add_u32_e32 v0, s19, v6
	s_mul_hi_u32 s19, s16, s3
	s_mul_i32 s20, s17, s3
	s_add_i32 s19, s19, s20
	s_mul_i32 s3, s16, s3
	s_mul_i32 s19, s19, s18
	s_mul_hi_u32 s20, s3, s18
	s_add_i32 s21, s20, s19
	s_mul_i32 s20, s3, s18
	s_lshl_b64 s[20:21], s[20:21], 3
	s_waitcnt lgkmcnt(0)
	s_add_u32 s0, s0, s20
	v_ashrrev_i32_e32 v1, 31, v0
	s_addc_u32 s1, s1, s21
	v_lshl_add_u64 v[0:1], v[0:1], 3, s[0:1]
	s_lshl_b64 s[0:1], s[16:17], 3
	v_mov_b64_e32 v[4:5], 0
.LBB107_11:                             ; =>This Inner Loop Header: Depth=1
	global_load_dwordx2 v[2:3], v[0:1], off
	s_add_i32 s2, s2, 1
	v_lshl_add_u64 v[0:1], v[0:1], 0, s[0:1]
	s_cmp_ge_i32 s2, s18
	s_waitcnt vmcnt(0)
	v_add_f64 v[4:5], v[4:5], v[2:3]
	s_cbranch_scc0 .LBB107_11
.LBB107_12:
	v_cmp_eq_f64_e64 s[2:3], s[12:13], 0
	v_ashrrev_i32_e32 v0, 31, v6
	s_mov_b64 s[0:1], 0
	s_and_b64 vcc, exec, s[2:3]
	v_mul_lo_u32 v7, s7, v6
	v_mul_lo_u32 v8, s6, v0
	s_cbranch_vccz .LBB107_20
; %bb.13:
	v_mad_u64_u32 v[2:3], s[2:3], s6, v6, 0
	v_mul_f64 v[0:1], s[8:9], v[4:5]
	v_add3_u32 v3, v3, v8, v7
	s_andn2_b64 vcc, exec, s[0:1]
	s_cbranch_vccnz .LBB107_15
.LBB107_14:
	v_mad_u64_u32 v[2:3], s[0:1], s6, v6, 0
	v_add3_u32 v3, v3, v8, v7
	v_lshl_add_u64 v[0:1], v[2:3], 3, s[10:11]
	global_load_dwordx2 v[0:1], v[0:1], off
	s_waitcnt vmcnt(0)
	v_mul_f64 v[0:1], s[12:13], v[0:1]
	v_fmac_f64_e32 v[0:1], s[8:9], v[4:5]
.LBB107_15:
	s_or_b64 s[14:15], s[14:15], exec
.LBB107_16:
	s_or_b64 exec, exec, s[4:5]
.LBB107_17:
	s_and_saveexec_b64 s[0:1], s[14:15]
	s_cbranch_execz .LBB107_19
; %bb.18:
	v_lshl_add_u64 v[2:3], v[2:3], 3, s[10:11]
	global_store_dwordx2 v[2:3], v[0:1], off
.LBB107_19:
	s_endpgm
.LBB107_20:
                                        ; implicit-def: $vgpr0_vgpr1
                                        ; implicit-def: $vgpr2_vgpr3
	s_branch .LBB107_14
	.section	.rodata,"a",@progbits
	.p2align	6, 0x0
	.amdhsa_kernel _ZL36rocblas_hemvn_kernel_lower_block_sumILi64ElPKdPddEviT1_lS3_lT2_lT0_lPT3_i
		.amdhsa_group_segment_fixed_size 0
		.amdhsa_private_segment_fixed_size 0
		.amdhsa_kernarg_size 344
		.amdhsa_user_sgpr_count 2
		.amdhsa_user_sgpr_dispatch_ptr 0
		.amdhsa_user_sgpr_queue_ptr 0
		.amdhsa_user_sgpr_kernarg_segment_ptr 1
		.amdhsa_user_sgpr_dispatch_id 0
		.amdhsa_user_sgpr_kernarg_preload_length 0
		.amdhsa_user_sgpr_kernarg_preload_offset 0
		.amdhsa_user_sgpr_private_segment_size 0
		.amdhsa_uses_dynamic_stack 0
		.amdhsa_enable_private_segment 0
		.amdhsa_system_sgpr_workgroup_id_x 1
		.amdhsa_system_sgpr_workgroup_id_y 0
		.amdhsa_system_sgpr_workgroup_id_z 1
		.amdhsa_system_sgpr_workgroup_info 0
		.amdhsa_system_vgpr_workitem_id 0
		.amdhsa_next_free_vgpr 9
		.amdhsa_next_free_sgpr 22
		.amdhsa_accum_offset 12
		.amdhsa_reserve_vcc 1
		.amdhsa_float_round_mode_32 0
		.amdhsa_float_round_mode_16_64 0
		.amdhsa_float_denorm_mode_32 3
		.amdhsa_float_denorm_mode_16_64 3
		.amdhsa_dx10_clamp 1
		.amdhsa_ieee_mode 1
		.amdhsa_fp16_overflow 0
		.amdhsa_tg_split 0
		.amdhsa_exception_fp_ieee_invalid_op 0
		.amdhsa_exception_fp_denorm_src 0
		.amdhsa_exception_fp_ieee_div_zero 0
		.amdhsa_exception_fp_ieee_overflow 0
		.amdhsa_exception_fp_ieee_underflow 0
		.amdhsa_exception_fp_ieee_inexact 0
		.amdhsa_exception_int_div_zero 0
	.end_amdhsa_kernel
	.section	.text._ZL36rocblas_hemvn_kernel_lower_block_sumILi64ElPKdPddEviT1_lS3_lT2_lT0_lPT3_i,"axG",@progbits,_ZL36rocblas_hemvn_kernel_lower_block_sumILi64ElPKdPddEviT1_lS3_lT2_lT0_lPT3_i,comdat
.Lfunc_end107:
	.size	_ZL36rocblas_hemvn_kernel_lower_block_sumILi64ElPKdPddEviT1_lS3_lT2_lT0_lPT3_i, .Lfunc_end107-_ZL36rocblas_hemvn_kernel_lower_block_sumILi64ElPKdPddEviT1_lS3_lT2_lT0_lPT3_i
                                        ; -- End function
	.set _ZL36rocblas_hemvn_kernel_lower_block_sumILi64ElPKdPddEviT1_lS3_lT2_lT0_lPT3_i.num_vgpr, 9
	.set _ZL36rocblas_hemvn_kernel_lower_block_sumILi64ElPKdPddEviT1_lS3_lT2_lT0_lPT3_i.num_agpr, 0
	.set _ZL36rocblas_hemvn_kernel_lower_block_sumILi64ElPKdPddEviT1_lS3_lT2_lT0_lPT3_i.numbered_sgpr, 22
	.set _ZL36rocblas_hemvn_kernel_lower_block_sumILi64ElPKdPddEviT1_lS3_lT2_lT0_lPT3_i.num_named_barrier, 0
	.set _ZL36rocblas_hemvn_kernel_lower_block_sumILi64ElPKdPddEviT1_lS3_lT2_lT0_lPT3_i.private_seg_size, 0
	.set _ZL36rocblas_hemvn_kernel_lower_block_sumILi64ElPKdPddEviT1_lS3_lT2_lT0_lPT3_i.uses_vcc, 1
	.set _ZL36rocblas_hemvn_kernel_lower_block_sumILi64ElPKdPddEviT1_lS3_lT2_lT0_lPT3_i.uses_flat_scratch, 0
	.set _ZL36rocblas_hemvn_kernel_lower_block_sumILi64ElPKdPddEviT1_lS3_lT2_lT0_lPT3_i.has_dyn_sized_stack, 0
	.set _ZL36rocblas_hemvn_kernel_lower_block_sumILi64ElPKdPddEviT1_lS3_lT2_lT0_lPT3_i.has_recursion, 0
	.set _ZL36rocblas_hemvn_kernel_lower_block_sumILi64ElPKdPddEviT1_lS3_lT2_lT0_lPT3_i.has_indirect_call, 0
	.section	.AMDGPU.csdata,"",@progbits
; Kernel info:
; codeLenInByte = 688
; TotalNumSgprs: 28
; NumVgprs: 9
; NumAgprs: 0
; TotalNumVgprs: 9
; ScratchSize: 0
; MemoryBound: 0
; FloatMode: 240
; IeeeMode: 1
; LDSByteSize: 0 bytes/workgroup (compile time only)
; SGPRBlocks: 3
; VGPRBlocks: 1
; NumSGPRsForWavesPerEU: 28
; NumVGPRsForWavesPerEU: 9
; AccumOffset: 12
; Occupancy: 8
; WaveLimiterHint : 0
; COMPUTE_PGM_RSRC2:SCRATCH_EN: 0
; COMPUTE_PGM_RSRC2:USER_SGPR: 2
; COMPUTE_PGM_RSRC2:TRAP_HANDLER: 0
; COMPUTE_PGM_RSRC2:TGID_X_EN: 1
; COMPUTE_PGM_RSRC2:TGID_Y_EN: 0
; COMPUTE_PGM_RSRC2:TGID_Z_EN: 1
; COMPUTE_PGM_RSRC2:TIDIG_COMP_CNT: 0
; COMPUTE_PGM_RSRC3_GFX90A:ACCUM_OFFSET: 2
; COMPUTE_PGM_RSRC3_GFX90A:TG_SPLIT: 0
	.section	.text._ZL26rocblas_hemvn_kernel_lowerILb0ELi64ELi4ELi33ELi32ELi16EiPKdS1_PdEviT6_lT7_lT5_lS4_lS5_lS3_lT8_i,"axG",@progbits,_ZL26rocblas_hemvn_kernel_lowerILb0ELi64ELi4ELi33ELi32ELi16EiPKdS1_PdEviT6_lT7_lT5_lS4_lS5_lS3_lT8_i,comdat
	.globl	_ZL26rocblas_hemvn_kernel_lowerILb0ELi64ELi4ELi33ELi32ELi16EiPKdS1_PdEviT6_lT7_lT5_lS4_lS5_lS3_lT8_i ; -- Begin function _ZL26rocblas_hemvn_kernel_lowerILb0ELi64ELi4ELi33ELi32ELi16EiPKdS1_PdEviT6_lT7_lT5_lS4_lS5_lS3_lT8_i
	.p2align	8
	.type	_ZL26rocblas_hemvn_kernel_lowerILb0ELi64ELi4ELi33ELi32ELi16EiPKdS1_PdEviT6_lT7_lT5_lS4_lS5_lS3_lT8_i,@function
_ZL26rocblas_hemvn_kernel_lowerILb0ELi64ELi4ELi33ELi32ELi16EiPKdS1_PdEviT6_lT7_lT5_lS4_lS5_lS3_lT8_i: ; @_ZL26rocblas_hemvn_kernel_lowerILb0ELi64ELi4ELi33ELi32ELi16EiPKdS1_PdEviT6_lT7_lT5_lS4_lS5_lS3_lT8_i
; %bb.0:
	s_load_dwordx2 s[4:5], s[0:1], 0x84
	s_add_u32 s12, s0, 0x78
	s_addc_u32 s13, s1, 0
	s_waitcnt lgkmcnt(0)
	s_lshr_b32 s6, s4, 16
	s_and_b32 s4, s4, 0xffff
	s_and_b32 s5, s5, 0xffff
	s_mul_i32 s4, s6, s4
	s_mul_i32 s4, s4, s5
	s_cmpk_lg_i32 s4, 0x100
	s_cbranch_scc1 .LBB108_78
; %bb.1:
	s_load_dwordx8 s[4:11], s[0:1], 0x8
	s_load_dwordx8 s[16:23], s[0:1], 0x50
	s_waitcnt lgkmcnt(0)
	s_mul_i32 s7, s7, s3
	s_mul_hi_u32 s14, s6, s3
	s_mul_i32 s6, s6, s3
	s_add_i32 s7, s14, s7
	s_lshl_b64 s[6:7], s[6:7], 3
	s_mul_i32 s15, s21, s3
	s_add_u32 s4, s4, s6
	s_mul_hi_u32 s6, s20, s3
	s_addc_u32 s5, s5, s7
	s_add_i32 s7, s6, s15
	s_mul_i32 s6, s20, s3
	s_lshl_b64 s[6:7], s[6:7], 3
	s_add_u32 s6, s18, s6
	s_addc_u32 s7, s19, s7
	s_load_dwordx2 s[4:5], s[4:5], 0x0
	s_waitcnt lgkmcnt(0)
	v_cmp_eq_f64_e64 s[4:5], s[4:5], 0
	s_load_dwordx2 s[6:7], s[6:7], 0x0
	s_waitcnt lgkmcnt(0)
	v_cmp_eq_f64_e64 s[6:7], s[6:7], 1.0
	s_and_b64 s[6:7], s[4:5], s[6:7]
	s_and_b64 vcc, exec, s[6:7]
	s_cbranch_vccnz .LBB108_78
; %bb.2:
	s_and_b64 vcc, exec, s[4:5]
	s_cbranch_vccnz .LBB108_78
; %bb.3:
	s_load_dword s39, s[12:13], 0x0
	s_load_dword s38, s[0:1], 0x0
	s_load_dwordx4 s[4:7], s[0:1], 0x30
	s_load_dwordx2 s[14:15], s[0:1], 0x40
	s_load_dword s33, s[0:1], 0x48
	s_mul_i32 s12, s17, s3
	s_mul_hi_u32 s13, s16, s3
	s_add_i32 s13, s13, s12
	s_mul_i32 s12, s16, s3
	s_lshl_b64 s[12:13], s[12:13], 3
	s_waitcnt lgkmcnt(0)
	s_add_u32 s12, s6, s12
	s_addc_u32 s13, s7, s13
	s_lshl_b64 s[6:7], s[14:15], 3
	s_add_u32 s6, s12, s6
	s_addc_u32 s7, s13, s7
	s_ashr_i32 s40, s38, 31
	s_lshr_b32 s13, s40, 26
	v_and_b32_e32 v34, 0x3ff, v0
	s_lshl_b32 s26, s2, 6
	s_add_i32 s13, s38, s13
	s_andn2_b32 s13, s13, 63
	v_add_u32_e32 v32, s26, v34
	v_bfe_u32 v33, v0, 10, 10
	s_add_i32 s12, s39, -1
	s_sub_i32 s13, s38, s13
	v_mul_lo_u32 v0, s33, v32
	s_cmp_eq_u32 s2, s12
	v_ashrrev_i32_e32 v1, 31, v0
	s_cselect_b32 s24, s13, 0
	v_lshl_add_u64 v[16:17], v[0:1], 3, s[6:7]
	v_cmp_ne_u32_e64 s[16:17], 0, v33
	v_cmp_eq_u32_e64 s[18:19], 0, v33
	s_and_saveexec_b64 s[6:7], s[18:19]
	s_cbranch_execz .LBB108_7
; %bb.4:
	s_cmp_eq_u32 s24, 0
	s_cselect_b64 s[12:13], -1, 0
	v_cmp_gt_i32_e32 vcc, s24, v34
	s_or_b64 s[14:15], s[12:13], vcc
	v_mov_b64_e32 v[0:1], 0
	s_and_saveexec_b64 s[12:13], s[14:15]
	s_cbranch_execz .LBB108_6
; %bb.5:
	global_load_dwordx2 v[0:1], v[16:17], off
.LBB108_6:
	s_or_b64 exec, exec, s[12:13]
	v_lshlrev_b32_e32 v2, 3, v34
	s_waitcnt vmcnt(0)
	ds_write_b64 v2, v[0:1] offset:9088
.LBB108_7:
	s_or_b64 exec, exec, s[6:7]
	s_mul_i32 s5, s5, s3
	s_mul_hi_u32 s6, s4, s3
	s_add_i32 s5, s6, s5
	s_mul_i32 s4, s4, s3
	s_lshl_b64 s[4:5], s[4:5], 3
	s_add_u32 s6, s8, s4
	s_load_dword s20, s[0:1], 0x28
	s_addc_u32 s7, s9, s5
	s_lshl_b64 s[4:5], s[10:11], 3
	s_add_u32 s4, s6, s4
	s_addc_u32 s5, s7, s5
	s_ashr_i32 s27, s26, 31
	v_lshl_add_u32 v22, v33, 6, v34
	s_lshl_b64 s[0:1], s[26:27], 3
	v_and_b32_e32 v2, 31, v34
	v_lshrrev_b32_e32 v8, 5, v22
	s_add_u32 s0, s4, s0
	s_waitcnt lgkmcnt(0)
	s_mul_i32 s28, s20, s26
	s_addc_u32 s1, s5, s1
	v_mad_u64_u32 v[18:19], s[4:5], s20, v8, v[2:3]
	s_ashr_i32 s29, s28, 31
	v_ashrrev_i32_e32 v19, 31, v18
	s_cmp_lg_u32 s24, 0
	v_lshl_add_u64 v[0:1], v[18:19], 3, s[0:1]
	s_cselect_b64 s[30:31], -1, 0
	s_cmp_eq_u32 s24, 0
	v_lshl_add_u64 v[4:5], s[28:29], 3, v[0:1]
	s_cselect_b64 s[34:35], -1, 0
	s_mov_b64 s[0:1], -1
	s_and_b64 vcc, exec, s[30:31]
	s_cbranch_vccnz .LBB108_9
; %bb.8:
	s_lshl_b32 s0, s20, 3
	s_ashr_i32 s1, s0, 31
	s_ashr_i32 s21, s20, 31
	v_lshl_add_u64 v[0:1], s[0:1], 3, v[4:5]
	s_lshl_b64 s[0:1], s[20:21], 6
	v_lshl_add_u64 v[6:7], v[0:1], 0, s[0:1]
	v_lshl_add_u64 v[10:11], v[6:7], 0, s[0:1]
	global_load_dwordx2 v[12:13], v[4:5], off
	global_load_dwordx2 v[14:15], v[0:1], off
	;; [unrolled: 1-line block ×4, first 2 shown]
	v_mul_u32_u24_e32 v0, 0x108, v8
	v_lshl_add_u32 v0, v2, 3, v0
	s_mov_b64 s[0:1], 0
	s_waitcnt vmcnt(3)
	ds_write_b64 v0, v[12:13]
	s_waitcnt vmcnt(2)
	ds_write_b64 v0, v[14:15] offset:2112
	s_waitcnt vmcnt(1)
	ds_write_b64 v0, v[20:21] offset:4224
	;; [unrolled: 2-line block ×3, first 2 shown]
.LBB108_9:
	s_andn2_b64 vcc, exec, s[0:1]
	v_lshlrev_b32_e32 v0, 3, v2
	s_cbranch_vccnz .LBB108_19
; %bb.10:
	v_sub_co_u32_e32 v6, vcc, v4, v0
	s_ashr_i32 s25, s24, 31
	s_nop 0
	v_subbrev_co_u32_e32 v7, vcc, 0, v5, vcc
	v_lshl_add_u64 v[6:7], s[24:25], 3, v[6:7]
	v_lshl_add_u64 v[6:7], v[6:7], 0, -8
	v_cmp_gt_i32_e32 vcc, s24, v2
	v_cmp_gt_i32_e64 s[0:1], s24, v8
	v_mov_b64_e32 v[10:11], 0
	v_cndmask_b32_e32 v7, v7, v5, vcc
	v_cndmask_b32_e32 v6, v6, v4, vcc
	v_mov_b64_e32 v[12:13], 0
	s_and_saveexec_b64 s[4:5], s[0:1]
	s_cbranch_execz .LBB108_12
; %bb.11:
	global_load_dwordx2 v[12:13], v[6:7], off
.LBB108_12:
	s_or_b64 exec, exec, s[4:5]
	s_movk_i32 s0, 0x108
	v_mad_u32_u24 v3, v8, s0, v0
	s_waitcnt vmcnt(0)
	ds_write_b64 v3, v[12:13]
	v_add_u32_e32 v3, 8, v8
	v_mul_u32_u24_e32 v1, 0x108, v8
	v_cmp_gt_i32_e64 s[0:1], s24, v3
	s_and_saveexec_b64 s[4:5], s[0:1]
	s_cbranch_execz .LBB108_14
; %bb.13:
	s_lshl_b32 s0, s20, 3
	s_ashr_i32 s1, s0, 31
	v_lshl_add_u64 v[10:11], s[0:1], 3, v[6:7]
	global_load_dwordx2 v[10:11], v[10:11], off
.LBB108_14:
	s_or_b64 exec, exec, s[4:5]
	v_add_u32_e32 v1, v1, v0
	v_add_u32_e32 v3, 16, v8
	s_waitcnt vmcnt(0)
	ds_write_b64 v1, v[10:11] offset:2112
	v_cmp_gt_i32_e64 s[0:1], s24, v3
	v_mov_b64_e32 v[10:11], 0
	v_mov_b64_e32 v[12:13], 0
	s_and_saveexec_b64 s[4:5], s[0:1]
	s_cbranch_execz .LBB108_16
; %bb.15:
	s_lshl_b32 s0, s20, 4
	s_ashr_i32 s1, s0, 31
	v_lshl_add_u64 v[12:13], s[0:1], 3, v[6:7]
	global_load_dwordx2 v[12:13], v[12:13], off
.LBB108_16:
	s_or_b64 exec, exec, s[4:5]
	v_add_u32_e32 v3, 24, v8
	v_cmp_gt_i32_e64 s[0:1], s24, v3
	s_waitcnt vmcnt(0)
	ds_write_b64 v1, v[12:13] offset:4224
	s_and_saveexec_b64 s[4:5], s[0:1]
	s_cbranch_execz .LBB108_18
; %bb.17:
	s_mul_i32 s0, s20, 24
	s_ashr_i32 s1, s0, 31
	v_lshl_add_u64 v[10:11], s[0:1], 3, v[6:7]
	global_load_dwordx2 v[10:11], v[10:11], off
.LBB108_18:
	s_or_b64 exec, exec, s[4:5]
	s_waitcnt vmcnt(0)
	ds_write_b64 v1, v[10:11] offset:6336
	v_mov_b32_e32 v1, 0
	v_lshl_add_u64 v[6:7], v[6:7], 0, v[0:1]
	s_lshl_b64 s[0:1], s[24:25], 3
	v_mov_b32_e32 v1, s1
	v_subrev_co_u32_e64 v6, s[0:1], s0, v6
	s_nop 1
	v_subb_co_u32_e64 v7, s[0:1], v7, v1, s[0:1]
	v_lshl_add_u64 v[6:7], v[6:7], 0, 8
	v_cndmask_b32_e32 v5, v7, v5, vcc
	v_cndmask_b32_e32 v4, v6, v4, vcc
.LBB108_19:
	v_lshlrev_b32_e32 v9, 2, v8
	v_lshl_or_b32 v1, v2, 8, v0
	v_cmp_lt_u32_e64 s[6:7], v9, v2
	s_waitcnt lgkmcnt(0)
	s_barrier
	s_and_saveexec_b64 s[0:1], s[6:7]
	s_cbranch_execz .LBB108_21
; %bb.20:
	s_movk_i32 s4, 0x420
	v_mad_u32_u24 v3, v8, s4, v0
	ds_read_b64 v[6:7], v3
	v_lshl_add_u32 v3, v9, 3, v1
	s_waitcnt lgkmcnt(0)
	ds_write_b64 v3, v[6:7]
.LBB108_21:
	s_or_b64 exec, exec, s[0:1]
	v_or_b32_e32 v3, 1, v9
	v_cmp_lt_u32_e64 s[8:9], v3, v2
	s_and_saveexec_b64 s[0:1], s[8:9]
	s_cbranch_execz .LBB108_23
; %bb.22:
	s_movk_i32 s4, 0x108
	v_mad_u32_u24 v6, v3, s4, v0
	ds_read_b64 v[6:7], v6
	v_lshl_add_u32 v10, v9, 3, v1
	s_waitcnt lgkmcnt(0)
	ds_write_b64 v10, v[6:7] offset:8
.LBB108_23:
	s_or_b64 exec, exec, s[0:1]
	v_or_b32_e32 v6, 2, v9
	v_cmp_lt_u32_e64 s[10:11], v6, v2
	s_and_saveexec_b64 s[0:1], s[10:11]
	s_cbranch_execz .LBB108_25
; %bb.24:
	s_movk_i32 s4, 0x108
	v_mad_u32_u24 v6, v6, s4, v0
	ds_read_b64 v[6:7], v6
	v_lshl_add_u32 v10, v9, 3, v1
	s_waitcnt lgkmcnt(0)
	ds_write_b64 v10, v[6:7] offset:16
.LBB108_25:
	s_or_b64 exec, exec, s[0:1]
	v_or_b32_e32 v7, 3, v9
	v_cmp_lt_u32_e64 s[12:13], v7, v2
	v_cmp_ge_u32_e32 vcc, v7, v2
                                        ; implicit-def: $vgpr6
	s_and_saveexec_b64 s[0:1], vcc
	s_xor_b64 s[0:1], exec, s[0:1]
; %bb.26:
	v_mul_u32_u24_e32 v6, 0x108, v7
                                        ; implicit-def: $vgpr1
                                        ; implicit-def: $vgpr7
; %bb.27:
	s_andn2_saveexec_b64 s[0:1], s[0:1]
	s_cbranch_execz .LBB108_29
; %bb.28:
	s_movk_i32 s4, 0x108
	v_mad_u32_u24 v6, v7, s4, v0
	ds_read_b64 v[10:11], v6
	v_lshl_add_u32 v1, v9, 3, v1
	v_mul_u32_u24_e32 v6, 0x108, v7
	s_waitcnt lgkmcnt(0)
	ds_write_b64 v1, v[10:11] offset:24
.LBB108_29:
	s_or_b64 exec, exec, s[0:1]
	s_movk_i32 s0, 0x420
	v_mad_u32_u24 v1, v8, s0, v0
	s_movk_i32 s0, 0x108
	s_waitcnt lgkmcnt(0)
	s_barrier
	v_lshlrev_b32_e32 v11, 3, v9
	ds_read_b64 v[20:21], v1
	ds_read_b128 v[12:15], v11 offset:9088
	v_mad_u32_u24 v1, v3, s0, v0
	ds_read2_b64 v[24:27], v1 offset1:33
	v_add_u32_e32 v10, v0, v6
	ds_read_b128 v[28:31], v11 offset:9104
	ds_read_b64 v[6:7], v10
	s_waitcnt lgkmcnt(3)
	v_fma_f64 v[12:13], v[20:21], v[12:13], 0
	v_mul_u32_u24_e32 v1, 33, v2
	s_waitcnt lgkmcnt(2)
	v_fmac_f64_e32 v[12:13], v[24:25], v[14:15]
	s_waitcnt lgkmcnt(1)
	v_fmac_f64_e32 v[12:13], v[26:27], v[28:29]
	v_lshlrev_b32_e32 v23, 3, v1
	v_mov_b64_e32 v[36:37], 0
	s_waitcnt lgkmcnt(0)
	v_fmac_f64_e32 v[12:13], v[6:7], v[30:31]
	v_lshl_add_u32 v24, v8, 3, v23
	v_cmp_gt_u32_e64 s[4:5], 32, v22
	s_barrier
	ds_write_b64 v24, v[12:13]
	s_waitcnt lgkmcnt(0)
	s_barrier
	s_and_saveexec_b64 s[0:1], s[4:5]
	s_cbranch_execz .LBB108_31
; %bb.30:
	ds_read2_b64 v[12:15], v23 offset1:1
	ds_read2_b64 v[26:29], v23 offset0:2 offset1:3
	ds_read2_b64 v[36:39], v23 offset0:4 offset1:5
	s_waitcnt lgkmcnt(2)
	v_add_f64 v[6:7], v[12:13], v[14:15]
	ds_read2_b64 v[12:15], v23 offset0:6 offset1:7
	s_waitcnt lgkmcnt(2)
	v_add_f64 v[6:7], v[6:7], v[26:27]
	v_add_f64 v[6:7], v[6:7], v[28:29]
	s_waitcnt lgkmcnt(1)
	v_add_f64 v[6:7], v[6:7], v[36:37]
	v_add_f64 v[6:7], v[6:7], v[38:39]
	;; [unrolled: 3-line block ×3, first 2 shown]
.LBB108_31:
	s_or_b64 exec, exec, s[0:1]
	s_lshl_b32 s36, s20, 5
	s_ashr_i32 s37, s36, 31
	v_cndmask_b32_e64 v1, 0, 1, s[34:35]
	v_lshl_add_u64 v[6:7], s[36:37], 3, v[4:5]
	s_mov_b64 s[0:1], 0x100
	v_cmp_ne_u32_e64 s[14:15], 1, v1
	s_andn2_b64 vcc, exec, s[34:35]
	s_mov_b64 s[34:35], -1
	s_barrier
	s_cbranch_vccnz .LBB108_33
; %bb.32:
	s_lshl_b32 s34, s20, 3
	s_ashr_i32 s35, s34, 31
	s_ashr_i32 s21, s20, 31
	v_lshl_add_u64 v[4:5], s[34:35], 3, v[6:7]
	s_lshl_b64 s[34:35], s[20:21], 6
	v_lshl_add_u64 v[12:13], v[4:5], 0, s[34:35]
	v_lshl_add_u64 v[14:15], v[12:13], 0, s[34:35]
	global_load_dwordx2 v[20:21], v[6:7], off offset:256
	global_load_dwordx2 v[26:27], v[4:5], off offset:256
	;; [unrolled: 1-line block ×4, first 2 shown]
	s_movk_i32 s21, 0x108
	v_mad_u32_u24 v1, v8, s21, v0
	s_mov_b64 s[34:35], 0
	s_waitcnt vmcnt(3)
	ds_write_b64 v1, v[20:21]
	s_waitcnt vmcnt(2)
	ds_write_b64 v1, v[26:27] offset:2112
	s_waitcnt vmcnt(1)
	ds_write_b64 v1, v[28:29] offset:4224
	;; [unrolled: 2-line block ×3, first 2 shown]
.LBB108_33:
	s_andn2_b64 vcc, exec, s[34:35]
	v_lshl_add_u64 v[4:5], v[6:7], 0, s[0:1]
	s_cbranch_vccnz .LBB108_43
; %bb.34:
	v_sub_co_u32_e32 v6, vcc, v6, v0
	s_ashr_i32 s25, s24, 31
	s_nop 0
	v_subbrev_co_u32_e32 v7, vcc, 0, v7, vcc
	v_or_b32_e32 v1, 32, v2
	v_lshl_add_u64 v[6:7], s[24:25], 3, v[6:7]
	v_lshl_add_u64 v[6:7], v[6:7], 0, -8
	v_cmp_gt_i32_e32 vcc, s24, v1
	s_sub_i32 s21, s24, 32
	v_cmp_gt_i32_e64 s[0:1], s21, v8
	v_cndmask_b32_e32 v7, v7, v5, vcc
	v_cndmask_b32_e32 v6, v6, v4, vcc
	v_mov_b64_e32 v[12:13], 0
	v_mov_b64_e32 v[14:15], 0
	s_and_saveexec_b64 s[34:35], s[0:1]
	s_cbranch_execz .LBB108_36
; %bb.35:
	global_load_dwordx2 v[14:15], v[6:7], off
.LBB108_36:
	s_or_b64 exec, exec, s[34:35]
	s_movk_i32 s0, 0x108
	v_mad_u32_u24 v20, v8, s0, v0
	s_waitcnt vmcnt(0)
	ds_write_b64 v20, v[14:15]
	v_add_u32_e32 v14, 8, v8
	v_mul_u32_u24_e32 v1, 0x108, v8
	v_cmp_gt_i32_e64 s[0:1], s21, v14
	s_and_saveexec_b64 s[34:35], s[0:1]
	s_cbranch_execz .LBB108_38
; %bb.37:
	s_lshl_b32 s0, s20, 3
	s_ashr_i32 s1, s0, 31
	v_lshl_add_u64 v[12:13], s[0:1], 3, v[6:7]
	global_load_dwordx2 v[12:13], v[12:13], off
.LBB108_38:
	s_or_b64 exec, exec, s[34:35]
	v_add_u32_e32 v1, v1, v0
	s_waitcnt vmcnt(0)
	ds_write_b64 v1, v[12:13] offset:2112
	v_add_u32_e32 v12, 16, v8
	v_cmp_gt_i32_e64 s[0:1], s21, v12
	v_mov_b64_e32 v[12:13], 0
	v_mov_b64_e32 v[14:15], 0
	s_and_saveexec_b64 s[34:35], s[0:1]
	s_cbranch_execz .LBB108_40
; %bb.39:
	s_lshl_b32 s0, s20, 4
	s_ashr_i32 s1, s0, 31
	v_lshl_add_u64 v[14:15], s[0:1], 3, v[6:7]
	global_load_dwordx2 v[14:15], v[14:15], off
.LBB108_40:
	s_or_b64 exec, exec, s[34:35]
	s_waitcnt vmcnt(0)
	ds_write_b64 v1, v[14:15] offset:4224
	v_add_u32_e32 v14, 24, v8
	v_cmp_gt_i32_e64 s[0:1], s21, v14
	s_and_saveexec_b64 s[34:35], s[0:1]
	s_cbranch_execz .LBB108_42
; %bb.41:
	s_mul_i32 s0, s20, 24
	s_ashr_i32 s1, s0, 31
	v_lshl_add_u64 v[12:13], s[0:1], 3, v[6:7]
	global_load_dwordx2 v[12:13], v[12:13], off
.LBB108_42:
	s_or_b64 exec, exec, s[34:35]
	s_waitcnt vmcnt(0)
	ds_write_b64 v1, v[12:13] offset:6336
	v_mov_b32_e32 v1, 0
	v_lshl_add_u64 v[6:7], v[6:7], 0, v[0:1]
	s_lshl_b64 s[0:1], s[24:25], 3
	v_mov_b32_e32 v1, s1
	v_subrev_co_u32_e64 v6, s[0:1], s0, v6
	s_nop 1
	v_subb_co_u32_e64 v7, s[0:1], v7, v1, s[0:1]
	s_mov_b64 s[0:1], 0x108
	s_nop 0
	v_lshl_add_u64 v[6:7], v[6:7], 0, s[0:1]
	v_cndmask_b32_e32 v5, v7, v5, vcc
	v_cndmask_b32_e32 v4, v6, v4, vcc
.LBB108_43:
	v_mul_u32_u24_e32 v1, 0x420, v8
	v_add_u32_e32 v6, 0x2380, v11
	v_mul_u32_u24_e32 v3, 0x108, v3
	v_add_u32_e32 v1, v0, v1
	s_waitcnt lgkmcnt(0)
	s_barrier
	s_and_saveexec_b64 s[0:1], s[6:7]
	s_cbranch_execnz .LBB108_52
; %bb.44:
	s_or_b64 exec, exec, s[0:1]
	v_add_u32_e32 v3, v0, v3
	s_and_saveexec_b64 s[0:1], s[8:9]
	s_cbranch_execnz .LBB108_53
.LBB108_45:
	s_or_b64 exec, exec, s[0:1]
	s_and_saveexec_b64 s[0:1], s[10:11]
	s_cbranch_execnz .LBB108_54
.LBB108_46:
	s_or_b64 exec, exec, s[0:1]
	s_and_saveexec_b64 s[0:1], s[12:13]
	s_cbranch_execz .LBB108_48
.LBB108_47:
	ds_read_b64 v[12:13], v10
	v_lshl_add_u32 v7, v9, 3, v23
	s_waitcnt lgkmcnt(0)
	ds_write_b64 v7, v[12:13] offset:24
.LBB108_48:
	s_or_b64 exec, exec, s[0:1]
	s_waitcnt lgkmcnt(0)
	s_barrier
	ds_read_b64 v[20:21], v1
	ds_read_b128 v[12:15], v6 offset:256
	ds_read2_b64 v[26:29], v3 offset1:33
	ds_read_b128 v[38:41], v6 offset:272
	ds_read_b64 v[10:11], v10
	v_cmp_eq_u32_e64 s[6:7], 1, v8
	s_waitcnt lgkmcnt(3)
	v_fma_f64 v[12:13], v[20:21], v[12:13], 0
	s_waitcnt lgkmcnt(2)
	v_fmac_f64_e32 v[12:13], v[26:27], v[14:15]
	s_waitcnt lgkmcnt(1)
	v_fmac_f64_e32 v[12:13], v[28:29], v[38:39]
	;; [unrolled: 2-line block ×3, first 2 shown]
	s_barrier
	ds_write_b64 v24, v[12:13]
	s_waitcnt lgkmcnt(0)
	s_barrier
	s_and_saveexec_b64 s[0:1], s[6:7]
	s_cbranch_execz .LBB108_50
; %bb.49:
	ds_read2_b64 v[10:13], v23 offset1:1
	ds_read2_b64 v[26:29], v23 offset0:2 offset1:3
	ds_read2_b64 v[36:39], v23 offset0:4 offset1:5
	s_waitcnt lgkmcnt(2)
	v_add_f64 v[14:15], v[10:11], v[12:13]
	ds_read2_b64 v[10:13], v23 offset0:6 offset1:7
	s_waitcnt lgkmcnt(2)
	v_add_f64 v[14:15], v[14:15], v[26:27]
	v_add_f64 v[14:15], v[14:15], v[28:29]
	s_waitcnt lgkmcnt(1)
	v_add_f64 v[14:15], v[14:15], v[36:37]
	v_add_f64 v[14:15], v[14:15], v[38:39]
	;; [unrolled: 3-line block ×3, first 2 shown]
.LBB108_50:
	s_or_b64 exec, exec, s[0:1]
	s_lshl_b64 s[0:1], s[36:37], 3
	v_mov_b32_e32 v1, s1
	v_subrev_co_u32_e64 v20, s[0:1], s0, v4
	s_and_b64 vcc, exec, s[14:15]
	s_nop 0
	v_subb_co_u32_e64 v21, s[0:1], v5, v1, s[0:1]
	s_barrier
	s_cbranch_vccnz .LBB108_55
; %bb.51:
	s_lshl_b32 s0, s20, 3
	s_ashr_i32 s1, s0, 31
	s_ashr_i32 s21, s20, 31
	v_lshl_add_u64 v[4:5], s[0:1], 3, v[20:21]
	s_lshl_b64 s[0:1], s[20:21], 6
	v_lshl_add_u64 v[10:11], v[4:5], 0, s[0:1]
	v_lshl_add_u64 v[12:13], v[10:11], 0, s[0:1]
	global_load_dwordx2 v[14:15], v[20:21], off
	global_load_dwordx2 v[26:27], v[4:5], off
	;; [unrolled: 1-line block ×4, first 2 shown]
	s_movk_i32 s0, 0x108
	v_mov_b32_e32 v1, 0x840
	v_mov_b32_e32 v3, 0x1080
	;; [unrolled: 1-line block ×3, first 2 shown]
	v_mul_u32_u24_e32 v5, 0x108, v8
	v_add_u32_e32 v4, 8, v8
	v_add_u32_e32 v7, 16, v8
	;; [unrolled: 1-line block ×3, first 2 shown]
	v_mad_u32_u24 v25, v8, s0, v0
	v_mad_u32_u24 v10, v8, s0, v1
	;; [unrolled: 1-line block ×4, first 2 shown]
	v_add_u32_e32 v1, v0, v10
	v_add_u32_e32 v3, v0, v12
	;; [unrolled: 1-line block ×3, first 2 shown]
	s_waitcnt vmcnt(3)
	ds_write_b64 v25, v[14:15]
	s_waitcnt vmcnt(2)
	ds_write_b64 v1, v[26:27]
	;; [unrolled: 2-line block ×4, first 2 shown]
	s_cbranch_execz .LBB108_56
	s_branch .LBB108_65
.LBB108_52:
	ds_read_b64 v[12:13], v1
	v_lshl_add_u32 v7, v9, 3, v23
	s_waitcnt lgkmcnt(0)
	ds_write_b64 v7, v[12:13]
	s_or_b64 exec, exec, s[0:1]
	v_add_u32_e32 v3, v0, v3
	s_and_saveexec_b64 s[0:1], s[8:9]
	s_cbranch_execz .LBB108_45
.LBB108_53:
	ds_read_b64 v[12:13], v3
	v_lshl_add_u32 v7, v9, 3, v23
	s_waitcnt lgkmcnt(0)
	ds_write_b64 v7, v[12:13] offset:8
	s_or_b64 exec, exec, s[0:1]
	s_and_saveexec_b64 s[0:1], s[10:11]
	s_cbranch_execz .LBB108_46
.LBB108_54:
	ds_read_b64 v[12:13], v3 offset:264
	v_lshl_add_u32 v7, v9, 3, v23
	s_waitcnt lgkmcnt(0)
	ds_write_b64 v7, v[12:13] offset:16
	s_or_b64 exec, exec, s[0:1]
	s_and_saveexec_b64 s[0:1], s[12:13]
	s_cbranch_execnz .LBB108_47
	s_branch .LBB108_48
.LBB108_55:
                                        ; implicit-def: $vgpr5
                                        ; implicit-def: $vgpr4
                                        ; implicit-def: $vgpr10
                                        ; implicit-def: $vgpr7
                                        ; implicit-def: $vgpr12
                                        ; implicit-def: $vgpr11
                                        ; implicit-def: $vgpr13
.LBB108_56:
	v_or_b32_e32 v1, 32, v2
	v_sub_co_u32_e32 v2, vcc, v20, v0
	s_ashr_i32 s25, s24, 31
	s_nop 0
	v_subbrev_co_u32_e32 v3, vcc, 0, v21, vcc
	s_movk_i32 s0, 0xfef8
	v_lshl_add_u64 v[2:3], s[24:25], 3, v[2:3]
	s_mov_b32 s1, -1
	v_lshl_add_u64 v[2:3], v[2:3], 0, s[0:1]
	v_cmp_gt_i32_e32 vcc, s24, v1
	v_cmp_gt_i32_e64 s[0:1], s24, v8
	v_mov_b64_e32 v[12:13], 0
	v_cndmask_b32_e32 v3, v3, v21, vcc
	v_cndmask_b32_e32 v2, v2, v20, vcc
	v_mov_b64_e32 v[10:11], 0
	s_and_saveexec_b64 s[8:9], s[0:1]
	s_cbranch_execz .LBB108_58
; %bb.57:
	global_load_dwordx2 v[10:11], v[2:3], off
.LBB108_58:
	s_or_b64 exec, exec, s[8:9]
	s_movk_i32 s0, 0x108
	v_add_u32_e32 v4, 8, v8
	v_mul_u32_u24_e32 v5, 0x108, v8
	v_mad_u32_u24 v1, v8, s0, v0
	v_cmp_gt_i32_e64 s[0:1], s24, v4
	s_waitcnt vmcnt(0)
	ds_write_b64 v1, v[10:11]
	s_and_saveexec_b64 s[8:9], s[0:1]
	s_cbranch_execz .LBB108_60
; %bb.59:
	s_lshl_b32 s0, s20, 3
	s_ashr_i32 s1, s0, 31
	v_lshl_add_u64 v[10:11], s[0:1], 3, v[2:3]
	global_load_dwordx2 v[12:13], v[10:11], off
.LBB108_60:
	s_or_b64 exec, exec, s[8:9]
	v_add_u32_e32 v10, 0x840, v5
	v_add_u32_e32 v7, 16, v8
	;; [unrolled: 1-line block ×3, first 2 shown]
	v_cmp_gt_i32_e64 s[0:1], s24, v7
	v_mov_b64_e32 v[14:15], 0
	v_mov_b64_e32 v[26:27], 0
	s_waitcnt vmcnt(0)
	ds_write_b64 v1, v[12:13]
	s_and_saveexec_b64 s[8:9], s[0:1]
	s_cbranch_execz .LBB108_62
; %bb.61:
	s_lshl_b32 s0, s20, 4
	s_ashr_i32 s1, s0, 31
	v_lshl_add_u64 v[12:13], s[0:1], 3, v[2:3]
	global_load_dwordx2 v[26:27], v[12:13], off
.LBB108_62:
	s_or_b64 exec, exec, s[8:9]
	v_add_u32_e32 v12, 0x840, v10
	v_add_u32_e32 v11, 24, v8
	;; [unrolled: 1-line block ×3, first 2 shown]
	v_cmp_gt_i32_e64 s[0:1], s24, v11
	s_waitcnt vmcnt(0)
	ds_write_b64 v1, v[26:27]
	s_and_saveexec_b64 s[8:9], s[0:1]
	s_cbranch_execz .LBB108_64
; %bb.63:
	s_mul_i32 s0, s20, 24
	s_ashr_i32 s1, s0, 31
	v_lshl_add_u64 v[14:15], s[0:1], 3, v[2:3]
	global_load_dwordx2 v[14:15], v[14:15], off
.LBB108_64:
	s_or_b64 exec, exec, s[8:9]
	v_add_u32_e32 v13, 0x840, v12
	v_add_u32_e32 v1, v0, v13
	s_waitcnt vmcnt(0)
	ds_write_b64 v1, v[14:15]
	v_mov_b32_e32 v1, 0
	v_lshl_add_u64 v[2:3], v[2:3], 0, v[0:1]
	s_lshl_b64 s[0:1], s[24:25], 3
	v_mov_b32_e32 v1, s1
	v_subrev_co_u32_e64 v2, s[0:1], s0, v2
	s_nop 1
	v_subb_co_u32_e64 v3, s[0:1], v3, v1, s[0:1]
	s_mov_b64 s[0:1], 0x108
	s_nop 0
	v_lshl_add_u64 v[2:3], v[2:3], 0, s[0:1]
	v_cndmask_b32_e32 v21, v3, v21, vcc
	v_cndmask_b32_e32 v20, v2, v20, vcc
.LBB108_65:
	v_add_u32_e32 v1, v0, v5
	v_lshlrev_b32_e32 v2, 3, v8
	v_add_u32_e32 v3, v0, v10
	v_lshlrev_b32_e32 v4, 3, v4
	s_waitcnt lgkmcnt(0)
	s_barrier
	ds_read_b64 v[26:27], v1
	ds_read_b64 v[28:29], v2 offset:9088
	ds_read_b64 v[30:31], v3
	ds_read_b64 v[38:39], v4 offset:9088
	v_add_u32_e32 v1, v0, v12
	v_lshlrev_b32_e32 v2, 3, v7
	v_add_u32_e32 v0, v0, v13
	v_lshlrev_b32_e32 v3, 3, v11
	v_lshl_add_u32 v4, v9, 3, v23
	ds_read_b64 v[40:41], v1
	ds_read_b64 v[42:43], v2 offset:9088
	ds_read_b64 v[44:45], v0
	ds_read_b64 v[46:47], v3 offset:9088
	ds_read_b128 v[8:11], v6 offset:256
	ds_read_b128 v[0:3], v6 offset:272
	ds_read2_b64 v[12:15], v4 offset1:1
	ds_read2_b64 v[4:7], v4 offset0:2 offset1:3
	s_waitcnt lgkmcnt(10)
	v_fma_f64 v[26:27], v[26:27], v[28:29], 0
	s_waitcnt lgkmcnt(8)
	v_fmac_f64_e32 v[26:27], v[30:31], v[38:39]
	s_waitcnt lgkmcnt(6)
	v_fmac_f64_e32 v[26:27], v[40:41], v[42:43]
	;; [unrolled: 2-line block ×3, first 2 shown]
	s_waitcnt lgkmcnt(0)
	s_barrier
	ds_write_b64 v24, v[26:27]
	s_waitcnt lgkmcnt(0)
	s_barrier
	s_and_saveexec_b64 s[0:1], s[6:7]
	s_cbranch_execz .LBB108_67
; %bb.66:
	ds_read2_b64 v[26:29], v23 offset1:1
	ds_read2_b64 v[38:41], v23 offset0:2 offset1:3
	ds_read2_b64 v[42:45], v23 offset0:4 offset1:5
	s_waitcnt lgkmcnt(2)
	v_add_f64 v[26:27], v[36:37], v[26:27]
	v_add_f64 v[30:31], v[26:27], v[28:29]
	ds_read2_b64 v[26:29], v23 offset0:6 offset1:7
	s_waitcnt lgkmcnt(2)
	v_add_f64 v[30:31], v[30:31], v[38:39]
	v_add_f64 v[30:31], v[30:31], v[40:41]
	s_waitcnt lgkmcnt(1)
	v_add_f64 v[30:31], v[30:31], v[42:43]
	v_add_f64 v[30:31], v[30:31], v[44:45]
	;; [unrolled: 3-line block ×3, first 2 shown]
.LBB108_67:
	s_or_b64 exec, exec, s[0:1]
	v_fma_f64 v[8:9], v[12:13], v[8:9], 0
	v_fmac_f64_e32 v[8:9], v[14:15], v[10:11]
	v_fmac_f64_e32 v[8:9], v[4:5], v[0:1]
	;; [unrolled: 1-line block ×3, first 2 shown]
	s_barrier
	ds_write_b64 v24, v[8:9]
	s_waitcnt lgkmcnt(0)
	s_barrier
	s_and_saveexec_b64 s[0:1], s[4:5]
	s_cbranch_execz .LBB108_69
; %bb.68:
	ds_read2_b64 v[0:3], v23 offset1:1
	ds_read2_b64 v[4:7], v23 offset0:2 offset1:3
	ds_read2_b64 v[8:11], v23 offset0:4 offset1:5
	s_waitcnt lgkmcnt(2)
	v_add_f64 v[0:1], v[36:37], v[0:1]
	v_add_f64 v[12:13], v[0:1], v[2:3]
	ds_read2_b64 v[0:3], v23 offset0:6 offset1:7
	s_waitcnt lgkmcnt(2)
	v_add_f64 v[4:5], v[12:13], v[4:5]
	v_add_f64 v[4:5], v[4:5], v[6:7]
	s_waitcnt lgkmcnt(1)
	v_add_f64 v[4:5], v[4:5], v[8:9]
	v_add_f64 v[4:5], v[4:5], v[10:11]
	;; [unrolled: 3-line block ×3, first 2 shown]
.LBB108_69:
	s_or_b64 exec, exec, s[0:1]
	s_mul_hi_u32 s0, s38, s3
	s_mul_i32 s40, s40, s3
	s_add_i32 s0, s0, s40
	s_mul_i32 s3, s38, s3
	s_mul_i32 s0, s0, s39
	s_mul_hi_u32 s1, s3, s39
	s_add_i32 s1, s1, s0
	s_mul_i32 s0, s3, s39
	s_lshl_b64 s[0:1], s[0:1], 3
	s_add_u32 s3, s22, s0
	s_mul_i32 s0, s38, s2
	s_addc_u32 s4, s23, s1
	s_ashr_i32 s1, s0, 31
	s_lshl_b64 s[0:1], s[0:1], 3
	s_add_u32 s6, s3, s0
	v_cmp_le_i32_e32 vcc, s24, v34
	s_addc_u32 s7, s4, s1
	s_and_b64 vcc, s[30:31], vcc
	s_cmp_lt_i32 s2, 1
	v_lshlrev_b32_e32 v74, 3, v34
	s_barrier
	s_cbranch_scc1 .LBB108_76
; %bb.70:
	s_mul_i32 s0, s33, s26
	s_ashr_i32 s1, s0, 31
	s_lshl_b64 s[0:1], s[0:1], 3
	v_mov_b32_e32 v0, s1
	v_subrev_co_u32_e64 v38, s[0:1], s0, v16
	s_ashr_i32 s25, s24, 31
	s_nop 0
	v_subb_co_u32_e64 v39, s[0:1], v17, v0, s[0:1]
	s_lshl_b64 s[0:1], s[28:29], 3
	s_nop 0
	v_mov_b32_e32 v0, s1
	v_subrev_co_u32_e64 v2, s[0:1], s0, v20
	v_lshrrev_b32_e32 v4, 4, v22
	s_nop 0
	v_subb_co_u32_e64 v3, s[0:1], v21, v0, s[0:1]
	v_lshlrev_b64 v[0:1], 3, v[18:19]
	v_sub_co_u32_e64 v0, s[0:1], v2, v0
	v_mul_lo_u32 v2, v33, s20
	s_nop 0
	v_subb_co_u32_e64 v1, s[0:1], v3, v1, s[0:1]
	v_lshl_add_u32 v2, v2, 2, v34
	v_ashrrev_i32_e32 v3, 31, v2
	s_movk_i32 s0, 0xff00
	v_lshl_add_u64 v[0:1], v[2:3], 3, v[0:1]
	s_mov_b32 s1, -1
	v_lshl_add_u64 v[2:3], v[0:1], 0, s[0:1]
	v_sub_co_u32_e64 v0, s[0:1], v0, v74
	v_and_b32_e32 v5, 15, v34
	s_nop 0
	v_subbrev_co_u32_e64 v1, s[0:1], 0, v1, s[0:1]
	s_movk_i32 s0, 0xfef8
	v_lshl_add_u64 v[0:1], s[24:25], 3, v[0:1]
	s_mov_b32 s1, -1
	v_lshl_add_u64 v[0:1], v[0:1], 0, s[0:1]
	v_cndmask_b32_e32 v41, v3, v1, vcc
	v_cndmask_b32_e32 v40, v2, v0, vcc
	v_mov_b32_e32 v0, 0x2180
	s_movk_i32 s0, 0x860
	v_and_b32_e32 v1, 48, v34
	v_lshl_add_u32 v76, v33, 5, v0
	v_mad_u32_u24 v78, v33, s0, v74
	v_lshlrev_b32_e32 v0, 5, v4
	s_movk_i32 s0, 0x218
	v_lshlrev_b32_e32 v1, 3, v1
	v_mad_u32_u24 v79, v5, s0, v0
	v_mul_i32_i24_e32 v0, 0xffffffe8, v4
	v_mad_u32_u24 v80, v5, s0, v1
	v_or_b32_e32 v1, 0x78, v74
	s_ashr_i32 s21, s20, 31
	v_mov_b32_e32 v35, 0
	s_lshl_b32 s3, s33, 6
	v_add_u32_e32 v75, 0x2180, v74
	v_add_u32_e32 v77, 0x2380, v74
	v_cmp_gt_u32_e64 s[4:5], 64, v22
	v_mad_u32_u24 v81, v5, s0, v1
	s_lshl_b64 s[0:1], s[20:21], 3
	s_lshl_b64 s[8:9], s[20:21], 9
	;; [unrolled: 1-line block ×3, first 2 shown]
	s_mul_hi_i32 s13, s20, 24
	s_mul_i32 s12, s20, 24
	s_mul_hi_i32 s15, s20, 0x90
	s_mul_i32 s14, s20, 0x90
	s_mul_hi_i32 s23, s20, 0x98
	s_mul_i32 s22, s20, 0x98
	s_mul_hi_i32 s25, s20, 0x110
	s_mul_i32 s24, s20, 0x110
	s_mul_hi_i32 s27, s20, 0x118
	s_mul_i32 s26, s20, 0x118
	s_mul_hi_i32 s29, s20, 0x190
	s_mul_i32 s28, s20, 0x190
	s_mul_hi_i32 s31, s20, 0x198
	s_mul_i32 s30, s20, 0x198
	s_mul_hi_i32 s35, s20, 0x188
	s_mul_i32 s34, s20, 0x188
	s_mul_hi_i32 s37, s20, 0x180
	s_mul_i32 s36, s20, 0x180
	s_mul_hi_i32 s39, s20, 0x108
	s_mul_i32 s38, s20, 0x108
	s_lshl_b64 s[40:41], s[20:21], 8
	s_mul_hi_i32 s43, s20, 0x88
	s_mul_i32 s42, s20, 0x88
	s_lshl_b64 s[20:21], s[20:21], 7
	s_mov_b32 s44, 0
	v_add_u32_e32 v82, v79, v0
	s_branch .LBB108_72
.LBB108_71:                             ;   in Loop: Header=BB108_72 Depth=1
	s_or_b64 exec, exec, s[46:47]
	v_fmac_f64_e32 v[36:37], v[48:49], v[4:5]
	v_fmac_f64_e32 v[36:37], v[46:47], v[6:7]
	v_fmac_f64_e32 v[36:37], v[44:45], v[0:1]
	v_fmac_f64_e32 v[36:37], v[42:43], v[2:3]
	v_fmac_f64_e32 v[36:37], v[56:57], v[12:13]
	v_fmac_f64_e32 v[36:37], v[54:55], v[14:15]
	v_fmac_f64_e32 v[36:37], v[52:53], v[8:9]
	v_fmac_f64_e32 v[36:37], v[50:51], v[10:11]
	v_fmac_f64_e32 v[36:37], v[64:65], v[20:21]
	v_fmac_f64_e32 v[36:37], v[62:63], v[22:23]
	v_fmac_f64_e32 v[36:37], v[60:61], v[16:17]
	v_fmac_f64_e32 v[36:37], v[58:59], v[18:19]
	v_fmac_f64_e32 v[36:37], v[72:73], v[28:29]
	v_fmac_f64_e32 v[36:37], v[70:71], v[30:31]
	v_fmac_f64_e32 v[36:37], v[68:69], v[24:25]
	s_add_i32 s2, s2, -1
	s_add_i32 s44, s44, s3
	v_fmac_f64_e32 v[36:37], v[66:67], v[26:27]
	v_lshl_add_u64 v[40:41], v[40:41], 0, s[8:9]
	s_cmp_eq_u32 s2, 0
	v_add_u32_e32 v34, 64, v34
	s_barrier
	s_cbranch_scc1 .LBB108_76
.LBB108_72:                             ; =>This Inner Loop Header: Depth=1
	s_and_saveexec_b64 s[46:47], s[18:19]
	s_cbranch_execz .LBB108_74
; %bb.73:                               ;   in Loop: Header=BB108_72 Depth=1
	s_ashr_i32 s45, s44, 31
	v_lshl_add_u64 v[0:1], s[44:45], 3, v[38:39]
	global_load_dwordx2 v[0:1], v[0:1], off
	s_waitcnt vmcnt(0)
	ds_write_b64 v75, v[0:1]
.LBB108_74:                             ;   in Loop: Header=BB108_72 Depth=1
	s_or_b64 exec, exec, s[46:47]
	s_waitcnt lgkmcnt(0)
	s_barrier
	v_lshl_add_u64 v[0:1], v[40:41], 0, s[0:1]
	v_lshl_add_u64 v[2:3], v[40:41], 0, s[10:11]
	;; [unrolled: 1-line block ×3, first 2 shown]
	global_load_dwordx2 v[48:49], v[40:41], off
	global_load_dwordx2 v[46:47], v[0:1], off
	;; [unrolled: 1-line block ×4, first 2 shown]
	ds_read_b64 v[8:9], v77
	ds_read_b128 v[4:7], v76
	ds_read_b128 v[0:3], v76 offset:16
	v_lshl_add_u64 v[10:11], v[40:41], 0, s[20:21]
	v_lshl_add_u64 v[12:13], v[40:41], 0, s[42:43]
	;; [unrolled: 1-line block ×9, first 2 shown]
	s_waitcnt vmcnt(3) lgkmcnt(2)
	v_mul_f64 v[18:19], v[48:49], v[8:9]
	s_waitcnt vmcnt(2)
	v_mul_f64 v[20:21], v[46:47], v[8:9]
	s_waitcnt vmcnt(1)
	;; [unrolled: 2-line block ×3, first 2 shown]
	v_mul_f64 v[8:9], v[42:43], v[8:9]
	ds_write2_b64 v78, v[18:19], v[20:21] offset1:67
	ds_write2_b64 v78, v[22:23], v[8:9] offset0:134 offset1:201
	s_waitcnt lgkmcnt(0)
	s_barrier
	ds_read2_b64 v[24:27], v79 offset1:1
	ds_read2_b64 v[28:31], v79 offset0:2 offset1:3
	s_waitcnt lgkmcnt(0)
	s_barrier
	global_load_dwordx2 v[56:57], v[10:11], off
	global_load_dwordx2 v[54:55], v[12:13], off
	;; [unrolled: 1-line block ×4, first 2 shown]
	ds_read_b64 v[20:21], v77
	v_lshl_add_u64 v[16:17], v[40:41], 0, s[40:41]
	v_lshl_add_u64 v[18:19], v[40:41], 0, s[38:39]
	;; [unrolled: 1-line block ×3, first 2 shown]
	ds_read_b128 v[12:15], v76 offset:128
	ds_read_b128 v[8:11], v76 offset:144
	v_add_f64 v[24:25], v[24:25], 0
	v_add_f64 v[24:25], v[24:25], v[26:27]
	;; [unrolled: 1-line block ×3, first 2 shown]
	s_waitcnt vmcnt(3) lgkmcnt(2)
	v_mul_f64 v[58:59], v[56:57], v[20:21]
	s_waitcnt vmcnt(2)
	v_mul_f64 v[60:61], v[54:55], v[20:21]
	s_waitcnt vmcnt(1)
	;; [unrolled: 2-line block ×3, first 2 shown]
	v_mul_f64 v[20:21], v[50:51], v[20:21]
	ds_write2_b64 v78, v[58:59], v[60:61] offset1:67
	ds_write2_b64 v78, v[62:63], v[20:21] offset0:134 offset1:201
	s_waitcnt lgkmcnt(0)
	s_barrier
	ds_read2_b64 v[84:87], v79 offset1:1
	ds_read2_b64 v[88:91], v79 offset0:2 offset1:3
	s_waitcnt lgkmcnt(0)
	s_barrier
	global_load_dwordx2 v[64:65], v[16:17], off
	global_load_dwordx2 v[62:63], v[18:19], off
	;; [unrolled: 1-line block ×4, first 2 shown]
	ds_read_b64 v[66:67], v77
	ds_read_b128 v[20:23], v76 offset:256
	ds_read_b128 v[16:19], v76 offset:272
	s_waitcnt vmcnt(3) lgkmcnt(2)
	v_mul_f64 v[68:69], v[64:65], v[66:67]
	s_waitcnt vmcnt(2)
	v_mul_f64 v[70:71], v[62:63], v[66:67]
	s_waitcnt vmcnt(1)
	;; [unrolled: 2-line block ×3, first 2 shown]
	v_mul_f64 v[66:67], v[58:59], v[66:67]
	ds_write2_b64 v78, v[68:69], v[70:71] offset1:67
	ds_write2_b64 v78, v[72:73], v[66:67] offset0:134 offset1:201
	s_waitcnt lgkmcnt(0)
	s_barrier
	ds_read2_b64 v[92:95], v79 offset1:1
	ds_read2_b64 v[96:99], v79 offset0:2 offset1:3
	s_waitcnt lgkmcnt(0)
	s_barrier
	global_load_dwordx2 v[72:73], v[100:101], off
	global_load_dwordx2 v[70:71], v[102:103], off
	;; [unrolled: 1-line block ×4, first 2 shown]
	v_add_f64 v[100:101], v[24:25], v[30:31]
	v_add_f64 v[24:25], v[84:85], 0
	v_add_f64 v[24:25], v[24:25], v[86:87]
	v_add_f64 v[24:25], v[24:25], v[88:89]
	v_add_f64 v[102:103], v[24:25], v[90:91]
	ds_read_b64 v[84:85], v77
	ds_read_b128 v[28:31], v76 offset:384
	ds_read_b128 v[24:27], v76 offset:400
	v_add_f64 v[86:87], v[92:93], 0
	v_add_f64 v[86:87], v[86:87], v[94:95]
	;; [unrolled: 1-line block ×4, first 2 shown]
	s_waitcnt vmcnt(3) lgkmcnt(2)
	v_mul_f64 v[86:87], v[72:73], v[84:85]
	s_waitcnt vmcnt(2)
	v_mul_f64 v[88:89], v[70:71], v[84:85]
	s_waitcnt vmcnt(1)
	;; [unrolled: 2-line block ×3, first 2 shown]
	v_mul_f64 v[84:85], v[66:67], v[84:85]
	ds_write2_b64 v78, v[86:87], v[88:89] offset1:67
	ds_write2_b64 v78, v[90:91], v[84:85] offset0:134 offset1:201
	s_waitcnt lgkmcnt(0)
	s_barrier
	ds_read2_b64 v[84:87], v79 offset1:1
	ds_read2_b64 v[88:91], v79 offset0:2 offset1:3
	s_waitcnt lgkmcnt(0)
	s_barrier
	v_add_f64 v[84:85], v[84:85], 0
	v_add_f64 v[84:85], v[84:85], v[86:87]
	;; [unrolled: 1-line block ×4, first 2 shown]
	ds_write2_b64 v82, v[100:101], v[102:103] offset1:16
	ds_write2_b64 v82, v[92:93], v[84:85] offset0:32 offset1:48
	s_waitcnt lgkmcnt(0)
	s_barrier
	s_and_saveexec_b64 s[46:47], s[4:5]
	s_cbranch_execz .LBB108_71
; %bb.75:                               ;   in Loop: Header=BB108_72 Depth=1
	ds_read2_b64 v[84:87], v80 offset1:1
	ds_read2_b64 v[88:91], v80 offset0:2 offset1:3
	ds_read2_b64 v[92:95], v80 offset0:4 offset1:5
	ds_read2_b64 v[96:99], v80 offset0:6 offset1:7
	ds_read2_b64 v[100:103], v80 offset0:8 offset1:9
	s_waitcnt lgkmcnt(4)
	v_add_f64 v[84:85], v[84:85], v[86:87]
	s_waitcnt lgkmcnt(3)
	v_add_f64 v[84:85], v[84:85], v[88:89]
	v_add_f64 v[84:85], v[84:85], v[90:91]
	s_waitcnt lgkmcnt(2)
	v_add_f64 v[84:85], v[84:85], v[92:93]
	;; [unrolled: 3-line block ×3, first 2 shown]
	ds_read2_b64 v[84:87], v80 offset0:10 offset1:11
	v_add_f64 v[88:89], v[88:89], v[98:99]
	s_waitcnt lgkmcnt(1)
	v_add_f64 v[88:89], v[88:89], v[100:101]
	v_add_f64 v[92:93], v[88:89], v[102:103]
	ds_read2_b64 v[88:91], v80 offset0:12 offset1:13
	s_waitcnt lgkmcnt(1)
	v_add_f64 v[84:85], v[92:93], v[84:85]
	ds_read_b64 v[92:93], v80 offset:112
	ds_read_b64 v[94:95], v81
	v_add_f64 v[84:85], v[84:85], v[86:87]
	v_lshl_add_u64 v[86:87], v[34:35], 3, s[6:7]
	s_waitcnt lgkmcnt(2)
	v_add_f64 v[84:85], v[84:85], v[88:89]
	v_add_f64 v[84:85], v[84:85], v[90:91]
	s_waitcnt lgkmcnt(1)
	v_add_f64 v[84:85], v[84:85], v[92:93]
	s_waitcnt lgkmcnt(0)
	v_add_f64 v[84:85], v[84:85], v[94:95]
	global_store_dwordx2 v[86:87], v[84:85], off
	s_branch .LBB108_71
.LBB108_76:
	s_movk_i32 s0, 0x218
	v_mad_u32_u24 v0, v33, s0, v74
	s_nor_b64 s[0:1], s[16:17], vcc
	ds_write_b64 v0, v[36:37]
	s_waitcnt lgkmcnt(0)
	s_barrier
	s_and_saveexec_b64 s[2:3], s[0:1]
	s_cbranch_execz .LBB108_78
; %bb.77:
	ds_read2_b64 v[0:3], v74 offset1:67
	ds_read2_b64 v[4:7], v74 offset0:134 offset1:201
	v_ashrrev_i32_e32 v33, 31, v32
	s_waitcnt lgkmcnt(1)
	v_add_f64 v[0:1], v[0:1], v[2:3]
	s_waitcnt lgkmcnt(0)
	v_add_f64 v[0:1], v[0:1], v[4:5]
	v_add_f64 v[0:1], v[0:1], v[6:7]
	v_lshl_add_u64 v[2:3], v[32:33], 3, s[6:7]
	global_store_dwordx2 v[2:3], v[0:1], off
.LBB108_78:
	s_endpgm
	.section	.rodata,"a",@progbits
	.p2align	6, 0x0
	.amdhsa_kernel _ZL26rocblas_hemvn_kernel_lowerILb0ELi64ELi4ELi33ELi32ELi16EiPKdS1_PdEviT6_lT7_lT5_lS4_lS5_lS3_lT8_i
		.amdhsa_group_segment_fixed_size 9600
		.amdhsa_private_segment_fixed_size 0
		.amdhsa_kernarg_size 376
		.amdhsa_user_sgpr_count 2
		.amdhsa_user_sgpr_dispatch_ptr 0
		.amdhsa_user_sgpr_queue_ptr 0
		.amdhsa_user_sgpr_kernarg_segment_ptr 1
		.amdhsa_user_sgpr_dispatch_id 0
		.amdhsa_user_sgpr_kernarg_preload_length 0
		.amdhsa_user_sgpr_kernarg_preload_offset 0
		.amdhsa_user_sgpr_private_segment_size 0
		.amdhsa_uses_dynamic_stack 0
		.amdhsa_enable_private_segment 0
		.amdhsa_system_sgpr_workgroup_id_x 1
		.amdhsa_system_sgpr_workgroup_id_y 0
		.amdhsa_system_sgpr_workgroup_id_z 1
		.amdhsa_system_sgpr_workgroup_info 0
		.amdhsa_system_vgpr_workitem_id 1
		.amdhsa_next_free_vgpr 108
		.amdhsa_next_free_sgpr 48
		.amdhsa_accum_offset 108
		.amdhsa_reserve_vcc 1
		.amdhsa_float_round_mode_32 0
		.amdhsa_float_round_mode_16_64 0
		.amdhsa_float_denorm_mode_32 3
		.amdhsa_float_denorm_mode_16_64 3
		.amdhsa_dx10_clamp 1
		.amdhsa_ieee_mode 1
		.amdhsa_fp16_overflow 0
		.amdhsa_tg_split 0
		.amdhsa_exception_fp_ieee_invalid_op 0
		.amdhsa_exception_fp_denorm_src 0
		.amdhsa_exception_fp_ieee_div_zero 0
		.amdhsa_exception_fp_ieee_overflow 0
		.amdhsa_exception_fp_ieee_underflow 0
		.amdhsa_exception_fp_ieee_inexact 0
		.amdhsa_exception_int_div_zero 0
	.end_amdhsa_kernel
	.section	.text._ZL26rocblas_hemvn_kernel_lowerILb0ELi64ELi4ELi33ELi32ELi16EiPKdS1_PdEviT6_lT7_lT5_lS4_lS5_lS3_lT8_i,"axG",@progbits,_ZL26rocblas_hemvn_kernel_lowerILb0ELi64ELi4ELi33ELi32ELi16EiPKdS1_PdEviT6_lT7_lT5_lS4_lS5_lS3_lT8_i,comdat
.Lfunc_end108:
	.size	_ZL26rocblas_hemvn_kernel_lowerILb0ELi64ELi4ELi33ELi32ELi16EiPKdS1_PdEviT6_lT7_lT5_lS4_lS5_lS3_lT8_i, .Lfunc_end108-_ZL26rocblas_hemvn_kernel_lowerILb0ELi64ELi4ELi33ELi32ELi16EiPKdS1_PdEviT6_lT7_lT5_lS4_lS5_lS3_lT8_i
                                        ; -- End function
	.set _ZL26rocblas_hemvn_kernel_lowerILb0ELi64ELi4ELi33ELi32ELi16EiPKdS1_PdEviT6_lT7_lT5_lS4_lS5_lS3_lT8_i.num_vgpr, 108
	.set _ZL26rocblas_hemvn_kernel_lowerILb0ELi64ELi4ELi33ELi32ELi16EiPKdS1_PdEviT6_lT7_lT5_lS4_lS5_lS3_lT8_i.num_agpr, 0
	.set _ZL26rocblas_hemvn_kernel_lowerILb0ELi64ELi4ELi33ELi32ELi16EiPKdS1_PdEviT6_lT7_lT5_lS4_lS5_lS3_lT8_i.numbered_sgpr, 48
	.set _ZL26rocblas_hemvn_kernel_lowerILb0ELi64ELi4ELi33ELi32ELi16EiPKdS1_PdEviT6_lT7_lT5_lS4_lS5_lS3_lT8_i.num_named_barrier, 0
	.set _ZL26rocblas_hemvn_kernel_lowerILb0ELi64ELi4ELi33ELi32ELi16EiPKdS1_PdEviT6_lT7_lT5_lS4_lS5_lS3_lT8_i.private_seg_size, 0
	.set _ZL26rocblas_hemvn_kernel_lowerILb0ELi64ELi4ELi33ELi32ELi16EiPKdS1_PdEviT6_lT7_lT5_lS4_lS5_lS3_lT8_i.uses_vcc, 1
	.set _ZL26rocblas_hemvn_kernel_lowerILb0ELi64ELi4ELi33ELi32ELi16EiPKdS1_PdEviT6_lT7_lT5_lS4_lS5_lS3_lT8_i.uses_flat_scratch, 0
	.set _ZL26rocblas_hemvn_kernel_lowerILb0ELi64ELi4ELi33ELi32ELi16EiPKdS1_PdEviT6_lT7_lT5_lS4_lS5_lS3_lT8_i.has_dyn_sized_stack, 0
	.set _ZL26rocblas_hemvn_kernel_lowerILb0ELi64ELi4ELi33ELi32ELi16EiPKdS1_PdEviT6_lT7_lT5_lS4_lS5_lS3_lT8_i.has_recursion, 0
	.set _ZL26rocblas_hemvn_kernel_lowerILb0ELi64ELi4ELi33ELi32ELi16EiPKdS1_PdEviT6_lT7_lT5_lS4_lS5_lS3_lT8_i.has_indirect_call, 0
	.section	.AMDGPU.csdata,"",@progbits
; Kernel info:
; codeLenInByte = 5920
; TotalNumSgprs: 54
; NumVgprs: 108
; NumAgprs: 0
; TotalNumVgprs: 108
; ScratchSize: 0
; MemoryBound: 0
; FloatMode: 240
; IeeeMode: 1
; LDSByteSize: 9600 bytes/workgroup (compile time only)
; SGPRBlocks: 6
; VGPRBlocks: 13
; NumSGPRsForWavesPerEU: 54
; NumVGPRsForWavesPerEU: 108
; AccumOffset: 108
; Occupancy: 4
; WaveLimiterHint : 1
; COMPUTE_PGM_RSRC2:SCRATCH_EN: 0
; COMPUTE_PGM_RSRC2:USER_SGPR: 2
; COMPUTE_PGM_RSRC2:TRAP_HANDLER: 0
; COMPUTE_PGM_RSRC2:TGID_X_EN: 1
; COMPUTE_PGM_RSRC2:TGID_Y_EN: 0
; COMPUTE_PGM_RSRC2:TGID_Z_EN: 1
; COMPUTE_PGM_RSRC2:TIDIG_COMP_CNT: 1
; COMPUTE_PGM_RSRC3_GFX90A:ACCUM_OFFSET: 26
; COMPUTE_PGM_RSRC3_GFX90A:TG_SPLIT: 0
	.section	.text._ZL36rocblas_hemvn_kernel_lower_block_sumILi64EiPKdPddEviT1_lS3_lT2_lT0_lPT3_i,"axG",@progbits,_ZL36rocblas_hemvn_kernel_lower_block_sumILi64EiPKdPddEviT1_lS3_lT2_lT0_lPT3_i,comdat
	.globl	_ZL36rocblas_hemvn_kernel_lower_block_sumILi64EiPKdPddEviT1_lS3_lT2_lT0_lPT3_i ; -- Begin function _ZL36rocblas_hemvn_kernel_lower_block_sumILi64EiPKdPddEviT1_lS3_lT2_lT0_lPT3_i
	.p2align	8
	.type	_ZL36rocblas_hemvn_kernel_lower_block_sumILi64EiPKdPddEviT1_lS3_lT2_lT0_lPT3_i,@function
_ZL36rocblas_hemvn_kernel_lower_block_sumILi64EiPKdPddEviT1_lS3_lT2_lT0_lPT3_i: ; @_ZL36rocblas_hemvn_kernel_lower_block_sumILi64EiPKdPddEviT1_lS3_lT2_lT0_lPT3_i
; %bb.0:
	s_load_dwordx8 s[4:11], s[0:1], 0x8
	s_waitcnt lgkmcnt(0)
	s_mul_i32 s7, s7, s3
	s_mul_hi_u32 s12, s6, s3
	s_add_i32 s7, s12, s7
	s_mul_i32 s6, s6, s3
	s_lshl_b64 s[6:7], s[6:7], 3
	s_add_u32 s4, s4, s6
	s_addc_u32 s5, s5, s7
	s_load_dwordx2 s[6:7], s[4:5], 0x0
	s_mul_i32 s4, s11, s3
	s_mul_hi_u32 s5, s10, s3
	s_add_i32 s5, s5, s4
	s_mul_i32 s4, s10, s3
	s_lshl_b64 s[4:5], s[4:5], 3
	s_add_u32 s4, s8, s4
	s_addc_u32 s5, s9, s5
	s_load_dwordx2 s[10:11], s[4:5], 0x0
	s_waitcnt lgkmcnt(0)
	v_cmp_eq_f64_e64 s[4:5], s[6:7], 0
	v_cmp_eq_f64_e64 s[8:9], s[10:11], 1.0
	s_and_b64 s[4:5], s[4:5], s[8:9]
	s_and_b64 vcc, exec, s[4:5]
	s_cbranch_vccnz .LBB109_19
; %bb.1:
	s_load_dwordx2 s[4:5], s[0:1], 0x40
	s_load_dwordx4 s[16:19], s[0:1], 0x28
	s_load_dword s20, s[0:1], 0x38
	s_load_dword s14, s[0:1], 0x0
	v_lshl_or_b32 v6, s2, 6, v0
	s_waitcnt lgkmcnt(0)
	s_mul_i32 s5, s5, s3
	s_mul_hi_u32 s8, s4, s3
	s_add_i32 s5, s8, s5
	s_mul_i32 s4, s4, s3
	s_lshl_b64 s[4:5], s[4:5], 3
	s_add_u32 s8, s16, s4
	s_addc_u32 s9, s17, s5
	s_lshl_b64 s[4:5], s[18:19], 3
	s_add_u32 s8, s8, s4
	s_addc_u32 s9, s9, s5
	v_cmp_neq_f64_e64 s[4:5], s[6:7], 0
	s_mov_b64 s[12:13], 0
	s_and_b64 vcc, exec, s[4:5]
	v_cmp_gt_i32_e64 s[4:5], s14, v6
	s_cbranch_vccnz .LBB109_6
; %bb.2:
	s_mov_b64 s[16:17], 0
                                        ; implicit-def: $vgpr2_vgpr3
                                        ; implicit-def: $vgpr0_vgpr1
	s_and_saveexec_b64 s[18:19], s[4:5]
	s_cbranch_execz .LBB109_7
; %bb.3:
	v_cmp_eq_f64_e64 s[4:5], s[10:11], 0
	v_mul_lo_u32 v0, s20, v6
	v_mov_b64_e32 v[2:3], 0
	v_ashrrev_i32_e32 v1, 31, v0
	s_and_b64 vcc, exec, s[4:5]
	s_cbranch_vccnz .LBB109_5
; %bb.4:
	v_lshl_add_u64 v[2:3], v[0:1], 3, s[8:9]
	global_load_dwordx2 v[2:3], v[2:3], off
	s_waitcnt vmcnt(0)
	v_mul_f64 v[2:3], s[10:11], v[2:3]
.LBB109_5:
	s_mov_b64 s[12:13], exec
	s_or_b64 exec, exec, s[18:19]
	s_and_b64 vcc, exec, s[16:17]
	s_cbranch_vccnz .LBB109_8
	s_branch .LBB109_17
.LBB109_6:
                                        ; implicit-def: $vgpr2_vgpr3
                                        ; implicit-def: $vgpr0_vgpr1
	s_cbranch_execnz .LBB109_8
	s_branch .LBB109_17
.LBB109_7:
	s_or_b64 exec, exec, s[18:19]
	s_and_b64 vcc, exec, s[16:17]
	s_cbranch_vccz .LBB109_17
.LBB109_8:
	v_cmp_gt_i32_e32 vcc, s14, v6
                                        ; implicit-def: $vgpr2_vgpr3
                                        ; implicit-def: $vgpr0_vgpr1
	s_and_saveexec_b64 s[4:5], vcc
	s_cbranch_execz .LBB109_16
; %bb.9:
	s_load_dword s16, s[0:1], 0x58
	v_mov_b64_e32 v[4:5], 0
	s_waitcnt lgkmcnt(0)
	s_cmp_ge_i32 s2, s16
	s_cbranch_scc1 .LBB109_12
; %bb.10:
	s_ashr_i32 s15, s14, 31
	s_mul_i32 s17, s14, s2
	s_load_dwordx2 s[0:1], s[0:1], 0x48
	v_add_u32_e32 v0, s17, v6
	s_mul_hi_u32 s17, s14, s3
	s_mul_i32 s18, s15, s3
	s_add_i32 s17, s17, s18
	s_mul_i32 s3, s14, s3
	s_mul_i32 s17, s17, s16
	s_mul_hi_u32 s18, s3, s16
	s_add_i32 s19, s18, s17
	s_mul_i32 s18, s3, s16
	s_lshl_b64 s[18:19], s[18:19], 3
	s_waitcnt lgkmcnt(0)
	s_add_u32 s0, s0, s18
	v_ashrrev_i32_e32 v1, 31, v0
	s_addc_u32 s1, s1, s19
	v_lshl_add_u64 v[0:1], v[0:1], 3, s[0:1]
	s_lshl_b64 s[0:1], s[14:15], 3
	v_mov_b64_e32 v[4:5], 0
.LBB109_11:                             ; =>This Inner Loop Header: Depth=1
	global_load_dwordx2 v[2:3], v[0:1], off
	s_add_i32 s2, s2, 1
	v_lshl_add_u64 v[0:1], v[0:1], 0, s[0:1]
	s_cmp_ge_i32 s2, s16
	s_waitcnt vmcnt(0)
	v_add_f64 v[4:5], v[4:5], v[2:3]
	s_cbranch_scc0 .LBB109_11
.LBB109_12:
	v_cmp_eq_f64_e64 s[2:3], s[10:11], 0
	v_mul_lo_u32 v0, s20, v6
	s_mov_b64 s[0:1], 0
	s_and_b64 vcc, exec, s[2:3]
	v_ashrrev_i32_e32 v1, 31, v0
	s_cbranch_vccz .LBB109_20
; %bb.13:
	v_mul_f64 v[2:3], s[6:7], v[4:5]
	s_andn2_b64 vcc, exec, s[0:1]
	s_cbranch_vccnz .LBB109_15
.LBB109_14:
	v_lshl_add_u64 v[2:3], v[0:1], 3, s[8:9]
	global_load_dwordx2 v[2:3], v[2:3], off
	s_waitcnt vmcnt(0)
	v_mul_f64 v[2:3], s[10:11], v[2:3]
	v_fmac_f64_e32 v[2:3], s[6:7], v[4:5]
.LBB109_15:
	s_or_b64 s[12:13], s[12:13], exec
.LBB109_16:
	s_or_b64 exec, exec, s[4:5]
.LBB109_17:
	s_and_saveexec_b64 s[0:1], s[12:13]
	s_cbranch_execz .LBB109_19
; %bb.18:
	v_lshl_add_u64 v[0:1], v[0:1], 3, s[8:9]
	global_store_dwordx2 v[0:1], v[2:3], off
.LBB109_19:
	s_endpgm
.LBB109_20:
                                        ; implicit-def: $vgpr2_vgpr3
	s_branch .LBB109_14
	.section	.rodata,"a",@progbits
	.p2align	6, 0x0
	.amdhsa_kernel _ZL36rocblas_hemvn_kernel_lower_block_sumILi64EiPKdPddEviT1_lS3_lT2_lT0_lPT3_i
		.amdhsa_group_segment_fixed_size 0
		.amdhsa_private_segment_fixed_size 0
		.amdhsa_kernarg_size 344
		.amdhsa_user_sgpr_count 2
		.amdhsa_user_sgpr_dispatch_ptr 0
		.amdhsa_user_sgpr_queue_ptr 0
		.amdhsa_user_sgpr_kernarg_segment_ptr 1
		.amdhsa_user_sgpr_dispatch_id 0
		.amdhsa_user_sgpr_kernarg_preload_length 0
		.amdhsa_user_sgpr_kernarg_preload_offset 0
		.amdhsa_user_sgpr_private_segment_size 0
		.amdhsa_uses_dynamic_stack 0
		.amdhsa_enable_private_segment 0
		.amdhsa_system_sgpr_workgroup_id_x 1
		.amdhsa_system_sgpr_workgroup_id_y 0
		.amdhsa_system_sgpr_workgroup_id_z 1
		.amdhsa_system_sgpr_workgroup_info 0
		.amdhsa_system_vgpr_workitem_id 0
		.amdhsa_next_free_vgpr 7
		.amdhsa_next_free_sgpr 21
		.amdhsa_accum_offset 8
		.amdhsa_reserve_vcc 1
		.amdhsa_float_round_mode_32 0
		.amdhsa_float_round_mode_16_64 0
		.amdhsa_float_denorm_mode_32 3
		.amdhsa_float_denorm_mode_16_64 3
		.amdhsa_dx10_clamp 1
		.amdhsa_ieee_mode 1
		.amdhsa_fp16_overflow 0
		.amdhsa_tg_split 0
		.amdhsa_exception_fp_ieee_invalid_op 0
		.amdhsa_exception_fp_denorm_src 0
		.amdhsa_exception_fp_ieee_div_zero 0
		.amdhsa_exception_fp_ieee_overflow 0
		.amdhsa_exception_fp_ieee_underflow 0
		.amdhsa_exception_fp_ieee_inexact 0
		.amdhsa_exception_int_div_zero 0
	.end_amdhsa_kernel
	.section	.text._ZL36rocblas_hemvn_kernel_lower_block_sumILi64EiPKdPddEviT1_lS3_lT2_lT0_lPT3_i,"axG",@progbits,_ZL36rocblas_hemvn_kernel_lower_block_sumILi64EiPKdPddEviT1_lS3_lT2_lT0_lPT3_i,comdat
.Lfunc_end109:
	.size	_ZL36rocblas_hemvn_kernel_lower_block_sumILi64EiPKdPddEviT1_lS3_lT2_lT0_lPT3_i, .Lfunc_end109-_ZL36rocblas_hemvn_kernel_lower_block_sumILi64EiPKdPddEviT1_lS3_lT2_lT0_lPT3_i
                                        ; -- End function
	.set _ZL36rocblas_hemvn_kernel_lower_block_sumILi64EiPKdPddEviT1_lS3_lT2_lT0_lPT3_i.num_vgpr, 7
	.set _ZL36rocblas_hemvn_kernel_lower_block_sumILi64EiPKdPddEviT1_lS3_lT2_lT0_lPT3_i.num_agpr, 0
	.set _ZL36rocblas_hemvn_kernel_lower_block_sumILi64EiPKdPddEviT1_lS3_lT2_lT0_lPT3_i.numbered_sgpr, 21
	.set _ZL36rocblas_hemvn_kernel_lower_block_sumILi64EiPKdPddEviT1_lS3_lT2_lT0_lPT3_i.num_named_barrier, 0
	.set _ZL36rocblas_hemvn_kernel_lower_block_sumILi64EiPKdPddEviT1_lS3_lT2_lT0_lPT3_i.private_seg_size, 0
	.set _ZL36rocblas_hemvn_kernel_lower_block_sumILi64EiPKdPddEviT1_lS3_lT2_lT0_lPT3_i.uses_vcc, 1
	.set _ZL36rocblas_hemvn_kernel_lower_block_sumILi64EiPKdPddEviT1_lS3_lT2_lT0_lPT3_i.uses_flat_scratch, 0
	.set _ZL36rocblas_hemvn_kernel_lower_block_sumILi64EiPKdPddEviT1_lS3_lT2_lT0_lPT3_i.has_dyn_sized_stack, 0
	.set _ZL36rocblas_hemvn_kernel_lower_block_sumILi64EiPKdPddEviT1_lS3_lT2_lT0_lPT3_i.has_recursion, 0
	.set _ZL36rocblas_hemvn_kernel_lower_block_sumILi64EiPKdPddEviT1_lS3_lT2_lT0_lPT3_i.has_indirect_call, 0
	.section	.AMDGPU.csdata,"",@progbits
; Kernel info:
; codeLenInByte = 624
; TotalNumSgprs: 27
; NumVgprs: 7
; NumAgprs: 0
; TotalNumVgprs: 7
; ScratchSize: 0
; MemoryBound: 0
; FloatMode: 240
; IeeeMode: 1
; LDSByteSize: 0 bytes/workgroup (compile time only)
; SGPRBlocks: 3
; VGPRBlocks: 0
; NumSGPRsForWavesPerEU: 27
; NumVGPRsForWavesPerEU: 7
; AccumOffset: 8
; Occupancy: 8
; WaveLimiterHint : 0
; COMPUTE_PGM_RSRC2:SCRATCH_EN: 0
; COMPUTE_PGM_RSRC2:USER_SGPR: 2
; COMPUTE_PGM_RSRC2:TRAP_HANDLER: 0
; COMPUTE_PGM_RSRC2:TGID_X_EN: 1
; COMPUTE_PGM_RSRC2:TGID_Y_EN: 0
; COMPUTE_PGM_RSRC2:TGID_Z_EN: 1
; COMPUTE_PGM_RSRC2:TIDIG_COMP_CNT: 0
; COMPUTE_PGM_RSRC3_GFX90A:ACCUM_OFFSET: 1
; COMPUTE_PGM_RSRC3_GFX90A:TG_SPLIT: 0
	.section	.text._ZL26rocblas_hemvn_kernel_lowerILb0ELi64ELi4ELi33ELi32ELi16EldPKdPdEviT6_lT7_lT5_lS4_lS5_lS3_lT8_i,"axG",@progbits,_ZL26rocblas_hemvn_kernel_lowerILb0ELi64ELi4ELi33ELi32ELi16EldPKdPdEviT6_lT7_lT5_lS4_lS5_lS3_lT8_i,comdat
	.globl	_ZL26rocblas_hemvn_kernel_lowerILb0ELi64ELi4ELi33ELi32ELi16EldPKdPdEviT6_lT7_lT5_lS4_lS5_lS3_lT8_i ; -- Begin function _ZL26rocblas_hemvn_kernel_lowerILb0ELi64ELi4ELi33ELi32ELi16EldPKdPdEviT6_lT7_lT5_lS4_lS5_lS3_lT8_i
	.p2align	8
	.type	_ZL26rocblas_hemvn_kernel_lowerILb0ELi64ELi4ELi33ELi32ELi16EldPKdPdEviT6_lT7_lT5_lS4_lS5_lS3_lT8_i,@function
_ZL26rocblas_hemvn_kernel_lowerILb0ELi64ELi4ELi33ELi32ELi16EldPKdPdEviT6_lT7_lT5_lS4_lS5_lS3_lT8_i: ; @_ZL26rocblas_hemvn_kernel_lowerILb0ELi64ELi4ELi33ELi32ELi16EldPKdPdEviT6_lT7_lT5_lS4_lS5_lS3_lT8_i
; %bb.0:
	s_load_dwordx2 s[6:7], s[0:1], 0x84
	s_add_u32 s4, s0, 0x78
	s_addc_u32 s5, s1, 0
	s_waitcnt lgkmcnt(0)
	s_lshr_b32 s8, s6, 16
	s_and_b32 s6, s6, 0xffff
	s_and_b32 s7, s7, 0xffff
	s_mul_i32 s6, s8, s6
	s_mul_i32 s6, s6, s7
	s_cmpk_lg_i32 s6, 0x100
	s_cbranch_scc1 .LBB110_78
; %bb.1:
	s_load_dwordx2 s[6:7], s[0:1], 0x8
	s_load_dwordx2 s[8:9], s[0:1], 0x58
	s_waitcnt lgkmcnt(0)
	v_cmp_eq_f64_e64 s[6:7], s[6:7], 0
	v_cmp_eq_f64_e64 s[8:9], s[8:9], 1.0
	s_and_b64 s[8:9], s[6:7], s[8:9]
	s_and_b64 vcc, exec, s[8:9]
	s_cbranch_vccnz .LBB110_78
; %bb.2:
	s_and_b64 vcc, exec, s[6:7]
	s_cbranch_vccnz .LBB110_78
; %bb.3:
	s_load_dwordx16 s[36:51], s[0:1], 0x18
	s_load_dword s52, s[4:5], 0x0
	s_load_dword s33, s[0:1], 0x0
	v_and_b32_e32 v77, 0x3ff, v0
	v_bfe_u32 v76, v0, 10, 10
	s_waitcnt lgkmcnt(0)
	s_mul_i32 s5, s51, s3
	s_mul_hi_u32 s6, s50, s3
	s_mul_i32 s4, s50, s3
	s_add_i32 s5, s6, s5
	s_lshl_b64 s[4:5], s[4:5], 3
	s_add_u32 s6, s44, s4
	s_addc_u32 s7, s45, s5
	s_lshl_b64 s[4:5], s[46:47], 3
	s_add_u32 s4, s6, s4
	s_addc_u32 s5, s7, s5
	s_ashr_i32 s44, s33, 31
	s_lshr_b32 s7, s44, 26
	s_add_i32 s7, s33, s7
	s_lshl_b32 s26, s2, 6
	s_andn2_b32 s7, s7, 63
	s_add_i32 s6, s52, -1
	s_sub_i32 s7, s33, s7
	v_add_u32_e32 v32, s26, v77
	s_cmp_eq_u32 s2, s6
	v_ashrrev_i32_e32 v33, 31, v32
	s_cselect_b32 s24, s7, 0
	v_mul_lo_u32 v2, s48, v33
	v_mul_lo_u32 v3, s49, v32
	v_mad_u64_u32 v[0:1], s[6:7], s48, v32, 0
	v_add3_u32 v1, v1, v2, v3
	v_lshl_add_u64 v[16:17], v[0:1], 3, s[4:5]
	v_cmp_ne_u32_e64 s[4:5], 0, v76
	v_cmp_eq_u32_e64 s[18:19], 0, v76
	s_and_saveexec_b64 s[6:7], s[18:19]
	s_cbranch_execz .LBB110_7
; %bb.4:
	s_cmp_eq_u32 s24, 0
	s_cselect_b64 s[8:9], -1, 0
	v_cmp_gt_i32_e32 vcc, s24, v77
	s_or_b64 s[10:11], s[8:9], vcc
	v_mov_b64_e32 v[0:1], 0
	s_and_saveexec_b64 s[8:9], s[10:11]
	s_cbranch_execz .LBB110_6
; %bb.5:
	global_load_dwordx2 v[0:1], v[16:17], off
.LBB110_6:
	s_or_b64 exec, exec, s[8:9]
	v_lshlrev_b32_e32 v2, 3, v77
	s_waitcnt vmcnt(0)
	ds_write_b64 v2, v[0:1] offset:9088
.LBB110_7:
	s_or_b64 exec, exec, s[6:7]
	s_mul_i32 s6, s43, s3
	s_mul_hi_u32 s7, s42, s3
	s_add_i32 s7, s7, s6
	s_mul_i32 s6, s42, s3
	s_lshl_b64 s[6:7], s[6:7], 3
	s_add_u32 s8, s36, s6
	s_addc_u32 s9, s37, s7
	s_lshl_b64 s[6:7], s[38:39], 3
	s_add_u32 s8, s8, s6
	s_addc_u32 s9, s9, s7
	s_ashr_i32 s27, s26, 31
	v_lshl_add_u32 v22, v76, 6, v77
	s_lshl_b64 s[6:7], s[26:27], 3
	v_and_b32_e32 v0, 31, v77
	v_lshrrev_b32_e32 v8, 5, v22
	s_add_u32 s6, s8, s6
	v_mov_b32_e32 v1, 0
	s_addc_u32 s7, s9, s7
	v_mad_u64_u32 v[18:19], s[8:9], s40, v8, v[0:1]
	v_mov_b32_e32 v2, v19
	v_mad_u64_u32 v[2:3], s[8:9], s41, v8, v[2:3]
	v_mov_b32_e32 v19, v2
	v_lshl_add_u64 v[2:3], v[18:19], 3, s[6:7]
	s_mul_hi_u32 s6, s40, s26
	s_mul_i32 s7, s40, s27
	s_add_i32 s6, s6, s7
	s_mul_i32 s7, s41, s26
	s_add_i32 s29, s6, s7
	s_cmp_lg_u32 s24, 0
	s_mul_i32 s28, s40, s26
	s_cselect_b64 s[30:31], -1, 0
	s_cmp_eq_u32 s24, 0
	v_lshl_add_u64 v[2:3], s[28:29], 3, v[2:3]
	s_cselect_b64 s[20:21], -1, 0
	s_mov_b64 s[6:7], -1
	s_and_b64 vcc, exec, s[30:31]
	s_cbranch_vccnz .LBB110_9
; %bb.8:
	s_lshl_b64 s[6:7], s[40:41], 6
	v_lshl_add_u64 v[4:5], v[2:3], 0, s[6:7]
	v_lshl_add_u64 v[6:7], v[4:5], 0, s[6:7]
	v_lshl_add_u64 v[10:11], v[6:7], 0, s[6:7]
	global_load_dwordx2 v[12:13], v[2:3], off
	global_load_dwordx2 v[14:15], v[4:5], off
	;; [unrolled: 1-line block ×4, first 2 shown]
	v_mul_u32_u24_e32 v1, 0x108, v8
	v_lshl_add_u32 v1, v0, 3, v1
	s_mov_b64 s[6:7], 0
	s_waitcnt vmcnt(3)
	ds_write_b64 v1, v[12:13]
	s_waitcnt vmcnt(2)
	ds_write_b64 v1, v[14:15] offset:2112
	s_waitcnt vmcnt(1)
	ds_write_b64 v1, v[20:21] offset:4224
	;; [unrolled: 2-line block ×3, first 2 shown]
.LBB110_9:
	s_andn2_b64 vcc, exec, s[6:7]
	s_cbranch_vccnz .LBB110_19
; %bb.10:
	v_lshlrev_b32_e32 v4, 3, v0
	v_sub_co_u32_e32 v6, vcc, v2, v4
	s_ashr_i32 s25, s24, 31
	s_nop 0
	v_subbrev_co_u32_e32 v7, vcc, 0, v3, vcc
	v_lshl_add_u64 v[6:7], s[24:25], 3, v[6:7]
	v_lshl_add_u64 v[6:7], v[6:7], 0, -8
	v_cmp_gt_i32_e32 vcc, s24, v0
	v_cmp_gt_i32_e64 s[6:7], s24, v8
	v_mov_b64_e32 v[10:11], 0
	v_cndmask_b32_e32 v7, v7, v3, vcc
	v_cndmask_b32_e32 v6, v6, v2, vcc
	v_mov_b64_e32 v[12:13], 0
	s_and_saveexec_b64 s[8:9], s[6:7]
	s_cbranch_execz .LBB110_12
; %bb.11:
	global_load_dwordx2 v[12:13], v[6:7], off
.LBB110_12:
	s_or_b64 exec, exec, s[8:9]
	v_lshlrev_b32_e32 v1, 3, v0
	s_movk_i32 s6, 0x108
	v_mad_u32_u24 v9, v8, s6, v1
	s_waitcnt vmcnt(0)
	ds_write_b64 v9, v[12:13]
	v_add_u32_e32 v9, 8, v8
	v_mul_u32_u24_e32 v5, 0x108, v8
	v_cmp_gt_i32_e64 s[6:7], s24, v9
	s_and_saveexec_b64 s[8:9], s[6:7]
	s_cbranch_execz .LBB110_14
; %bb.13:
	s_lshl_b64 s[6:7], s[40:41], 6
	v_lshl_add_u64 v[10:11], v[6:7], 0, s[6:7]
	global_load_dwordx2 v[10:11], v[10:11], off
.LBB110_14:
	s_or_b64 exec, exec, s[8:9]
	v_add_u32_e32 v1, v5, v1
	v_add_u32_e32 v5, 16, v8
	s_waitcnt vmcnt(0)
	ds_write_b64 v1, v[10:11] offset:2112
	v_cmp_gt_i32_e64 s[6:7], s24, v5
	v_mov_b64_e32 v[10:11], 0
	v_mov_b64_e32 v[12:13], 0
	s_and_saveexec_b64 s[8:9], s[6:7]
	s_cbranch_execz .LBB110_16
; %bb.15:
	s_lshl_b64 s[6:7], s[40:41], 7
	v_lshl_add_u64 v[12:13], v[6:7], 0, s[6:7]
	global_load_dwordx2 v[12:13], v[12:13], off
.LBB110_16:
	s_or_b64 exec, exec, s[8:9]
	v_add_u32_e32 v5, 24, v8
	v_cmp_gt_i32_e64 s[6:7], s24, v5
	s_waitcnt vmcnt(0)
	ds_write_b64 v1, v[12:13] offset:4224
	s_and_saveexec_b64 s[8:9], s[6:7]
	s_cbranch_execz .LBB110_18
; %bb.17:
	v_mov_b32_e32 v5, 0xc0
	v_mad_u64_u32 v[10:11], s[6:7], s40, v5, v[6:7]
	s_mul_i32 s6, s41, 0xc0
	s_nop 0
	v_add_u32_e32 v11, s6, v11
	global_load_dwordx2 v[10:11], v[10:11], off
.LBB110_18:
	s_or_b64 exec, exec, s[8:9]
	v_mov_b32_e32 v5, 0
	v_lshl_add_u64 v[4:5], v[6:7], 0, v[4:5]
	s_lshl_b64 s[6:7], s[24:25], 3
	s_waitcnt vmcnt(0)
	ds_write_b64 v1, v[10:11] offset:6336
	v_mov_b32_e32 v1, s7
	v_subrev_co_u32_e64 v4, s[6:7], s6, v4
	s_nop 1
	v_subb_co_u32_e64 v5, s[6:7], v5, v1, s[6:7]
	v_lshl_add_u64 v[4:5], v[4:5], 0, 8
	v_cndmask_b32_e32 v3, v5, v3, vcc
	v_cndmask_b32_e32 v2, v4, v2, vcc
.LBB110_19:
	v_lshlrev_b32_e32 v9, 2, v8
	v_lshlrev_b32_e32 v10, 3, v0
	v_lshl_or_b32 v4, v0, 8, v10
	v_cmp_lt_u32_e64 s[8:9], v9, v0
	s_waitcnt lgkmcnt(0)
	s_barrier
	s_and_saveexec_b64 s[6:7], s[8:9]
	s_cbranch_execz .LBB110_21
; %bb.20:
	s_movk_i32 s10, 0x420
	v_mad_u32_u24 v1, v8, s10, v10
	ds_read_b64 v[6:7], v1
	v_lshl_add_u32 v1, v9, 3, v4
	s_waitcnt lgkmcnt(0)
	ds_write_b64 v1, v[6:7]
.LBB110_21:
	s_or_b64 exec, exec, s[6:7]
	v_or_b32_e32 v1, 1, v9
	v_cmp_lt_u32_e64 s[10:11], v1, v0
	s_and_saveexec_b64 s[6:7], s[10:11]
	s_cbranch_execz .LBB110_23
; %bb.22:
	s_movk_i32 s12, 0x108
	v_mad_u32_u24 v5, v1, s12, v10
	ds_read_b64 v[6:7], v5
	v_lshl_add_u32 v5, v9, 3, v4
	s_waitcnt lgkmcnt(0)
	ds_write_b64 v5, v[6:7] offset:8
.LBB110_23:
	s_or_b64 exec, exec, s[6:7]
	v_or_b32_e32 v5, 2, v9
	v_cmp_lt_u32_e64 s[12:13], v5, v0
	s_and_saveexec_b64 s[6:7], s[12:13]
	s_cbranch_execz .LBB110_25
; %bb.24:
	s_movk_i32 s14, 0x108
	v_mad_u32_u24 v5, v5, s14, v10
	ds_read_b64 v[6:7], v5
	v_lshl_add_u32 v5, v9, 3, v4
	s_waitcnt lgkmcnt(0)
	ds_write_b64 v5, v[6:7] offset:16
.LBB110_25:
	s_or_b64 exec, exec, s[6:7]
	v_or_b32_e32 v6, 3, v9
	v_cmp_lt_u32_e64 s[14:15], v6, v0
	v_cmp_ge_u32_e32 vcc, v6, v0
                                        ; implicit-def: $vgpr5
	s_and_saveexec_b64 s[6:7], vcc
	s_xor_b64 s[6:7], exec, s[6:7]
; %bb.26:
	v_mul_u32_u24_e32 v5, 0x108, v6
                                        ; implicit-def: $vgpr4
                                        ; implicit-def: $vgpr6
; %bb.27:
	s_andn2_saveexec_b64 s[6:7], s[6:7]
	s_cbranch_execz .LBB110_29
; %bb.28:
	s_movk_i32 s16, 0x108
	v_mad_u32_u24 v5, v6, s16, v10
	ds_read_b64 v[12:13], v5
	v_lshl_add_u32 v4, v9, 3, v4
	v_mul_u32_u24_e32 v5, 0x108, v6
	s_waitcnt lgkmcnt(0)
	ds_write_b64 v4, v[12:13] offset:24
.LBB110_29:
	s_or_b64 exec, exec, s[6:7]
	s_movk_i32 s6, 0x420
	v_mad_u32_u24 v4, v8, s6, v10
	s_movk_i32 s6, 0x108
	s_waitcnt lgkmcnt(0)
	s_barrier
	v_lshlrev_b32_e32 v12, 3, v9
	ds_read_b64 v[14:15], v4
	ds_read_b128 v[24:27], v12 offset:9088
	v_mad_u32_u24 v4, v1, s6, v10
	ds_read2_b64 v[28:31], v4 offset1:33
	v_add_u32_e32 v11, v10, v5
	ds_read_b128 v[4:7], v12 offset:9104
	ds_read_b64 v[20:21], v11
	s_waitcnt lgkmcnt(3)
	v_fma_f64 v[14:15], v[14:15], v[24:25], 0
	v_mov_b64_e32 v[34:35], 0
	s_waitcnt lgkmcnt(2)
	v_fmac_f64_e32 v[14:15], v[28:29], v[26:27]
	s_waitcnt lgkmcnt(1)
	v_fmac_f64_e32 v[14:15], v[30:31], v[4:5]
	v_mul_u32_u24_e32 v4, 33, v0
	v_lshlrev_b32_e32 v23, 3, v4
	s_waitcnt lgkmcnt(0)
	v_fmac_f64_e32 v[14:15], v[20:21], v[6:7]
	v_lshl_add_u32 v24, v8, 3, v23
	v_cmp_gt_u32_e64 s[6:7], 32, v22
	s_barrier
	ds_write_b64 v24, v[14:15]
	s_waitcnt lgkmcnt(0)
	s_barrier
	s_and_saveexec_b64 s[16:17], s[6:7]
	s_cbranch_execz .LBB110_31
; %bb.30:
	ds_read2_b64 v[4:7], v23 offset1:1
	ds_read2_b64 v[26:29], v23 offset0:2 offset1:3
	ds_read2_b64 v[34:37], v23 offset0:4 offset1:5
	s_waitcnt lgkmcnt(2)
	v_add_f64 v[14:15], v[4:5], v[6:7]
	ds_read2_b64 v[4:7], v23 offset0:6 offset1:7
	s_waitcnt lgkmcnt(2)
	v_add_f64 v[14:15], v[14:15], v[26:27]
	v_add_f64 v[14:15], v[14:15], v[28:29]
	s_waitcnt lgkmcnt(1)
	v_add_f64 v[14:15], v[14:15], v[34:35]
	v_add_f64 v[14:15], v[14:15], v[36:37]
	;; [unrolled: 3-line block ×3, first 2 shown]
.LBB110_31:
	s_or_b64 exec, exec, s[16:17]
	s_lshl_b64 s[22:23], s[40:41], 8
	v_lshl_add_u64 v[6:7], v[2:3], 0, s[22:23]
	v_cndmask_b32_e64 v2, 0, 1, s[20:21]
	s_mov_b64 s[34:35], 0x100
	v_cmp_ne_u32_e64 s[16:17], 1, v2
	s_andn2_b64 vcc, exec, s[20:21]
	s_mov_b64 s[20:21], -1
	s_barrier
	s_cbranch_vccnz .LBB110_33
; %bb.32:
	s_lshl_b64 s[20:21], s[40:41], 6
	v_lshl_add_u64 v[2:3], v[6:7], 0, s[20:21]
	v_lshl_add_u64 v[4:5], v[2:3], 0, s[20:21]
	;; [unrolled: 1-line block ×3, first 2 shown]
	global_load_dwordx2 v[20:21], v[6:7], off offset:256
	global_load_dwordx2 v[26:27], v[2:3], off offset:256
	;; [unrolled: 1-line block ×4, first 2 shown]
	s_movk_i32 s20, 0x108
	v_mad_u32_u24 v2, v8, s20, v10
	s_mov_b64 s[20:21], 0
	s_waitcnt vmcnt(3)
	ds_write_b64 v2, v[20:21]
	s_waitcnt vmcnt(2)
	ds_write_b64 v2, v[26:27] offset:2112
	s_waitcnt vmcnt(1)
	ds_write_b64 v2, v[28:29] offset:4224
	;; [unrolled: 2-line block ×3, first 2 shown]
.LBB110_33:
	s_andn2_b64 vcc, exec, s[20:21]
	v_lshl_add_u64 v[2:3], v[6:7], 0, s[34:35]
	s_cbranch_vccnz .LBB110_43
; %bb.34:
	v_lshlrev_b32_e32 v4, 3, v0
	v_sub_co_u32_e32 v6, vcc, v6, v4
	s_ashr_i32 s25, s24, 31
	s_nop 0
	v_subbrev_co_u32_e32 v7, vcc, 0, v7, vcc
	v_or_b32_e32 v5, 32, v0
	v_lshl_add_u64 v[6:7], s[24:25], 3, v[6:7]
	v_lshl_add_u64 v[6:7], v[6:7], 0, -8
	v_cmp_gt_i32_e32 vcc, s24, v5
	s_sub_i32 s36, s24, 32
	v_cmp_gt_i32_e64 s[20:21], s36, v8
	v_cndmask_b32_e32 v7, v7, v3, vcc
	v_cndmask_b32_e32 v6, v6, v2, vcc
	v_mov_b64_e32 v[14:15], 0
	v_mov_b64_e32 v[20:21], 0
	s_and_saveexec_b64 s[34:35], s[20:21]
	s_cbranch_execz .LBB110_36
; %bb.35:
	global_load_dwordx2 v[20:21], v[6:7], off
.LBB110_36:
	s_or_b64 exec, exec, s[34:35]
	s_movk_i32 s20, 0x108
	v_mad_u32_u24 v13, v8, s20, v10
	s_waitcnt vmcnt(0)
	ds_write_b64 v13, v[20:21]
	v_add_u32_e32 v13, 8, v8
	v_mul_u32_u24_e32 v5, 0x108, v8
	v_cmp_gt_i32_e64 s[20:21], s36, v13
	s_and_saveexec_b64 s[34:35], s[20:21]
	s_cbranch_execz .LBB110_38
; %bb.37:
	s_lshl_b64 s[20:21], s[40:41], 6
	v_lshl_add_u64 v[14:15], v[6:7], 0, s[20:21]
	global_load_dwordx2 v[14:15], v[14:15], off
.LBB110_38:
	s_or_b64 exec, exec, s[34:35]
	v_add_u32_e32 v5, v5, v10
	v_add_u32_e32 v13, 16, v8
	s_waitcnt vmcnt(0)
	ds_write_b64 v5, v[14:15] offset:2112
	v_cmp_gt_i32_e64 s[20:21], s36, v13
	v_mov_b64_e32 v[14:15], 0
	v_mov_b64_e32 v[20:21], 0
	s_and_saveexec_b64 s[34:35], s[20:21]
	s_cbranch_execz .LBB110_40
; %bb.39:
	s_lshl_b64 s[20:21], s[40:41], 7
	v_lshl_add_u64 v[20:21], v[6:7], 0, s[20:21]
	global_load_dwordx2 v[20:21], v[20:21], off
.LBB110_40:
	s_or_b64 exec, exec, s[34:35]
	v_add_u32_e32 v13, 24, v8
	v_cmp_gt_i32_e64 s[20:21], s36, v13
	s_waitcnt vmcnt(0)
	ds_write_b64 v5, v[20:21] offset:4224
	s_and_saveexec_b64 s[34:35], s[20:21]
	s_cbranch_execz .LBB110_42
; %bb.41:
	v_mov_b32_e32 v13, 0xc0
	v_mad_u64_u32 v[14:15], s[20:21], s40, v13, v[6:7]
	s_mul_i32 s20, s41, 0xc0
	s_nop 0
	v_add_u32_e32 v15, s20, v15
	global_load_dwordx2 v[14:15], v[14:15], off
.LBB110_42:
	s_or_b64 exec, exec, s[34:35]
	s_waitcnt vmcnt(0)
	ds_write_b64 v5, v[14:15] offset:6336
	v_mov_b32_e32 v5, 0
	v_lshl_add_u64 v[4:5], v[6:7], 0, v[4:5]
	s_lshl_b64 s[20:21], s[24:25], 3
	v_mov_b32_e32 v6, s21
	v_subrev_co_u32_e64 v4, s[20:21], s20, v4
	s_nop 1
	v_subb_co_u32_e64 v5, s[20:21], v5, v6, s[20:21]
	s_mov_b64 s[20:21], 0x108
	s_nop 0
	v_lshl_add_u64 v[4:5], v[4:5], 0, s[20:21]
	v_cndmask_b32_e32 v3, v5, v3, vcc
	v_cndmask_b32_e32 v2, v4, v2, vcc
.LBB110_43:
	v_mul_u32_u24_e32 v6, 0x420, v8
	v_add_u32_e32 v4, 0x2380, v12
	v_mul_u32_u24_e32 v5, 0x108, v1
	s_lshl_b64 s[20:21], s[40:41], 5
	v_add_u32_e32 v1, v10, v6
	s_waitcnt lgkmcnt(0)
	s_barrier
	s_and_saveexec_b64 s[34:35], s[8:9]
	s_cbranch_execnz .LBB110_52
; %bb.44:
	s_or_b64 exec, exec, s[34:35]
	v_add_u32_e32 v5, v10, v5
	s_and_saveexec_b64 s[8:9], s[10:11]
	s_cbranch_execnz .LBB110_53
.LBB110_45:
	s_or_b64 exec, exec, s[8:9]
	s_and_saveexec_b64 s[8:9], s[12:13]
	s_cbranch_execnz .LBB110_54
.LBB110_46:
	s_or_b64 exec, exec, s[8:9]
	s_and_saveexec_b64 s[8:9], s[14:15]
	s_cbranch_execz .LBB110_48
.LBB110_47:
	ds_read_b64 v[6:7], v11
	v_lshl_add_u32 v12, v9, 3, v23
	s_waitcnt lgkmcnt(0)
	ds_write_b64 v12, v[6:7] offset:24
.LBB110_48:
	s_or_b64 exec, exec, s[8:9]
	s_waitcnt lgkmcnt(0)
	s_barrier
	ds_read_b64 v[6:7], v1
	ds_read_b128 v[12:15], v4 offset:256
	ds_read2_b64 v[26:29], v5 offset1:33
	ds_read_b128 v[36:39], v4 offset:272
	ds_read_b64 v[20:21], v11
	v_cmp_eq_u32_e64 s[8:9], 1, v8
	s_waitcnt lgkmcnt(3)
	v_fma_f64 v[6:7], v[6:7], v[12:13], 0
	s_waitcnt lgkmcnt(2)
	v_fmac_f64_e32 v[6:7], v[26:27], v[14:15]
	s_waitcnt lgkmcnt(1)
	v_fmac_f64_e32 v[6:7], v[28:29], v[36:37]
	;; [unrolled: 2-line block ×3, first 2 shown]
	s_barrier
	ds_write_b64 v24, v[6:7]
	s_waitcnt lgkmcnt(0)
	s_barrier
	s_and_saveexec_b64 s[10:11], s[8:9]
	s_cbranch_execz .LBB110_50
; %bb.49:
	ds_read2_b64 v[12:15], v23 offset1:1
	ds_read2_b64 v[26:29], v23 offset0:2 offset1:3
	ds_read2_b64 v[34:37], v23 offset0:4 offset1:5
	s_waitcnt lgkmcnt(2)
	v_add_f64 v[6:7], v[12:13], v[14:15]
	ds_read2_b64 v[12:15], v23 offset0:6 offset1:7
	s_waitcnt lgkmcnt(2)
	v_add_f64 v[6:7], v[6:7], v[26:27]
	v_add_f64 v[6:7], v[6:7], v[28:29]
	s_waitcnt lgkmcnt(1)
	v_add_f64 v[6:7], v[6:7], v[34:35]
	v_add_f64 v[6:7], v[6:7], v[36:37]
	;; [unrolled: 3-line block ×3, first 2 shown]
.LBB110_50:
	s_or_b64 exec, exec, s[10:11]
	s_lshl_b64 s[10:11], s[20:21], 3
	v_mov_b32_e32 v1, s11
	v_subrev_co_u32_e64 v20, s[10:11], s10, v2
	s_and_b64 vcc, exec, s[16:17]
	s_nop 0
	v_subb_co_u32_e64 v21, s[10:11], v3, v1, s[10:11]
	s_barrier
	s_cbranch_vccnz .LBB110_55
; %bb.51:
	s_lshl_b64 s[10:11], s[40:41], 6
	v_lshl_add_u64 v[2:3], v[20:21], 0, s[10:11]
	v_lshl_add_u64 v[6:7], v[2:3], 0, s[10:11]
	;; [unrolled: 1-line block ×3, first 2 shown]
	global_load_dwordx2 v[26:27], v[20:21], off
	global_load_dwordx2 v[28:29], v[2:3], off
	;; [unrolled: 1-line block ×4, first 2 shown]
	s_movk_i32 s10, 0x108
	v_mov_b32_e32 v1, 0x840
	v_mov_b32_e32 v2, 0x1080
	;; [unrolled: 1-line block ×3, first 2 shown]
	v_mul_u32_u24_e32 v6, 0x108, v8
	v_add_u32_e32 v5, 8, v8
	v_add_u32_e32 v7, 16, v8
	;; [unrolled: 1-line block ×3, first 2 shown]
	v_mad_u32_u24 v15, v8, s10, v10
	v_mad_u32_u24 v11, v8, s10, v1
	v_mad_u32_u24 v13, v8, s10, v2
	v_mad_u32_u24 v14, v8, s10, v3
	v_add_u32_e32 v1, v10, v11
	v_add_u32_e32 v2, v10, v13
	;; [unrolled: 1-line block ×3, first 2 shown]
	s_waitcnt vmcnt(3)
	ds_write_b64 v15, v[26:27]
	s_waitcnt vmcnt(2)
	ds_write_b64 v1, v[28:29]
	;; [unrolled: 2-line block ×4, first 2 shown]
	s_cbranch_execz .LBB110_56
	s_branch .LBB110_65
.LBB110_52:
	ds_read_b64 v[6:7], v1
	v_lshl_add_u32 v12, v9, 3, v23
	s_waitcnt lgkmcnt(0)
	ds_write_b64 v12, v[6:7]
	s_or_b64 exec, exec, s[34:35]
	v_add_u32_e32 v5, v10, v5
	s_and_saveexec_b64 s[8:9], s[10:11]
	s_cbranch_execz .LBB110_45
.LBB110_53:
	ds_read_b64 v[6:7], v5
	v_lshl_add_u32 v12, v9, 3, v23
	s_waitcnt lgkmcnt(0)
	ds_write_b64 v12, v[6:7] offset:8
	s_or_b64 exec, exec, s[8:9]
	s_and_saveexec_b64 s[8:9], s[12:13]
	s_cbranch_execz .LBB110_46
.LBB110_54:
	ds_read_b64 v[6:7], v5 offset:264
	v_lshl_add_u32 v12, v9, 3, v23
	s_waitcnt lgkmcnt(0)
	ds_write_b64 v12, v[6:7] offset:16
	s_or_b64 exec, exec, s[8:9]
	s_and_saveexec_b64 s[8:9], s[14:15]
	s_cbranch_execnz .LBB110_47
	s_branch .LBB110_48
.LBB110_55:
                                        ; implicit-def: $vgpr6
                                        ; implicit-def: $vgpr5
                                        ; implicit-def: $vgpr11
                                        ; implicit-def: $vgpr7
                                        ; implicit-def: $vgpr13
                                        ; implicit-def: $vgpr12
                                        ; implicit-def: $vgpr14
.LBB110_56:
	v_or_b32_e32 v1, 32, v0
	v_lshlrev_b32_e32 v0, 3, v0
	v_sub_co_u32_e32 v2, vcc, v20, v0
	s_ashr_i32 s25, s24, 31
	s_nop 0
	v_subbrev_co_u32_e32 v3, vcc, 0, v21, vcc
	s_movk_i32 s10, 0xfef8
	v_lshl_add_u64 v[2:3], s[24:25], 3, v[2:3]
	s_mov_b32 s11, -1
	v_lshl_add_u64 v[2:3], v[2:3], 0, s[10:11]
	v_cmp_gt_i32_e32 vcc, s24, v1
	v_cmp_gt_i32_e64 s[10:11], s24, v8
	v_mov_b64_e32 v[12:13], 0
	v_cndmask_b32_e32 v3, v3, v21, vcc
	v_cndmask_b32_e32 v2, v2, v20, vcc
	v_mov_b64_e32 v[14:15], 0
	s_and_saveexec_b64 s[12:13], s[10:11]
	s_cbranch_execz .LBB110_58
; %bb.57:
	global_load_dwordx2 v[14:15], v[2:3], off
.LBB110_58:
	s_or_b64 exec, exec, s[12:13]
	s_movk_i32 s10, 0x108
	v_add_u32_e32 v5, 8, v8
	v_mul_u32_u24_e32 v6, 0x108, v8
	v_mad_u32_u24 v1, v8, s10, v10
	v_cmp_gt_i32_e64 s[10:11], s24, v5
	s_waitcnt vmcnt(0)
	ds_write_b64 v1, v[14:15]
	s_and_saveexec_b64 s[12:13], s[10:11]
	s_cbranch_execz .LBB110_60
; %bb.59:
	s_lshl_b64 s[10:11], s[40:41], 6
	v_lshl_add_u64 v[12:13], v[2:3], 0, s[10:11]
	global_load_dwordx2 v[12:13], v[12:13], off
.LBB110_60:
	s_or_b64 exec, exec, s[12:13]
	v_add_u32_e32 v11, 0x840, v6
	v_add_u32_e32 v7, 16, v8
	;; [unrolled: 1-line block ×3, first 2 shown]
	v_cmp_gt_i32_e64 s[10:11], s24, v7
	v_mov_b64_e32 v[26:27], 0
	v_mov_b64_e32 v[14:15], 0
	s_waitcnt vmcnt(0)
	ds_write_b64 v1, v[12:13]
	s_and_saveexec_b64 s[12:13], s[10:11]
	s_cbranch_execz .LBB110_62
; %bb.61:
	s_lshl_b64 s[10:11], s[40:41], 7
	v_lshl_add_u64 v[12:13], v[2:3], 0, s[10:11]
	global_load_dwordx2 v[14:15], v[12:13], off
.LBB110_62:
	s_or_b64 exec, exec, s[12:13]
	v_add_u32_e32 v13, 0x840, v11
	v_add_u32_e32 v12, 24, v8
	;; [unrolled: 1-line block ×3, first 2 shown]
	v_cmp_gt_i32_e64 s[10:11], s24, v12
	s_waitcnt vmcnt(0)
	ds_write_b64 v1, v[14:15]
	s_and_saveexec_b64 s[12:13], s[10:11]
	s_cbranch_execz .LBB110_64
; %bb.63:
	v_mov_b32_e32 v1, 0xc0
	v_mad_u64_u32 v[14:15], s[10:11], s40, v1, v[2:3]
	s_mul_i32 s10, s41, 0xc0
	s_nop 0
	v_add_u32_e32 v15, s10, v15
	global_load_dwordx2 v[26:27], v[14:15], off
.LBB110_64:
	s_or_b64 exec, exec, s[12:13]
	v_add_u32_e32 v14, 0x840, v13
	v_add_u32_e32 v1, v10, v14
	s_waitcnt vmcnt(0)
	ds_write_b64 v1, v[26:27]
	v_mov_b32_e32 v1, 0
	v_lshl_add_u64 v[0:1], v[2:3], 0, v[0:1]
	s_lshl_b64 s[10:11], s[24:25], 3
	v_mov_b32_e32 v2, s11
	v_subrev_co_u32_e64 v0, s[10:11], s10, v0
	s_nop 1
	v_subb_co_u32_e64 v1, s[10:11], v1, v2, s[10:11]
	s_mov_b64 s[10:11], 0x108
	s_nop 0
	v_lshl_add_u64 v[0:1], v[0:1], 0, s[10:11]
	v_cndmask_b32_e32 v21, v1, v21, vcc
	v_cndmask_b32_e32 v20, v0, v20, vcc
.LBB110_65:
	v_add_u32_e32 v0, v10, v6
	v_lshlrev_b32_e32 v1, 3, v8
	v_add_u32_e32 v2, v10, v11
	v_lshlrev_b32_e32 v3, 3, v5
	s_waitcnt lgkmcnt(0)
	s_barrier
	ds_read_b64 v[26:27], v0
	ds_read_b64 v[28:29], v1 offset:9088
	ds_read_b64 v[30:31], v2
	ds_read_b64 v[36:37], v3 offset:9088
	v_add_u32_e32 v0, v10, v13
	v_lshlrev_b32_e32 v1, 3, v7
	v_add_u32_e32 v2, v10, v14
	v_lshlrev_b32_e32 v3, 3, v12
	v_lshl_add_u32 v5, v9, 3, v23
	ds_read_b64 v[38:39], v0
	ds_read_b64 v[40:41], v1 offset:9088
	ds_read_b64 v[42:43], v2
	ds_read_b64 v[44:45], v3 offset:9088
	ds_read_b128 v[8:11], v4 offset:256
	ds_read_b128 v[0:3], v4 offset:272
	ds_read2_b64 v[12:15], v5 offset1:1
	ds_read2_b64 v[4:7], v5 offset0:2 offset1:3
	s_waitcnt lgkmcnt(10)
	v_fma_f64 v[26:27], v[26:27], v[28:29], 0
	s_waitcnt lgkmcnt(8)
	v_fmac_f64_e32 v[26:27], v[30:31], v[36:37]
	s_waitcnt lgkmcnt(6)
	v_fmac_f64_e32 v[26:27], v[38:39], v[40:41]
	;; [unrolled: 2-line block ×3, first 2 shown]
	s_waitcnt lgkmcnt(0)
	s_barrier
	ds_write_b64 v24, v[26:27]
	s_waitcnt lgkmcnt(0)
	s_barrier
	s_and_saveexec_b64 s[10:11], s[8:9]
	s_cbranch_execz .LBB110_67
; %bb.66:
	ds_read2_b64 v[26:29], v23 offset1:1
	ds_read2_b64 v[36:39], v23 offset0:2 offset1:3
	ds_read2_b64 v[40:43], v23 offset0:4 offset1:5
	s_waitcnt lgkmcnt(2)
	v_add_f64 v[26:27], v[34:35], v[26:27]
	v_add_f64 v[30:31], v[26:27], v[28:29]
	ds_read2_b64 v[26:29], v23 offset0:6 offset1:7
	s_waitcnt lgkmcnt(2)
	v_add_f64 v[30:31], v[30:31], v[36:37]
	v_add_f64 v[30:31], v[30:31], v[38:39]
	s_waitcnt lgkmcnt(1)
	v_add_f64 v[30:31], v[30:31], v[40:41]
	v_add_f64 v[30:31], v[30:31], v[42:43]
	;; [unrolled: 3-line block ×3, first 2 shown]
.LBB110_67:
	s_or_b64 exec, exec, s[10:11]
	v_fma_f64 v[8:9], v[12:13], v[8:9], 0
	v_fmac_f64_e32 v[8:9], v[14:15], v[10:11]
	v_fmac_f64_e32 v[8:9], v[4:5], v[0:1]
	;; [unrolled: 1-line block ×3, first 2 shown]
	s_barrier
	ds_write_b64 v24, v[8:9]
	s_waitcnt lgkmcnt(0)
	s_barrier
	s_and_saveexec_b64 s[8:9], s[6:7]
	s_cbranch_execz .LBB110_69
; %bb.68:
	ds_read2_b64 v[0:3], v23 offset1:1
	ds_read2_b64 v[4:7], v23 offset0:2 offset1:3
	ds_read2_b64 v[8:11], v23 offset0:4 offset1:5
	s_waitcnt lgkmcnt(2)
	v_add_f64 v[0:1], v[34:35], v[0:1]
	v_add_f64 v[12:13], v[0:1], v[2:3]
	ds_read2_b64 v[0:3], v23 offset0:6 offset1:7
	s_waitcnt lgkmcnt(2)
	v_add_f64 v[4:5], v[12:13], v[4:5]
	v_add_f64 v[4:5], v[4:5], v[6:7]
	s_waitcnt lgkmcnt(1)
	v_add_f64 v[4:5], v[4:5], v[8:9]
	v_add_f64 v[4:5], v[4:5], v[10:11]
	;; [unrolled: 3-line block ×3, first 2 shown]
.LBB110_69:
	s_or_b64 exec, exec, s[8:9]
	s_load_dwordx2 s[0:1], s[0:1], 0x68
	s_mul_hi_u32 s6, s33, s3
	s_mul_i32 s44, s44, s3
	s_add_i32 s6, s6, s44
	s_mul_i32 s3, s33, s3
	s_mul_i32 s6, s6, s52
	s_mul_hi_u32 s7, s3, s52
	s_add_i32 s7, s7, s6
	s_mul_i32 s6, s3, s52
	s_lshl_b64 s[6:7], s[6:7], 3
	s_waitcnt lgkmcnt(0)
	s_add_u32 s3, s0, s6
	s_mul_i32 s0, s33, s2
	s_addc_u32 s7, s1, s7
	s_ashr_i32 s1, s0, 31
	s_lshl_b64 s[0:1], s[0:1], 3
	s_add_u32 s6, s3, s0
	v_cmp_le_i32_e32 vcc, s24, v77
	s_addc_u32 s7, s7, s1
	s_and_b64 vcc, s[30:31], vcc
	s_cmp_lt_i32 s2, 1
	v_lshlrev_b32_e32 v36, 3, v77
	s_barrier
	s_cbranch_scc1 .LBB110_76
; %bb.70:
	s_mul_i32 s0, s48, s27
	s_mul_hi_u32 s1, s48, s26
	s_add_i32 s0, s1, s0
	s_mul_i32 s1, s49, s26
	s_add_i32 s1, s0, s1
	s_mul_i32 s0, s48, s26
	s_lshl_b64 s[0:1], s[0:1], 3
	v_mov_b32_e32 v0, s1
	v_subrev_co_u32_e64 v38, s[0:1], s0, v16
	v_lshlrev_b32_e32 v5, 2, v76
	s_nop 0
	v_subb_co_u32_e64 v39, s[0:1], v17, v0, s[0:1]
	s_lshl_b64 s[0:1], s[28:29], 3
	s_nop 0
	v_mov_b32_e32 v0, s1
	v_subrev_co_u32_e64 v2, s[0:1], s0, v20
	s_ashr_i32 s25, s24, 31
	s_nop 0
	v_subb_co_u32_e64 v3, s[0:1], v21, v0, s[0:1]
	v_lshlrev_b64 v[0:1], 3, v[18:19]
	v_sub_co_u32_e64 v0, s[0:1], v2, v0
	v_mov_b32_e32 v41, 0
	s_nop 0
	v_subb_co_u32_e64 v1, s[0:1], v3, v1, s[0:1]
	v_mad_u64_u32 v[2:3], s[0:1], s40, v5, 0
	v_mov_b32_e32 v4, v3
	v_mad_u64_u32 v[4:5], s[0:1], s41, v5, v[4:5]
	v_mov_b32_e32 v3, v4
	v_lshl_add_u64 v[0:1], v[2:3], 3, v[0:1]
	s_movk_i32 s0, 0xfef8
	v_lshl_add_u64 v[2:3], s[24:25], 3, v[0:1]
	s_mov_b32 s1, -1
	v_lshl_add_u64 v[2:3], v[2:3], 0, s[0:1]
	v_mov_b32_e32 v37, v41
	s_movk_i32 s0, 0xff00
	v_lshl_add_u64 v[0:1], v[0:1], 0, v[36:37]
	s_mov_b32 s1, -1
	v_lshl_add_u64 v[0:1], v[0:1], 0, s[0:1]
	v_cndmask_b32_e32 v43, v1, v3, vcc
	v_and_b32_e32 v1, 48, v77
	v_lshrrev_b32_e32 v6, 4, v22
	v_and_b32_e32 v7, 15, v77
	v_cndmask_b32_e32 v42, v0, v2, vcc
	v_mov_b32_e32 v0, 0x2180
	s_movk_i32 s3, 0x218
	v_lshlrev_b32_e32 v1, 3, v1
	v_lshl_add_u32 v78, v76, 5, v0
	v_lshlrev_b32_e32 v0, 5, v6
	v_mad_u32_u24 v82, v7, s3, v1
	v_or_b32_e32 v1, 0x78, v36
	v_mad_u32_u24 v81, v7, s3, v0
	v_mad_u32_u24 v83, v7, s3, v1
	s_mul_i32 s3, s41, 24
	s_mul_hi_u32 s14, s40, 24
	s_add_i32 s15, s14, s3
	s_mul_i32 s3, s41, 0x90
	s_mul_hi_u32 s16, s40, 0x90
	s_add_i32 s17, s16, s3
	;; [unrolled: 3-line block ×9, first 2 shown]
	s_mul_i32 s3, s41, 0x108
	s_mul_hi_u32 s33, s40, 0x108
	s_movk_i32 s0, 0x860
	v_mul_i32_i24_e32 v0, 0xffffffe8, v6
	s_add_i32 s39, s33, s3
	s_mul_i32 s3, s41, 0x88
	s_mul_hi_u32 s33, s40, 0x88
	v_add_u32_e32 v37, 0x2180, v36
	v_add_u32_e32 v79, 0x2380, v36
	v_mad_u32_u24 v80, v76, s0, v36
	v_cmp_gt_u32_e64 s[0:1], 64, v22
	s_lshl_b64 s[8:9], s[40:41], 3
	s_lshl_b64 s[10:11], s[40:41], 9
	s_lshl_b64 s[12:13], s[40:41], 4
	s_mul_i32 s14, s40, 24
	s_mul_i32 s16, s40, 0x90
	;; [unrolled: 1-line block ×10, first 2 shown]
	s_add_i32 s43, s33, s3
	s_mul_i32 s42, s40, 0x88
	s_lshl_b64 s[40:41], s[40:41], 7
	s_mov_b32 s3, 0
	v_add_u32_e32 v84, v81, v0
	s_branch .LBB110_72
.LBB110_71:                             ;   in Loop: Header=BB110_72 Depth=1
	s_or_b64 exec, exec, s[44:45]
	v_fmac_f64_e32 v[34:35], v[50:51], v[4:5]
	v_fmac_f64_e32 v[34:35], v[48:49], v[6:7]
	;; [unrolled: 1-line block ×15, first 2 shown]
	s_add_i32 s3, s3, 64
	s_add_i32 s2, s2, -1
	v_fmac_f64_e32 v[34:35], v[68:69], v[26:27]
	s_cmp_eq_u32 s2, 0
	v_lshl_add_u64 v[42:43], v[42:43], 0, s[10:11]
	s_barrier
	s_cbranch_scc1 .LBB110_76
.LBB110_72:                             ; =>This Inner Loop Header: Depth=1
	s_and_saveexec_b64 s[44:45], s[18:19]
	s_cbranch_execz .LBB110_74
; %bb.73:                               ;   in Loop: Header=BB110_72 Depth=1
	s_mul_i32 s33, s49, s3
	s_mul_hi_u32 s46, s48, s3
	s_add_i32 s47, s46, s33
	s_mul_i32 s46, s48, s3
	v_lshl_add_u64 v[0:1], s[46:47], 3, v[38:39]
	global_load_dwordx2 v[0:1], v[0:1], off
	s_waitcnt vmcnt(0)
	ds_write_b64 v37, v[0:1]
.LBB110_74:                             ;   in Loop: Header=BB110_72 Depth=1
	s_or_b64 exec, exec, s[44:45]
	s_waitcnt lgkmcnt(0)
	s_barrier
	v_lshl_add_u64 v[0:1], v[42:43], 0, s[8:9]
	v_lshl_add_u64 v[2:3], v[42:43], 0, s[12:13]
	;; [unrolled: 1-line block ×3, first 2 shown]
	global_load_dwordx2 v[50:51], v[42:43], off
	global_load_dwordx2 v[48:49], v[0:1], off
	;; [unrolled: 1-line block ×4, first 2 shown]
	ds_read_b64 v[8:9], v79
	ds_read_b128 v[4:7], v78
	ds_read_b128 v[0:3], v78 offset:16
	v_lshl_add_u64 v[10:11], v[42:43], 0, s[40:41]
	v_lshl_add_u64 v[12:13], v[42:43], 0, s[42:43]
	;; [unrolled: 1-line block ×9, first 2 shown]
	s_waitcnt vmcnt(3) lgkmcnt(2)
	v_mul_f64 v[18:19], v[50:51], v[8:9]
	s_waitcnt vmcnt(2)
	v_mul_f64 v[20:21], v[48:49], v[8:9]
	s_waitcnt vmcnt(1)
	;; [unrolled: 2-line block ×3, first 2 shown]
	v_mul_f64 v[8:9], v[44:45], v[8:9]
	ds_write2_b64 v80, v[18:19], v[20:21] offset1:67
	ds_write2_b64 v80, v[22:23], v[8:9] offset0:134 offset1:201
	s_waitcnt lgkmcnt(0)
	s_barrier
	ds_read2_b64 v[24:27], v81 offset1:1
	ds_read2_b64 v[28:31], v81 offset0:2 offset1:3
	s_waitcnt lgkmcnt(0)
	s_barrier
	global_load_dwordx2 v[58:59], v[10:11], off
	global_load_dwordx2 v[56:57], v[12:13], off
	;; [unrolled: 1-line block ×4, first 2 shown]
	ds_read_b64 v[20:21], v79
	v_lshl_add_u64 v[16:17], v[42:43], 0, s[22:23]
	v_lshl_add_u64 v[18:19], v[42:43], 0, s[38:39]
	;; [unrolled: 1-line block ×3, first 2 shown]
	ds_read_b128 v[12:15], v78 offset:128
	ds_read_b128 v[8:11], v78 offset:144
	v_add_f64 v[24:25], v[24:25], 0
	v_add_f64 v[24:25], v[24:25], v[26:27]
	;; [unrolled: 1-line block ×3, first 2 shown]
	s_waitcnt vmcnt(3) lgkmcnt(2)
	v_mul_f64 v[60:61], v[58:59], v[20:21]
	s_waitcnt vmcnt(2)
	v_mul_f64 v[62:63], v[56:57], v[20:21]
	s_waitcnt vmcnt(1)
	;; [unrolled: 2-line block ×3, first 2 shown]
	v_mul_f64 v[20:21], v[52:53], v[20:21]
	ds_write2_b64 v80, v[60:61], v[62:63] offset1:67
	ds_write2_b64 v80, v[64:65], v[20:21] offset0:134 offset1:201
	s_waitcnt lgkmcnt(0)
	s_barrier
	ds_read2_b64 v[86:89], v81 offset1:1
	ds_read2_b64 v[90:93], v81 offset0:2 offset1:3
	s_waitcnt lgkmcnt(0)
	s_barrier
	global_load_dwordx2 v[66:67], v[16:17], off
	global_load_dwordx2 v[64:65], v[18:19], off
	;; [unrolled: 1-line block ×4, first 2 shown]
	ds_read_b64 v[68:69], v79
	ds_read_b128 v[20:23], v78 offset:256
	ds_read_b128 v[16:19], v78 offset:272
	s_waitcnt vmcnt(3) lgkmcnt(2)
	v_mul_f64 v[70:71], v[66:67], v[68:69]
	s_waitcnt vmcnt(2)
	v_mul_f64 v[72:73], v[64:65], v[68:69]
	s_waitcnt vmcnt(1)
	;; [unrolled: 2-line block ×3, first 2 shown]
	v_mul_f64 v[68:69], v[60:61], v[68:69]
	ds_write2_b64 v80, v[70:71], v[72:73] offset1:67
	ds_write2_b64 v80, v[74:75], v[68:69] offset0:134 offset1:201
	s_waitcnt lgkmcnt(0)
	s_barrier
	ds_read2_b64 v[94:97], v81 offset1:1
	ds_read2_b64 v[98:101], v81 offset0:2 offset1:3
	s_waitcnt lgkmcnt(0)
	s_barrier
	global_load_dwordx2 v[74:75], v[102:103], off
	global_load_dwordx2 v[72:73], v[104:105], off
	;; [unrolled: 1-line block ×4, first 2 shown]
	v_add_f64 v[102:103], v[24:25], v[30:31]
	v_add_f64 v[24:25], v[86:87], 0
	;; [unrolled: 1-line block ×5, first 2 shown]
	ds_read_b64 v[86:87], v79
	ds_read_b128 v[28:31], v78 offset:384
	ds_read_b128 v[24:27], v78 offset:400
	v_add_f64 v[88:89], v[94:95], 0
	v_add_f64 v[88:89], v[88:89], v[96:97]
	;; [unrolled: 1-line block ×4, first 2 shown]
	s_waitcnt vmcnt(3) lgkmcnt(2)
	v_mul_f64 v[88:89], v[74:75], v[86:87]
	s_waitcnt vmcnt(2)
	v_mul_f64 v[90:91], v[72:73], v[86:87]
	s_waitcnt vmcnt(1)
	;; [unrolled: 2-line block ×3, first 2 shown]
	v_mul_f64 v[86:87], v[68:69], v[86:87]
	ds_write2_b64 v80, v[88:89], v[90:91] offset1:67
	ds_write2_b64 v80, v[92:93], v[86:87] offset0:134 offset1:201
	s_waitcnt lgkmcnt(0)
	s_barrier
	ds_read2_b64 v[86:89], v81 offset1:1
	ds_read2_b64 v[90:93], v81 offset0:2 offset1:3
	s_waitcnt lgkmcnt(0)
	s_barrier
	v_add_f64 v[86:87], v[86:87], 0
	v_add_f64 v[86:87], v[86:87], v[88:89]
	;; [unrolled: 1-line block ×4, first 2 shown]
	ds_write2_b64 v84, v[102:103], v[104:105] offset1:16
	ds_write2_b64 v84, v[94:95], v[86:87] offset0:32 offset1:48
	s_waitcnt lgkmcnt(0)
	s_barrier
	s_and_saveexec_b64 s[44:45], s[0:1]
	s_cbranch_execz .LBB110_71
; %bb.75:                               ;   in Loop: Header=BB110_72 Depth=1
	ds_read2_b64 v[86:89], v82 offset1:1
	ds_read2_b64 v[90:93], v82 offset0:2 offset1:3
	ds_read2_b64 v[94:97], v82 offset0:4 offset1:5
	;; [unrolled: 1-line block ×4, first 2 shown]
	s_waitcnt lgkmcnt(4)
	v_add_f64 v[86:87], v[86:87], v[88:89]
	s_waitcnt lgkmcnt(3)
	v_add_f64 v[86:87], v[86:87], v[90:91]
	v_add_f64 v[86:87], v[86:87], v[92:93]
	s_waitcnt lgkmcnt(2)
	v_add_f64 v[86:87], v[86:87], v[94:95]
	v_add_f64 v[86:87], v[86:87], v[96:97]
	s_waitcnt lgkmcnt(1)
	v_add_f64 v[90:91], v[86:87], v[98:99]
	ds_read2_b64 v[86:89], v82 offset0:10 offset1:11
	v_add_f64 v[90:91], v[90:91], v[100:101]
	s_waitcnt lgkmcnt(1)
	v_add_f64 v[90:91], v[90:91], v[102:103]
	v_add_f64 v[94:95], v[90:91], v[104:105]
	ds_read2_b64 v[90:93], v82 offset0:12 offset1:13
	s_waitcnt lgkmcnt(1)
	v_add_f64 v[86:87], v[94:95], v[86:87]
	ds_read_b64 v[94:95], v82 offset:112
	ds_read_b64 v[96:97], v83
	v_add_f64 v[86:87], v[86:87], v[88:89]
	v_add_u32_e32 v40, s3, v77
	s_waitcnt lgkmcnt(2)
	v_add_f64 v[86:87], v[86:87], v[90:91]
	v_add_f64 v[86:87], v[86:87], v[92:93]
	s_waitcnt lgkmcnt(1)
	v_add_f64 v[86:87], v[86:87], v[94:95]
	s_waitcnt lgkmcnt(0)
	v_add_f64 v[86:87], v[86:87], v[96:97]
	v_lshl_add_u64 v[88:89], v[40:41], 3, s[6:7]
	global_store_dwordx2 v[88:89], v[86:87], off
	s_branch .LBB110_71
.LBB110_76:
	s_movk_i32 s0, 0x218
	v_mad_u32_u24 v0, v76, s0, v36
	s_nor_b64 s[0:1], s[4:5], vcc
	ds_write_b64 v0, v[34:35]
	s_waitcnt lgkmcnt(0)
	s_barrier
	s_and_saveexec_b64 s[2:3], s[0:1]
	s_cbranch_execz .LBB110_78
; %bb.77:
	ds_read2_b64 v[0:3], v36 offset1:67
	ds_read2_b64 v[4:7], v36 offset0:134 offset1:201
	s_waitcnt lgkmcnt(1)
	v_add_f64 v[0:1], v[0:1], v[2:3]
	s_waitcnt lgkmcnt(0)
	v_add_f64 v[0:1], v[0:1], v[4:5]
	v_add_f64 v[0:1], v[0:1], v[6:7]
	v_lshl_add_u64 v[2:3], v[32:33], 3, s[6:7]
	global_store_dwordx2 v[2:3], v[0:1], off
.LBB110_78:
	s_endpgm
	.section	.rodata,"a",@progbits
	.p2align	6, 0x0
	.amdhsa_kernel _ZL26rocblas_hemvn_kernel_lowerILb0ELi64ELi4ELi33ELi32ELi16EldPKdPdEviT6_lT7_lT5_lS4_lS5_lS3_lT8_i
		.amdhsa_group_segment_fixed_size 9600
		.amdhsa_private_segment_fixed_size 0
		.amdhsa_kernarg_size 376
		.amdhsa_user_sgpr_count 2
		.amdhsa_user_sgpr_dispatch_ptr 0
		.amdhsa_user_sgpr_queue_ptr 0
		.amdhsa_user_sgpr_kernarg_segment_ptr 1
		.amdhsa_user_sgpr_dispatch_id 0
		.amdhsa_user_sgpr_kernarg_preload_length 0
		.amdhsa_user_sgpr_kernarg_preload_offset 0
		.amdhsa_user_sgpr_private_segment_size 0
		.amdhsa_uses_dynamic_stack 0
		.amdhsa_enable_private_segment 0
		.amdhsa_system_sgpr_workgroup_id_x 1
		.amdhsa_system_sgpr_workgroup_id_y 0
		.amdhsa_system_sgpr_workgroup_id_z 1
		.amdhsa_system_sgpr_workgroup_info 0
		.amdhsa_system_vgpr_workitem_id 1
		.amdhsa_next_free_vgpr 110
		.amdhsa_next_free_sgpr 53
		.amdhsa_accum_offset 112
		.amdhsa_reserve_vcc 1
		.amdhsa_float_round_mode_32 0
		.amdhsa_float_round_mode_16_64 0
		.amdhsa_float_denorm_mode_32 3
		.amdhsa_float_denorm_mode_16_64 3
		.amdhsa_dx10_clamp 1
		.amdhsa_ieee_mode 1
		.amdhsa_fp16_overflow 0
		.amdhsa_tg_split 0
		.amdhsa_exception_fp_ieee_invalid_op 0
		.amdhsa_exception_fp_denorm_src 0
		.amdhsa_exception_fp_ieee_div_zero 0
		.amdhsa_exception_fp_ieee_overflow 0
		.amdhsa_exception_fp_ieee_underflow 0
		.amdhsa_exception_fp_ieee_inexact 0
		.amdhsa_exception_int_div_zero 0
	.end_amdhsa_kernel
	.section	.text._ZL26rocblas_hemvn_kernel_lowerILb0ELi64ELi4ELi33ELi32ELi16EldPKdPdEviT6_lT7_lT5_lS4_lS5_lS3_lT8_i,"axG",@progbits,_ZL26rocblas_hemvn_kernel_lowerILb0ELi64ELi4ELi33ELi32ELi16EldPKdPdEviT6_lT7_lT5_lS4_lS5_lS3_lT8_i,comdat
.Lfunc_end110:
	.size	_ZL26rocblas_hemvn_kernel_lowerILb0ELi64ELi4ELi33ELi32ELi16EldPKdPdEviT6_lT7_lT5_lS4_lS5_lS3_lT8_i, .Lfunc_end110-_ZL26rocblas_hemvn_kernel_lowerILb0ELi64ELi4ELi33ELi32ELi16EldPKdPdEviT6_lT7_lT5_lS4_lS5_lS3_lT8_i
                                        ; -- End function
	.set _ZL26rocblas_hemvn_kernel_lowerILb0ELi64ELi4ELi33ELi32ELi16EldPKdPdEviT6_lT7_lT5_lS4_lS5_lS3_lT8_i.num_vgpr, 110
	.set _ZL26rocblas_hemvn_kernel_lowerILb0ELi64ELi4ELi33ELi32ELi16EldPKdPdEviT6_lT7_lT5_lS4_lS5_lS3_lT8_i.num_agpr, 0
	.set _ZL26rocblas_hemvn_kernel_lowerILb0ELi64ELi4ELi33ELi32ELi16EldPKdPdEviT6_lT7_lT5_lS4_lS5_lS3_lT8_i.numbered_sgpr, 53
	.set _ZL26rocblas_hemvn_kernel_lowerILb0ELi64ELi4ELi33ELi32ELi16EldPKdPdEviT6_lT7_lT5_lS4_lS5_lS3_lT8_i.num_named_barrier, 0
	.set _ZL26rocblas_hemvn_kernel_lowerILb0ELi64ELi4ELi33ELi32ELi16EldPKdPdEviT6_lT7_lT5_lS4_lS5_lS3_lT8_i.private_seg_size, 0
	.set _ZL26rocblas_hemvn_kernel_lowerILb0ELi64ELi4ELi33ELi32ELi16EldPKdPdEviT6_lT7_lT5_lS4_lS5_lS3_lT8_i.uses_vcc, 1
	.set _ZL26rocblas_hemvn_kernel_lowerILb0ELi64ELi4ELi33ELi32ELi16EldPKdPdEviT6_lT7_lT5_lS4_lS5_lS3_lT8_i.uses_flat_scratch, 0
	.set _ZL26rocblas_hemvn_kernel_lowerILb0ELi64ELi4ELi33ELi32ELi16EldPKdPdEviT6_lT7_lT5_lS4_lS5_lS3_lT8_i.has_dyn_sized_stack, 0
	.set _ZL26rocblas_hemvn_kernel_lowerILb0ELi64ELi4ELi33ELi32ELi16EldPKdPdEviT6_lT7_lT5_lS4_lS5_lS3_lT8_i.has_recursion, 0
	.set _ZL26rocblas_hemvn_kernel_lowerILb0ELi64ELi4ELi33ELi32ELi16EldPKdPdEviT6_lT7_lT5_lS4_lS5_lS3_lT8_i.has_indirect_call, 0
	.section	.AMDGPU.csdata,"",@progbits
; Kernel info:
; codeLenInByte = 6024
; TotalNumSgprs: 59
; NumVgprs: 110
; NumAgprs: 0
; TotalNumVgprs: 110
; ScratchSize: 0
; MemoryBound: 0
; FloatMode: 240
; IeeeMode: 1
; LDSByteSize: 9600 bytes/workgroup (compile time only)
; SGPRBlocks: 7
; VGPRBlocks: 13
; NumSGPRsForWavesPerEU: 59
; NumVGPRsForWavesPerEU: 110
; AccumOffset: 112
; Occupancy: 4
; WaveLimiterHint : 1
; COMPUTE_PGM_RSRC2:SCRATCH_EN: 0
; COMPUTE_PGM_RSRC2:USER_SGPR: 2
; COMPUTE_PGM_RSRC2:TRAP_HANDLER: 0
; COMPUTE_PGM_RSRC2:TGID_X_EN: 1
; COMPUTE_PGM_RSRC2:TGID_Y_EN: 0
; COMPUTE_PGM_RSRC2:TGID_Z_EN: 1
; COMPUTE_PGM_RSRC2:TIDIG_COMP_CNT: 1
; COMPUTE_PGM_RSRC3_GFX90A:ACCUM_OFFSET: 27
; COMPUTE_PGM_RSRC3_GFX90A:TG_SPLIT: 0
	.section	.text._ZL36rocblas_hemvn_kernel_lower_block_sumILi64EldPddEviT1_lS1_lT2_lT0_lPT3_i,"axG",@progbits,_ZL36rocblas_hemvn_kernel_lower_block_sumILi64EldPddEviT1_lS1_lT2_lT0_lPT3_i,comdat
	.globl	_ZL36rocblas_hemvn_kernel_lower_block_sumILi64EldPddEviT1_lS1_lT2_lT0_lPT3_i ; -- Begin function _ZL36rocblas_hemvn_kernel_lower_block_sumILi64EldPddEviT1_lS1_lT2_lT0_lPT3_i
	.p2align	8
	.type	_ZL36rocblas_hemvn_kernel_lower_block_sumILi64EldPddEviT1_lS1_lT2_lT0_lPT3_i,@function
_ZL36rocblas_hemvn_kernel_lower_block_sumILi64EldPddEviT1_lS1_lT2_lT0_lPT3_i: ; @_ZL36rocblas_hemvn_kernel_lower_block_sumILi64EldPddEviT1_lS1_lT2_lT0_lPT3_i
; %bb.0:
	s_load_dwordx2 s[10:11], s[0:1], 0x8
	s_load_dwordx2 s[12:13], s[0:1], 0x18
	s_waitcnt lgkmcnt(0)
	v_cmp_eq_f64_e64 s[4:5], s[10:11], 0
	v_cmp_eq_f64_e64 s[6:7], s[12:13], 1.0
	s_and_b64 s[4:5], s[4:5], s[6:7]
	s_and_b64 vcc, exec, s[4:5]
	s_cbranch_vccnz .LBB111_19
; %bb.1:
	s_load_dwordx2 s[8:9], s[0:1], 0x40
	s_load_dwordx4 s[4:7], s[0:1], 0x30
	s_load_dwordx2 s[14:15], s[0:1], 0x28
	s_load_dword s16, s[0:1], 0x0
	v_lshl_or_b32 v6, s2, 6, v0
	s_waitcnt lgkmcnt(0)
	s_mul_i32 s9, s9, s3
	s_mul_hi_u32 s17, s8, s3
	s_add_i32 s9, s17, s9
	s_mul_i32 s8, s8, s3
	s_lshl_b64 s[8:9], s[8:9], 3
	s_add_u32 s8, s14, s8
	s_addc_u32 s9, s15, s9
	s_lshl_b64 s[4:5], s[4:5], 3
	s_add_u32 s8, s8, s4
	s_addc_u32 s9, s9, s5
	v_cmp_neq_f64_e64 s[4:5], s[10:11], 0
	s_mov_b64 s[14:15], 0
	s_and_b64 vcc, exec, s[4:5]
	v_cmp_gt_i32_e64 s[4:5], s16, v6
	s_cbranch_vccnz .LBB111_6
; %bb.2:
	s_mov_b64 s[18:19], 0
                                        ; implicit-def: $vgpr0_vgpr1
                                        ; implicit-def: $vgpr2_vgpr3
	s_and_saveexec_b64 s[20:21], s[4:5]
	s_cbranch_execz .LBB111_7
; %bb.3:
	v_ashrrev_i32_e32 v2, 31, v6
	v_cmp_eq_f64_e64 s[4:5], s[12:13], 0
	v_mul_lo_u32 v4, s7, v6
	v_mul_lo_u32 v5, s6, v2
	v_mad_u64_u32 v[2:3], s[14:15], s6, v6, 0
	v_mov_b64_e32 v[0:1], 0
	v_add3_u32 v3, v3, v5, v4
	s_and_b64 vcc, exec, s[4:5]
	s_cbranch_vccnz .LBB111_5
; %bb.4:
	v_lshl_add_u64 v[0:1], v[2:3], 3, s[8:9]
	global_load_dwordx2 v[0:1], v[0:1], off
	s_waitcnt vmcnt(0)
	v_mul_f64 v[0:1], s[12:13], v[0:1]
.LBB111_5:
	s_mov_b64 s[14:15], exec
	s_or_b64 exec, exec, s[20:21]
	s_and_b64 vcc, exec, s[18:19]
	s_cbranch_vccnz .LBB111_8
	s_branch .LBB111_17
.LBB111_6:
                                        ; implicit-def: $vgpr0_vgpr1
                                        ; implicit-def: $vgpr2_vgpr3
	s_cbranch_execnz .LBB111_8
	s_branch .LBB111_17
.LBB111_7:
	s_or_b64 exec, exec, s[20:21]
	s_and_b64 vcc, exec, s[18:19]
	s_cbranch_vccz .LBB111_17
.LBB111_8:
	v_cmp_gt_i32_e32 vcc, s16, v6
                                        ; implicit-def: $vgpr0_vgpr1
                                        ; implicit-def: $vgpr2_vgpr3
	s_and_saveexec_b64 s[4:5], vcc
	s_cbranch_execz .LBB111_16
; %bb.9:
	s_load_dword s18, s[0:1], 0x58
	v_mov_b64_e32 v[4:5], 0
	s_waitcnt lgkmcnt(0)
	s_cmp_ge_i32 s2, s18
	s_cbranch_scc1 .LBB111_12
; %bb.10:
	s_ashr_i32 s17, s16, 31
	s_mul_i32 s19, s16, s2
	s_load_dwordx2 s[0:1], s[0:1], 0x48
	v_add_u32_e32 v0, s19, v6
	s_mul_hi_u32 s19, s16, s3
	s_mul_i32 s20, s17, s3
	s_add_i32 s19, s19, s20
	s_mul_i32 s3, s16, s3
	s_mul_i32 s19, s19, s18
	s_mul_hi_u32 s20, s3, s18
	s_add_i32 s21, s20, s19
	s_mul_i32 s20, s3, s18
	s_lshl_b64 s[20:21], s[20:21], 3
	s_waitcnt lgkmcnt(0)
	s_add_u32 s0, s0, s20
	v_ashrrev_i32_e32 v1, 31, v0
	s_addc_u32 s1, s1, s21
	v_lshl_add_u64 v[0:1], v[0:1], 3, s[0:1]
	s_lshl_b64 s[0:1], s[16:17], 3
	v_mov_b64_e32 v[4:5], 0
.LBB111_11:                             ; =>This Inner Loop Header: Depth=1
	global_load_dwordx2 v[2:3], v[0:1], off
	s_add_i32 s2, s2, 1
	v_lshl_add_u64 v[0:1], v[0:1], 0, s[0:1]
	s_cmp_ge_i32 s2, s18
	s_waitcnt vmcnt(0)
	v_add_f64 v[4:5], v[4:5], v[2:3]
	s_cbranch_scc0 .LBB111_11
.LBB111_12:
	v_cmp_eq_f64_e64 s[2:3], s[12:13], 0
	v_ashrrev_i32_e32 v0, 31, v6
	s_mov_b64 s[0:1], 0
	s_and_b64 vcc, exec, s[2:3]
	v_mul_lo_u32 v7, s7, v6
	v_mul_lo_u32 v8, s6, v0
	s_cbranch_vccz .LBB111_20
; %bb.13:
	v_mad_u64_u32 v[2:3], s[2:3], s6, v6, 0
	v_mul_f64 v[0:1], s[10:11], v[4:5]
	v_add3_u32 v3, v3, v8, v7
	s_andn2_b64 vcc, exec, s[0:1]
	s_cbranch_vccnz .LBB111_15
.LBB111_14:
	v_mad_u64_u32 v[2:3], s[0:1], s6, v6, 0
	v_add3_u32 v3, v3, v8, v7
	v_lshl_add_u64 v[0:1], v[2:3], 3, s[8:9]
	global_load_dwordx2 v[0:1], v[0:1], off
	s_waitcnt vmcnt(0)
	v_mul_f64 v[0:1], s[12:13], v[0:1]
	v_fmac_f64_e32 v[0:1], s[10:11], v[4:5]
.LBB111_15:
	s_or_b64 s[14:15], s[14:15], exec
.LBB111_16:
	s_or_b64 exec, exec, s[4:5]
.LBB111_17:
	s_and_saveexec_b64 s[0:1], s[14:15]
	s_cbranch_execz .LBB111_19
; %bb.18:
	v_lshl_add_u64 v[2:3], v[2:3], 3, s[8:9]
	global_store_dwordx2 v[2:3], v[0:1], off
.LBB111_19:
	s_endpgm
.LBB111_20:
                                        ; implicit-def: $vgpr0_vgpr1
                                        ; implicit-def: $vgpr2_vgpr3
	s_branch .LBB111_14
	.section	.rodata,"a",@progbits
	.p2align	6, 0x0
	.amdhsa_kernel _ZL36rocblas_hemvn_kernel_lower_block_sumILi64EldPddEviT1_lS1_lT2_lT0_lPT3_i
		.amdhsa_group_segment_fixed_size 0
		.amdhsa_private_segment_fixed_size 0
		.amdhsa_kernarg_size 344
		.amdhsa_user_sgpr_count 2
		.amdhsa_user_sgpr_dispatch_ptr 0
		.amdhsa_user_sgpr_queue_ptr 0
		.amdhsa_user_sgpr_kernarg_segment_ptr 1
		.amdhsa_user_sgpr_dispatch_id 0
		.amdhsa_user_sgpr_kernarg_preload_length 0
		.amdhsa_user_sgpr_kernarg_preload_offset 0
		.amdhsa_user_sgpr_private_segment_size 0
		.amdhsa_uses_dynamic_stack 0
		.amdhsa_enable_private_segment 0
		.amdhsa_system_sgpr_workgroup_id_x 1
		.amdhsa_system_sgpr_workgroup_id_y 0
		.amdhsa_system_sgpr_workgroup_id_z 1
		.amdhsa_system_sgpr_workgroup_info 0
		.amdhsa_system_vgpr_workitem_id 0
		.amdhsa_next_free_vgpr 9
		.amdhsa_next_free_sgpr 22
		.amdhsa_accum_offset 12
		.amdhsa_reserve_vcc 1
		.amdhsa_float_round_mode_32 0
		.amdhsa_float_round_mode_16_64 0
		.amdhsa_float_denorm_mode_32 3
		.amdhsa_float_denorm_mode_16_64 3
		.amdhsa_dx10_clamp 1
		.amdhsa_ieee_mode 1
		.amdhsa_fp16_overflow 0
		.amdhsa_tg_split 0
		.amdhsa_exception_fp_ieee_invalid_op 0
		.amdhsa_exception_fp_denorm_src 0
		.amdhsa_exception_fp_ieee_div_zero 0
		.amdhsa_exception_fp_ieee_overflow 0
		.amdhsa_exception_fp_ieee_underflow 0
		.amdhsa_exception_fp_ieee_inexact 0
		.amdhsa_exception_int_div_zero 0
	.end_amdhsa_kernel
	.section	.text._ZL36rocblas_hemvn_kernel_lower_block_sumILi64EldPddEviT1_lS1_lT2_lT0_lPT3_i,"axG",@progbits,_ZL36rocblas_hemvn_kernel_lower_block_sumILi64EldPddEviT1_lS1_lT2_lT0_lPT3_i,comdat
.Lfunc_end111:
	.size	_ZL36rocblas_hemvn_kernel_lower_block_sumILi64EldPddEviT1_lS1_lT2_lT0_lPT3_i, .Lfunc_end111-_ZL36rocblas_hemvn_kernel_lower_block_sumILi64EldPddEviT1_lS1_lT2_lT0_lPT3_i
                                        ; -- End function
	.set _ZL36rocblas_hemvn_kernel_lower_block_sumILi64EldPddEviT1_lS1_lT2_lT0_lPT3_i.num_vgpr, 9
	.set _ZL36rocblas_hemvn_kernel_lower_block_sumILi64EldPddEviT1_lS1_lT2_lT0_lPT3_i.num_agpr, 0
	.set _ZL36rocblas_hemvn_kernel_lower_block_sumILi64EldPddEviT1_lS1_lT2_lT0_lPT3_i.numbered_sgpr, 22
	.set _ZL36rocblas_hemvn_kernel_lower_block_sumILi64EldPddEviT1_lS1_lT2_lT0_lPT3_i.num_named_barrier, 0
	.set _ZL36rocblas_hemvn_kernel_lower_block_sumILi64EldPddEviT1_lS1_lT2_lT0_lPT3_i.private_seg_size, 0
	.set _ZL36rocblas_hemvn_kernel_lower_block_sumILi64EldPddEviT1_lS1_lT2_lT0_lPT3_i.uses_vcc, 1
	.set _ZL36rocblas_hemvn_kernel_lower_block_sumILi64EldPddEviT1_lS1_lT2_lT0_lPT3_i.uses_flat_scratch, 0
	.set _ZL36rocblas_hemvn_kernel_lower_block_sumILi64EldPddEviT1_lS1_lT2_lT0_lPT3_i.has_dyn_sized_stack, 0
	.set _ZL36rocblas_hemvn_kernel_lower_block_sumILi64EldPddEviT1_lS1_lT2_lT0_lPT3_i.has_recursion, 0
	.set _ZL36rocblas_hemvn_kernel_lower_block_sumILi64EldPddEviT1_lS1_lT2_lT0_lPT3_i.has_indirect_call, 0
	.section	.AMDGPU.csdata,"",@progbits
; Kernel info:
; codeLenInByte = 620
; TotalNumSgprs: 28
; NumVgprs: 9
; NumAgprs: 0
; TotalNumVgprs: 9
; ScratchSize: 0
; MemoryBound: 0
; FloatMode: 240
; IeeeMode: 1
; LDSByteSize: 0 bytes/workgroup (compile time only)
; SGPRBlocks: 3
; VGPRBlocks: 1
; NumSGPRsForWavesPerEU: 28
; NumVGPRsForWavesPerEU: 9
; AccumOffset: 12
; Occupancy: 8
; WaveLimiterHint : 0
; COMPUTE_PGM_RSRC2:SCRATCH_EN: 0
; COMPUTE_PGM_RSRC2:USER_SGPR: 2
; COMPUTE_PGM_RSRC2:TRAP_HANDLER: 0
; COMPUTE_PGM_RSRC2:TGID_X_EN: 1
; COMPUTE_PGM_RSRC2:TGID_Y_EN: 0
; COMPUTE_PGM_RSRC2:TGID_Z_EN: 1
; COMPUTE_PGM_RSRC2:TIDIG_COMP_CNT: 0
; COMPUTE_PGM_RSRC3_GFX90A:ACCUM_OFFSET: 2
; COMPUTE_PGM_RSRC3_GFX90A:TG_SPLIT: 0
	.section	.text._ZL26rocblas_hemvn_kernel_lowerILb0ELi64ELi4ELi33ELi32ELi16EidPKdPdEviT6_lT7_lT5_lS4_lS5_lS3_lT8_i,"axG",@progbits,_ZL26rocblas_hemvn_kernel_lowerILb0ELi64ELi4ELi33ELi32ELi16EidPKdPdEviT6_lT7_lT5_lS4_lS5_lS3_lT8_i,comdat
	.globl	_ZL26rocblas_hemvn_kernel_lowerILb0ELi64ELi4ELi33ELi32ELi16EidPKdPdEviT6_lT7_lT5_lS4_lS5_lS3_lT8_i ; -- Begin function _ZL26rocblas_hemvn_kernel_lowerILb0ELi64ELi4ELi33ELi32ELi16EidPKdPdEviT6_lT7_lT5_lS4_lS5_lS3_lT8_i
	.p2align	8
	.type	_ZL26rocblas_hemvn_kernel_lowerILb0ELi64ELi4ELi33ELi32ELi16EidPKdPdEviT6_lT7_lT5_lS4_lS5_lS3_lT8_i,@function
_ZL26rocblas_hemvn_kernel_lowerILb0ELi64ELi4ELi33ELi32ELi16EidPKdPdEviT6_lT7_lT5_lS4_lS5_lS3_lT8_i: ; @_ZL26rocblas_hemvn_kernel_lowerILb0ELi64ELi4ELi33ELi32ELi16EidPKdPdEviT6_lT7_lT5_lS4_lS5_lS3_lT8_i
; %bb.0:
	s_load_dwordx2 s[4:5], s[0:1], 0x84
	s_add_u32 s12, s0, 0x78
	s_addc_u32 s13, s1, 0
	s_waitcnt lgkmcnt(0)
	s_lshr_b32 s6, s4, 16
	s_and_b32 s4, s4, 0xffff
	s_and_b32 s5, s5, 0xffff
	s_mul_i32 s4, s6, s4
	s_mul_i32 s4, s4, s5
	s_cmpk_lg_i32 s4, 0x100
	s_cbranch_scc1 .LBB112_78
; %bb.1:
	s_load_dwordx2 s[8:9], s[0:1], 0x8
	s_load_dwordx4 s[4:7], s[0:1], 0x50
	s_waitcnt lgkmcnt(0)
	v_cmp_eq_f64_e64 s[8:9], s[8:9], 0
	v_cmp_eq_f64_e64 s[6:7], s[6:7], 1.0
	s_and_b64 s[6:7], s[8:9], s[6:7]
	s_and_b64 vcc, exec, s[6:7]
	s_cbranch_vccnz .LBB112_78
; %bb.2:
	s_and_b64 vcc, exec, s[8:9]
	s_cbranch_vccnz .LBB112_78
; %bb.3:
	s_load_dword s39, s[12:13], 0x0
	s_load_dword s38, s[0:1], 0x0
	s_load_dwordx4 s[8:11], s[0:1], 0x30
	s_load_dwordx2 s[6:7], s[0:1], 0x40
	s_load_dword s33, s[0:1], 0x48
	s_mul_i32 s5, s5, s3
	s_mul_hi_u32 s12, s4, s3
	s_add_i32 s5, s12, s5
	s_mul_i32 s4, s4, s3
	s_lshl_b64 s[4:5], s[4:5], 3
	s_waitcnt lgkmcnt(0)
	s_add_u32 s10, s10, s4
	s_addc_u32 s11, s11, s5
	s_lshl_b64 s[4:5], s[6:7], 3
	s_add_u32 s4, s10, s4
	s_addc_u32 s5, s11, s5
	s_ashr_i32 s40, s38, 31
	s_lshr_b32 s7, s40, 26
	v_and_b32_e32 v34, 0x3ff, v0
	s_lshl_b32 s26, s2, 6
	s_add_i32 s7, s38, s7
	s_andn2_b32 s7, s7, 63
	v_add_u32_e32 v32, s26, v34
	v_bfe_u32 v33, v0, 10, 10
	s_add_i32 s6, s39, -1
	s_sub_i32 s7, s38, s7
	v_mul_lo_u32 v0, s33, v32
	s_cmp_eq_u32 s2, s6
	v_ashrrev_i32_e32 v1, 31, v0
	s_cselect_b32 s24, s7, 0
	v_lshl_add_u64 v[16:17], v[0:1], 3, s[4:5]
	v_cmp_ne_u32_e64 s[4:5], 0, v33
	v_cmp_eq_u32_e64 s[18:19], 0, v33
	s_and_saveexec_b64 s[6:7], s[18:19]
	s_cbranch_execz .LBB112_7
; %bb.4:
	s_cmp_eq_u32 s24, 0
	s_cselect_b64 s[10:11], -1, 0
	v_cmp_gt_i32_e32 vcc, s24, v34
	s_or_b64 s[12:13], s[10:11], vcc
	v_mov_b64_e32 v[0:1], 0
	s_and_saveexec_b64 s[10:11], s[12:13]
	s_cbranch_execz .LBB112_6
; %bb.5:
	global_load_dwordx2 v[0:1], v[16:17], off
.LBB112_6:
	s_or_b64 exec, exec, s[10:11]
	v_lshlrev_b32_e32 v2, 3, v34
	s_waitcnt vmcnt(0)
	ds_write_b64 v2, v[0:1] offset:9088
.LBB112_7:
	s_or_b64 exec, exec, s[6:7]
	s_load_dwordx4 s[12:15], s[0:1], 0x18
	s_load_dword s22, s[0:1], 0x28
	s_mul_i32 s6, s9, s3
	s_mul_hi_u32 s7, s8, s3
	s_add_i32 s7, s7, s6
	s_mul_i32 s6, s8, s3
	s_lshl_b64 s[6:7], s[6:7], 3
	s_waitcnt lgkmcnt(0)
	s_add_u32 s8, s12, s6
	s_addc_u32 s9, s13, s7
	s_lshl_b64 s[6:7], s[14:15], 3
	s_add_u32 s8, s8, s6
	s_addc_u32 s9, s9, s7
	s_ashr_i32 s27, s26, 31
	v_lshl_add_u32 v22, v33, 6, v34
	s_lshl_b64 s[6:7], s[26:27], 3
	v_and_b32_e32 v2, 31, v34
	v_lshrrev_b32_e32 v8, 5, v22
	s_add_u32 s6, s8, s6
	s_mul_i32 s28, s22, s26
	s_addc_u32 s7, s9, s7
	v_mad_u64_u32 v[18:19], s[8:9], s22, v8, v[2:3]
	s_ashr_i32 s29, s28, 31
	v_ashrrev_i32_e32 v19, 31, v18
	s_cmp_lg_u32 s24, 0
	v_lshl_add_u64 v[0:1], v[18:19], 3, s[6:7]
	s_cselect_b64 s[30:31], -1, 0
	s_cmp_eq_u32 s24, 0
	v_lshl_add_u64 v[4:5], s[28:29], 3, v[0:1]
	s_cselect_b64 s[20:21], -1, 0
	s_mov_b64 s[6:7], -1
	s_and_b64 vcc, exec, s[30:31]
	s_cbranch_vccnz .LBB112_9
; %bb.8:
	s_lshl_b32 s6, s22, 3
	s_ashr_i32 s7, s6, 31
	s_ashr_i32 s23, s22, 31
	v_lshl_add_u64 v[0:1], s[6:7], 3, v[4:5]
	s_lshl_b64 s[6:7], s[22:23], 6
	v_lshl_add_u64 v[6:7], v[0:1], 0, s[6:7]
	v_lshl_add_u64 v[10:11], v[6:7], 0, s[6:7]
	global_load_dwordx2 v[12:13], v[4:5], off
	global_load_dwordx2 v[14:15], v[0:1], off
	global_load_dwordx2 v[20:21], v[6:7], off
	global_load_dwordx2 v[24:25], v[10:11], off
	v_mul_u32_u24_e32 v0, 0x108, v8
	v_lshl_add_u32 v0, v2, 3, v0
	s_mov_b64 s[6:7], 0
	s_waitcnt vmcnt(3)
	ds_write_b64 v0, v[12:13]
	s_waitcnt vmcnt(2)
	ds_write_b64 v0, v[14:15] offset:2112
	s_waitcnt vmcnt(1)
	ds_write_b64 v0, v[20:21] offset:4224
	;; [unrolled: 2-line block ×3, first 2 shown]
.LBB112_9:
	s_andn2_b64 vcc, exec, s[6:7]
	v_lshlrev_b32_e32 v0, 3, v2
	s_cbranch_vccnz .LBB112_19
; %bb.10:
	v_sub_co_u32_e32 v6, vcc, v4, v0
	s_ashr_i32 s25, s24, 31
	s_nop 0
	v_subbrev_co_u32_e32 v7, vcc, 0, v5, vcc
	v_lshl_add_u64 v[6:7], s[24:25], 3, v[6:7]
	v_lshl_add_u64 v[6:7], v[6:7], 0, -8
	v_cmp_gt_i32_e32 vcc, s24, v2
	v_cmp_gt_i32_e64 s[6:7], s24, v8
	v_mov_b64_e32 v[10:11], 0
	v_cndmask_b32_e32 v7, v7, v5, vcc
	v_cndmask_b32_e32 v6, v6, v4, vcc
	v_mov_b64_e32 v[12:13], 0
	s_and_saveexec_b64 s[8:9], s[6:7]
	s_cbranch_execz .LBB112_12
; %bb.11:
	global_load_dwordx2 v[12:13], v[6:7], off
.LBB112_12:
	s_or_b64 exec, exec, s[8:9]
	s_movk_i32 s6, 0x108
	v_mad_u32_u24 v3, v8, s6, v0
	s_waitcnt vmcnt(0)
	ds_write_b64 v3, v[12:13]
	v_add_u32_e32 v3, 8, v8
	v_mul_u32_u24_e32 v1, 0x108, v8
	v_cmp_gt_i32_e64 s[6:7], s24, v3
	s_and_saveexec_b64 s[8:9], s[6:7]
	s_cbranch_execz .LBB112_14
; %bb.13:
	s_lshl_b32 s6, s22, 3
	s_ashr_i32 s7, s6, 31
	v_lshl_add_u64 v[10:11], s[6:7], 3, v[6:7]
	global_load_dwordx2 v[10:11], v[10:11], off
.LBB112_14:
	s_or_b64 exec, exec, s[8:9]
	v_add_u32_e32 v1, v1, v0
	v_add_u32_e32 v3, 16, v8
	s_waitcnt vmcnt(0)
	ds_write_b64 v1, v[10:11] offset:2112
	v_cmp_gt_i32_e64 s[6:7], s24, v3
	v_mov_b64_e32 v[10:11], 0
	v_mov_b64_e32 v[12:13], 0
	s_and_saveexec_b64 s[8:9], s[6:7]
	s_cbranch_execz .LBB112_16
; %bb.15:
	s_lshl_b32 s6, s22, 4
	s_ashr_i32 s7, s6, 31
	v_lshl_add_u64 v[12:13], s[6:7], 3, v[6:7]
	global_load_dwordx2 v[12:13], v[12:13], off
.LBB112_16:
	s_or_b64 exec, exec, s[8:9]
	v_add_u32_e32 v3, 24, v8
	v_cmp_gt_i32_e64 s[6:7], s24, v3
	s_waitcnt vmcnt(0)
	ds_write_b64 v1, v[12:13] offset:4224
	s_and_saveexec_b64 s[8:9], s[6:7]
	s_cbranch_execz .LBB112_18
; %bb.17:
	s_mul_i32 s6, s22, 24
	s_ashr_i32 s7, s6, 31
	v_lshl_add_u64 v[10:11], s[6:7], 3, v[6:7]
	global_load_dwordx2 v[10:11], v[10:11], off
.LBB112_18:
	s_or_b64 exec, exec, s[8:9]
	s_waitcnt vmcnt(0)
	ds_write_b64 v1, v[10:11] offset:6336
	v_mov_b32_e32 v1, 0
	v_lshl_add_u64 v[6:7], v[6:7], 0, v[0:1]
	s_lshl_b64 s[6:7], s[24:25], 3
	v_mov_b32_e32 v1, s7
	v_subrev_co_u32_e64 v6, s[6:7], s6, v6
	s_nop 1
	v_subb_co_u32_e64 v7, s[6:7], v7, v1, s[6:7]
	v_lshl_add_u64 v[6:7], v[6:7], 0, 8
	v_cndmask_b32_e32 v5, v7, v5, vcc
	v_cndmask_b32_e32 v4, v6, v4, vcc
.LBB112_19:
	v_lshlrev_b32_e32 v9, 2, v8
	v_lshl_or_b32 v1, v2, 8, v0
	v_cmp_lt_u32_e64 s[8:9], v9, v2
	s_waitcnt lgkmcnt(0)
	s_barrier
	s_and_saveexec_b64 s[6:7], s[8:9]
	s_cbranch_execz .LBB112_21
; %bb.20:
	s_movk_i32 s10, 0x420
	v_mad_u32_u24 v3, v8, s10, v0
	ds_read_b64 v[6:7], v3
	v_lshl_add_u32 v3, v9, 3, v1
	s_waitcnt lgkmcnt(0)
	ds_write_b64 v3, v[6:7]
.LBB112_21:
	s_or_b64 exec, exec, s[6:7]
	v_or_b32_e32 v3, 1, v9
	v_cmp_lt_u32_e64 s[10:11], v3, v2
	s_and_saveexec_b64 s[6:7], s[10:11]
	s_cbranch_execz .LBB112_23
; %bb.22:
	s_movk_i32 s12, 0x108
	v_mad_u32_u24 v6, v3, s12, v0
	ds_read_b64 v[6:7], v6
	v_lshl_add_u32 v10, v9, 3, v1
	s_waitcnt lgkmcnt(0)
	ds_write_b64 v10, v[6:7] offset:8
.LBB112_23:
	s_or_b64 exec, exec, s[6:7]
	v_or_b32_e32 v6, 2, v9
	v_cmp_lt_u32_e64 s[12:13], v6, v2
	s_and_saveexec_b64 s[6:7], s[12:13]
	s_cbranch_execz .LBB112_25
; %bb.24:
	s_movk_i32 s14, 0x108
	v_mad_u32_u24 v6, v6, s14, v0
	ds_read_b64 v[6:7], v6
	v_lshl_add_u32 v10, v9, 3, v1
	s_waitcnt lgkmcnt(0)
	ds_write_b64 v10, v[6:7] offset:16
.LBB112_25:
	s_or_b64 exec, exec, s[6:7]
	v_or_b32_e32 v7, 3, v9
	v_cmp_lt_u32_e64 s[14:15], v7, v2
	v_cmp_ge_u32_e32 vcc, v7, v2
                                        ; implicit-def: $vgpr6
	s_and_saveexec_b64 s[6:7], vcc
	s_xor_b64 s[6:7], exec, s[6:7]
; %bb.26:
	v_mul_u32_u24_e32 v6, 0x108, v7
                                        ; implicit-def: $vgpr1
                                        ; implicit-def: $vgpr7
; %bb.27:
	s_andn2_saveexec_b64 s[6:7], s[6:7]
	s_cbranch_execz .LBB112_29
; %bb.28:
	s_movk_i32 s16, 0x108
	v_mad_u32_u24 v6, v7, s16, v0
	ds_read_b64 v[10:11], v6
	v_lshl_add_u32 v1, v9, 3, v1
	v_mul_u32_u24_e32 v6, 0x108, v7
	s_waitcnt lgkmcnt(0)
	ds_write_b64 v1, v[10:11] offset:24
.LBB112_29:
	s_or_b64 exec, exec, s[6:7]
	s_movk_i32 s6, 0x420
	v_mad_u32_u24 v1, v8, s6, v0
	s_movk_i32 s6, 0x108
	s_waitcnt lgkmcnt(0)
	s_barrier
	v_lshlrev_b32_e32 v11, 3, v9
	ds_read_b64 v[20:21], v1
	ds_read_b128 v[12:15], v11 offset:9088
	v_mad_u32_u24 v1, v3, s6, v0
	ds_read2_b64 v[24:27], v1 offset1:33
	v_add_u32_e32 v10, v0, v6
	ds_read_b128 v[28:31], v11 offset:9104
	ds_read_b64 v[6:7], v10
	s_waitcnt lgkmcnt(3)
	v_fma_f64 v[12:13], v[20:21], v[12:13], 0
	v_mul_u32_u24_e32 v1, 33, v2
	s_waitcnt lgkmcnt(2)
	v_fmac_f64_e32 v[12:13], v[24:25], v[14:15]
	s_waitcnt lgkmcnt(1)
	v_fmac_f64_e32 v[12:13], v[26:27], v[28:29]
	v_lshlrev_b32_e32 v23, 3, v1
	v_mov_b64_e32 v[36:37], 0
	s_waitcnt lgkmcnt(0)
	v_fmac_f64_e32 v[12:13], v[6:7], v[30:31]
	v_lshl_add_u32 v24, v8, 3, v23
	v_cmp_gt_u32_e64 s[6:7], 32, v22
	s_barrier
	ds_write_b64 v24, v[12:13]
	s_waitcnt lgkmcnt(0)
	s_barrier
	s_and_saveexec_b64 s[16:17], s[6:7]
	s_cbranch_execz .LBB112_31
; %bb.30:
	ds_read2_b64 v[12:15], v23 offset1:1
	ds_read2_b64 v[26:29], v23 offset0:2 offset1:3
	ds_read2_b64 v[36:39], v23 offset0:4 offset1:5
	s_waitcnt lgkmcnt(2)
	v_add_f64 v[6:7], v[12:13], v[14:15]
	ds_read2_b64 v[12:15], v23 offset0:6 offset1:7
	s_waitcnt lgkmcnt(2)
	v_add_f64 v[6:7], v[6:7], v[26:27]
	v_add_f64 v[6:7], v[6:7], v[28:29]
	s_waitcnt lgkmcnt(1)
	v_add_f64 v[6:7], v[6:7], v[36:37]
	v_add_f64 v[6:7], v[6:7], v[38:39]
	;; [unrolled: 3-line block ×3, first 2 shown]
.LBB112_31:
	s_or_b64 exec, exec, s[16:17]
	s_lshl_b32 s34, s22, 5
	s_ashr_i32 s35, s34, 31
	v_cndmask_b32_e64 v1, 0, 1, s[20:21]
	v_lshl_add_u64 v[6:7], s[34:35], 3, v[4:5]
	s_mov_b64 s[36:37], 0x100
	v_cmp_ne_u32_e64 s[16:17], 1, v1
	s_andn2_b64 vcc, exec, s[20:21]
	s_mov_b64 s[20:21], -1
	s_barrier
	s_cbranch_vccnz .LBB112_33
; %bb.32:
	s_lshl_b32 s20, s22, 3
	s_ashr_i32 s21, s20, 31
	s_ashr_i32 s23, s22, 31
	v_lshl_add_u64 v[4:5], s[20:21], 3, v[6:7]
	s_lshl_b64 s[20:21], s[22:23], 6
	v_lshl_add_u64 v[12:13], v[4:5], 0, s[20:21]
	v_lshl_add_u64 v[14:15], v[12:13], 0, s[20:21]
	global_load_dwordx2 v[20:21], v[6:7], off offset:256
	global_load_dwordx2 v[26:27], v[4:5], off offset:256
	;; [unrolled: 1-line block ×4, first 2 shown]
	s_movk_i32 s20, 0x108
	v_mad_u32_u24 v1, v8, s20, v0
	s_mov_b64 s[20:21], 0
	s_waitcnt vmcnt(3)
	ds_write_b64 v1, v[20:21]
	s_waitcnt vmcnt(2)
	ds_write_b64 v1, v[26:27] offset:2112
	s_waitcnt vmcnt(1)
	ds_write_b64 v1, v[28:29] offset:4224
	;; [unrolled: 2-line block ×3, first 2 shown]
.LBB112_33:
	s_andn2_b64 vcc, exec, s[20:21]
	v_lshl_add_u64 v[4:5], v[6:7], 0, s[36:37]
	s_cbranch_vccnz .LBB112_43
; %bb.34:
	v_sub_co_u32_e32 v6, vcc, v6, v0
	s_ashr_i32 s25, s24, 31
	s_nop 0
	v_subbrev_co_u32_e32 v7, vcc, 0, v7, vcc
	v_or_b32_e32 v1, 32, v2
	v_lshl_add_u64 v[6:7], s[24:25], 3, v[6:7]
	v_lshl_add_u64 v[6:7], v[6:7], 0, -8
	v_cmp_gt_i32_e32 vcc, s24, v1
	s_sub_i32 s23, s24, 32
	v_cmp_gt_i32_e64 s[20:21], s23, v8
	v_cndmask_b32_e32 v7, v7, v5, vcc
	v_cndmask_b32_e32 v6, v6, v4, vcc
	v_mov_b64_e32 v[12:13], 0
	v_mov_b64_e32 v[14:15], 0
	s_and_saveexec_b64 s[36:37], s[20:21]
	s_cbranch_execz .LBB112_36
; %bb.35:
	global_load_dwordx2 v[14:15], v[6:7], off
.LBB112_36:
	s_or_b64 exec, exec, s[36:37]
	s_movk_i32 s20, 0x108
	v_mad_u32_u24 v20, v8, s20, v0
	s_waitcnt vmcnt(0)
	ds_write_b64 v20, v[14:15]
	v_add_u32_e32 v14, 8, v8
	v_mul_u32_u24_e32 v1, 0x108, v8
	v_cmp_gt_i32_e64 s[20:21], s23, v14
	s_and_saveexec_b64 s[36:37], s[20:21]
	s_cbranch_execz .LBB112_38
; %bb.37:
	s_lshl_b32 s20, s22, 3
	s_ashr_i32 s21, s20, 31
	v_lshl_add_u64 v[12:13], s[20:21], 3, v[6:7]
	global_load_dwordx2 v[12:13], v[12:13], off
.LBB112_38:
	s_or_b64 exec, exec, s[36:37]
	v_add_u32_e32 v1, v1, v0
	s_waitcnt vmcnt(0)
	ds_write_b64 v1, v[12:13] offset:2112
	v_add_u32_e32 v12, 16, v8
	v_cmp_gt_i32_e64 s[20:21], s23, v12
	v_mov_b64_e32 v[12:13], 0
	v_mov_b64_e32 v[14:15], 0
	s_and_saveexec_b64 s[36:37], s[20:21]
	s_cbranch_execz .LBB112_40
; %bb.39:
	s_lshl_b32 s20, s22, 4
	s_ashr_i32 s21, s20, 31
	v_lshl_add_u64 v[14:15], s[20:21], 3, v[6:7]
	global_load_dwordx2 v[14:15], v[14:15], off
.LBB112_40:
	s_or_b64 exec, exec, s[36:37]
	s_waitcnt vmcnt(0)
	ds_write_b64 v1, v[14:15] offset:4224
	v_add_u32_e32 v14, 24, v8
	v_cmp_gt_i32_e64 s[20:21], s23, v14
	s_and_saveexec_b64 s[36:37], s[20:21]
	s_cbranch_execz .LBB112_42
; %bb.41:
	s_mul_i32 s20, s22, 24
	s_ashr_i32 s21, s20, 31
	v_lshl_add_u64 v[12:13], s[20:21], 3, v[6:7]
	global_load_dwordx2 v[12:13], v[12:13], off
.LBB112_42:
	s_or_b64 exec, exec, s[36:37]
	s_waitcnt vmcnt(0)
	ds_write_b64 v1, v[12:13] offset:6336
	v_mov_b32_e32 v1, 0
	v_lshl_add_u64 v[6:7], v[6:7], 0, v[0:1]
	s_lshl_b64 s[20:21], s[24:25], 3
	v_mov_b32_e32 v1, s21
	v_subrev_co_u32_e64 v6, s[20:21], s20, v6
	s_nop 1
	v_subb_co_u32_e64 v7, s[20:21], v7, v1, s[20:21]
	s_mov_b64 s[20:21], 0x108
	s_nop 0
	v_lshl_add_u64 v[6:7], v[6:7], 0, s[20:21]
	v_cndmask_b32_e32 v5, v7, v5, vcc
	v_cndmask_b32_e32 v4, v6, v4, vcc
.LBB112_43:
	v_mul_u32_u24_e32 v1, 0x420, v8
	v_add_u32_e32 v6, 0x2380, v11
	v_mul_u32_u24_e32 v3, 0x108, v3
	v_add_u32_e32 v1, v0, v1
	s_waitcnt lgkmcnt(0)
	s_barrier
	s_and_saveexec_b64 s[20:21], s[8:9]
	s_cbranch_execnz .LBB112_52
; %bb.44:
	s_or_b64 exec, exec, s[20:21]
	v_add_u32_e32 v3, v0, v3
	s_and_saveexec_b64 s[8:9], s[10:11]
	s_cbranch_execnz .LBB112_53
.LBB112_45:
	s_or_b64 exec, exec, s[8:9]
	s_and_saveexec_b64 s[8:9], s[12:13]
	s_cbranch_execnz .LBB112_54
.LBB112_46:
	s_or_b64 exec, exec, s[8:9]
	s_and_saveexec_b64 s[8:9], s[14:15]
	s_cbranch_execz .LBB112_48
.LBB112_47:
	ds_read_b64 v[12:13], v10
	v_lshl_add_u32 v7, v9, 3, v23
	s_waitcnt lgkmcnt(0)
	ds_write_b64 v7, v[12:13] offset:24
.LBB112_48:
	s_or_b64 exec, exec, s[8:9]
	s_waitcnt lgkmcnt(0)
	s_barrier
	ds_read_b64 v[20:21], v1
	ds_read_b128 v[12:15], v6 offset:256
	ds_read2_b64 v[26:29], v3 offset1:33
	ds_read_b128 v[38:41], v6 offset:272
	ds_read_b64 v[10:11], v10
	v_cmp_eq_u32_e64 s[8:9], 1, v8
	s_waitcnt lgkmcnt(3)
	v_fma_f64 v[12:13], v[20:21], v[12:13], 0
	s_waitcnt lgkmcnt(2)
	v_fmac_f64_e32 v[12:13], v[26:27], v[14:15]
	s_waitcnt lgkmcnt(1)
	v_fmac_f64_e32 v[12:13], v[28:29], v[38:39]
	;; [unrolled: 2-line block ×3, first 2 shown]
	s_barrier
	ds_write_b64 v24, v[12:13]
	s_waitcnt lgkmcnt(0)
	s_barrier
	s_and_saveexec_b64 s[10:11], s[8:9]
	s_cbranch_execz .LBB112_50
; %bb.49:
	ds_read2_b64 v[10:13], v23 offset1:1
	ds_read2_b64 v[26:29], v23 offset0:2 offset1:3
	ds_read2_b64 v[36:39], v23 offset0:4 offset1:5
	s_waitcnt lgkmcnt(2)
	v_add_f64 v[14:15], v[10:11], v[12:13]
	ds_read2_b64 v[10:13], v23 offset0:6 offset1:7
	s_waitcnt lgkmcnt(2)
	v_add_f64 v[14:15], v[14:15], v[26:27]
	v_add_f64 v[14:15], v[14:15], v[28:29]
	s_waitcnt lgkmcnt(1)
	v_add_f64 v[14:15], v[14:15], v[36:37]
	v_add_f64 v[14:15], v[14:15], v[38:39]
	;; [unrolled: 3-line block ×3, first 2 shown]
.LBB112_50:
	s_or_b64 exec, exec, s[10:11]
	s_lshl_b64 s[10:11], s[34:35], 3
	v_mov_b32_e32 v1, s11
	v_subrev_co_u32_e64 v20, s[10:11], s10, v4
	s_and_b64 vcc, exec, s[16:17]
	s_nop 0
	v_subb_co_u32_e64 v21, s[10:11], v5, v1, s[10:11]
	s_barrier
	s_cbranch_vccnz .LBB112_55
; %bb.51:
	s_lshl_b32 s10, s22, 3
	s_ashr_i32 s11, s10, 31
	s_ashr_i32 s23, s22, 31
	v_lshl_add_u64 v[4:5], s[10:11], 3, v[20:21]
	s_lshl_b64 s[10:11], s[22:23], 6
	v_lshl_add_u64 v[10:11], v[4:5], 0, s[10:11]
	v_lshl_add_u64 v[12:13], v[10:11], 0, s[10:11]
	global_load_dwordx2 v[14:15], v[20:21], off
	global_load_dwordx2 v[26:27], v[4:5], off
	;; [unrolled: 1-line block ×4, first 2 shown]
	s_movk_i32 s10, 0x108
	v_mov_b32_e32 v1, 0x840
	v_mov_b32_e32 v3, 0x1080
	;; [unrolled: 1-line block ×3, first 2 shown]
	v_mul_u32_u24_e32 v5, 0x108, v8
	v_add_u32_e32 v4, 8, v8
	v_add_u32_e32 v7, 16, v8
	;; [unrolled: 1-line block ×3, first 2 shown]
	v_mad_u32_u24 v25, v8, s10, v0
	v_mad_u32_u24 v10, v8, s10, v1
	v_mad_u32_u24 v12, v8, s10, v3
	v_mad_u32_u24 v13, v8, s10, v13
	v_add_u32_e32 v1, v0, v10
	v_add_u32_e32 v3, v0, v12
	;; [unrolled: 1-line block ×3, first 2 shown]
	s_waitcnt vmcnt(3)
	ds_write_b64 v25, v[14:15]
	s_waitcnt vmcnt(2)
	ds_write_b64 v1, v[26:27]
	;; [unrolled: 2-line block ×4, first 2 shown]
	s_cbranch_execz .LBB112_56
	s_branch .LBB112_65
.LBB112_52:
	ds_read_b64 v[12:13], v1
	v_lshl_add_u32 v7, v9, 3, v23
	s_waitcnt lgkmcnt(0)
	ds_write_b64 v7, v[12:13]
	s_or_b64 exec, exec, s[20:21]
	v_add_u32_e32 v3, v0, v3
	s_and_saveexec_b64 s[8:9], s[10:11]
	s_cbranch_execz .LBB112_45
.LBB112_53:
	ds_read_b64 v[12:13], v3
	v_lshl_add_u32 v7, v9, 3, v23
	s_waitcnt lgkmcnt(0)
	ds_write_b64 v7, v[12:13] offset:8
	s_or_b64 exec, exec, s[8:9]
	s_and_saveexec_b64 s[8:9], s[12:13]
	s_cbranch_execz .LBB112_46
.LBB112_54:
	ds_read_b64 v[12:13], v3 offset:264
	v_lshl_add_u32 v7, v9, 3, v23
	s_waitcnt lgkmcnt(0)
	ds_write_b64 v7, v[12:13] offset:16
	s_or_b64 exec, exec, s[8:9]
	s_and_saveexec_b64 s[8:9], s[14:15]
	s_cbranch_execnz .LBB112_47
	s_branch .LBB112_48
.LBB112_55:
                                        ; implicit-def: $vgpr5
                                        ; implicit-def: $vgpr4
                                        ; implicit-def: $vgpr10
                                        ; implicit-def: $vgpr7
                                        ; implicit-def: $vgpr12
                                        ; implicit-def: $vgpr11
                                        ; implicit-def: $vgpr13
.LBB112_56:
	v_or_b32_e32 v1, 32, v2
	v_sub_co_u32_e32 v2, vcc, v20, v0
	s_ashr_i32 s25, s24, 31
	s_nop 0
	v_subbrev_co_u32_e32 v3, vcc, 0, v21, vcc
	s_movk_i32 s10, 0xfef8
	v_lshl_add_u64 v[2:3], s[24:25], 3, v[2:3]
	s_mov_b32 s11, -1
	v_lshl_add_u64 v[2:3], v[2:3], 0, s[10:11]
	v_cmp_gt_i32_e32 vcc, s24, v1
	v_cmp_gt_i32_e64 s[10:11], s24, v8
	v_mov_b64_e32 v[12:13], 0
	v_cndmask_b32_e32 v3, v3, v21, vcc
	v_cndmask_b32_e32 v2, v2, v20, vcc
	v_mov_b64_e32 v[10:11], 0
	s_and_saveexec_b64 s[12:13], s[10:11]
	s_cbranch_execz .LBB112_58
; %bb.57:
	global_load_dwordx2 v[10:11], v[2:3], off
.LBB112_58:
	s_or_b64 exec, exec, s[12:13]
	s_movk_i32 s10, 0x108
	v_add_u32_e32 v4, 8, v8
	v_mul_u32_u24_e32 v5, 0x108, v8
	v_mad_u32_u24 v1, v8, s10, v0
	v_cmp_gt_i32_e64 s[10:11], s24, v4
	s_waitcnt vmcnt(0)
	ds_write_b64 v1, v[10:11]
	s_and_saveexec_b64 s[12:13], s[10:11]
	s_cbranch_execz .LBB112_60
; %bb.59:
	s_lshl_b32 s10, s22, 3
	s_ashr_i32 s11, s10, 31
	v_lshl_add_u64 v[10:11], s[10:11], 3, v[2:3]
	global_load_dwordx2 v[12:13], v[10:11], off
.LBB112_60:
	s_or_b64 exec, exec, s[12:13]
	v_add_u32_e32 v10, 0x840, v5
	v_add_u32_e32 v7, 16, v8
	;; [unrolled: 1-line block ×3, first 2 shown]
	v_cmp_gt_i32_e64 s[10:11], s24, v7
	v_mov_b64_e32 v[14:15], 0
	v_mov_b64_e32 v[26:27], 0
	s_waitcnt vmcnt(0)
	ds_write_b64 v1, v[12:13]
	s_and_saveexec_b64 s[12:13], s[10:11]
	s_cbranch_execz .LBB112_62
; %bb.61:
	s_lshl_b32 s10, s22, 4
	s_ashr_i32 s11, s10, 31
	v_lshl_add_u64 v[12:13], s[10:11], 3, v[2:3]
	global_load_dwordx2 v[26:27], v[12:13], off
.LBB112_62:
	s_or_b64 exec, exec, s[12:13]
	v_add_u32_e32 v12, 0x840, v10
	v_add_u32_e32 v11, 24, v8
	;; [unrolled: 1-line block ×3, first 2 shown]
	v_cmp_gt_i32_e64 s[10:11], s24, v11
	s_waitcnt vmcnt(0)
	ds_write_b64 v1, v[26:27]
	s_and_saveexec_b64 s[12:13], s[10:11]
	s_cbranch_execz .LBB112_64
; %bb.63:
	s_mul_i32 s10, s22, 24
	s_ashr_i32 s11, s10, 31
	v_lshl_add_u64 v[14:15], s[10:11], 3, v[2:3]
	global_load_dwordx2 v[14:15], v[14:15], off
.LBB112_64:
	s_or_b64 exec, exec, s[12:13]
	v_add_u32_e32 v13, 0x840, v12
	v_add_u32_e32 v1, v0, v13
	s_waitcnt vmcnt(0)
	ds_write_b64 v1, v[14:15]
	v_mov_b32_e32 v1, 0
	v_lshl_add_u64 v[2:3], v[2:3], 0, v[0:1]
	s_lshl_b64 s[10:11], s[24:25], 3
	v_mov_b32_e32 v1, s11
	v_subrev_co_u32_e64 v2, s[10:11], s10, v2
	s_nop 1
	v_subb_co_u32_e64 v3, s[10:11], v3, v1, s[10:11]
	s_mov_b64 s[10:11], 0x108
	s_nop 0
	v_lshl_add_u64 v[2:3], v[2:3], 0, s[10:11]
	v_cndmask_b32_e32 v21, v3, v21, vcc
	v_cndmask_b32_e32 v20, v2, v20, vcc
.LBB112_65:
	v_add_u32_e32 v1, v0, v5
	v_lshlrev_b32_e32 v2, 3, v8
	v_add_u32_e32 v3, v0, v10
	v_lshlrev_b32_e32 v4, 3, v4
	s_waitcnt lgkmcnt(0)
	s_barrier
	ds_read_b64 v[26:27], v1
	ds_read_b64 v[28:29], v2 offset:9088
	ds_read_b64 v[30:31], v3
	ds_read_b64 v[38:39], v4 offset:9088
	v_add_u32_e32 v1, v0, v12
	v_lshlrev_b32_e32 v2, 3, v7
	v_add_u32_e32 v0, v0, v13
	v_lshlrev_b32_e32 v3, 3, v11
	v_lshl_add_u32 v4, v9, 3, v23
	ds_read_b64 v[40:41], v1
	ds_read_b64 v[42:43], v2 offset:9088
	ds_read_b64 v[44:45], v0
	ds_read_b64 v[46:47], v3 offset:9088
	ds_read_b128 v[8:11], v6 offset:256
	ds_read_b128 v[0:3], v6 offset:272
	ds_read2_b64 v[12:15], v4 offset1:1
	ds_read2_b64 v[4:7], v4 offset0:2 offset1:3
	s_waitcnt lgkmcnt(10)
	v_fma_f64 v[26:27], v[26:27], v[28:29], 0
	s_waitcnt lgkmcnt(8)
	v_fmac_f64_e32 v[26:27], v[30:31], v[38:39]
	s_waitcnt lgkmcnt(6)
	v_fmac_f64_e32 v[26:27], v[40:41], v[42:43]
	;; [unrolled: 2-line block ×3, first 2 shown]
	s_waitcnt lgkmcnt(0)
	s_barrier
	ds_write_b64 v24, v[26:27]
	s_waitcnt lgkmcnt(0)
	s_barrier
	s_and_saveexec_b64 s[10:11], s[8:9]
	s_cbranch_execz .LBB112_67
; %bb.66:
	ds_read2_b64 v[26:29], v23 offset1:1
	ds_read2_b64 v[38:41], v23 offset0:2 offset1:3
	ds_read2_b64 v[42:45], v23 offset0:4 offset1:5
	s_waitcnt lgkmcnt(2)
	v_add_f64 v[26:27], v[36:37], v[26:27]
	v_add_f64 v[30:31], v[26:27], v[28:29]
	ds_read2_b64 v[26:29], v23 offset0:6 offset1:7
	s_waitcnt lgkmcnt(2)
	v_add_f64 v[30:31], v[30:31], v[38:39]
	v_add_f64 v[30:31], v[30:31], v[40:41]
	s_waitcnt lgkmcnt(1)
	v_add_f64 v[30:31], v[30:31], v[42:43]
	v_add_f64 v[30:31], v[30:31], v[44:45]
	;; [unrolled: 3-line block ×3, first 2 shown]
.LBB112_67:
	s_or_b64 exec, exec, s[10:11]
	v_fma_f64 v[8:9], v[12:13], v[8:9], 0
	v_fmac_f64_e32 v[8:9], v[14:15], v[10:11]
	v_fmac_f64_e32 v[8:9], v[4:5], v[0:1]
	;; [unrolled: 1-line block ×3, first 2 shown]
	s_barrier
	ds_write_b64 v24, v[8:9]
	s_waitcnt lgkmcnt(0)
	s_barrier
	s_and_saveexec_b64 s[8:9], s[6:7]
	s_cbranch_execz .LBB112_69
; %bb.68:
	ds_read2_b64 v[0:3], v23 offset1:1
	ds_read2_b64 v[4:7], v23 offset0:2 offset1:3
	ds_read2_b64 v[8:11], v23 offset0:4 offset1:5
	s_waitcnt lgkmcnt(2)
	v_add_f64 v[0:1], v[36:37], v[0:1]
	v_add_f64 v[12:13], v[0:1], v[2:3]
	ds_read2_b64 v[0:3], v23 offset0:6 offset1:7
	s_waitcnt lgkmcnt(2)
	v_add_f64 v[4:5], v[12:13], v[4:5]
	v_add_f64 v[4:5], v[4:5], v[6:7]
	s_waitcnt lgkmcnt(1)
	v_add_f64 v[4:5], v[4:5], v[8:9]
	v_add_f64 v[4:5], v[4:5], v[10:11]
	;; [unrolled: 3-line block ×3, first 2 shown]
.LBB112_69:
	s_or_b64 exec, exec, s[8:9]
	s_load_dwordx2 s[0:1], s[0:1], 0x68
	s_mul_hi_u32 s6, s38, s3
	s_mul_i32 s40, s40, s3
	s_add_i32 s6, s6, s40
	s_mul_i32 s3, s38, s3
	s_mul_i32 s6, s6, s39
	s_mul_hi_u32 s7, s3, s39
	s_add_i32 s7, s7, s6
	s_mul_i32 s6, s3, s39
	s_lshl_b64 s[6:7], s[6:7], 3
	s_waitcnt lgkmcnt(0)
	s_add_u32 s3, s0, s6
	s_mul_i32 s0, s38, s2
	s_addc_u32 s7, s1, s7
	s_ashr_i32 s1, s0, 31
	s_lshl_b64 s[0:1], s[0:1], 3
	s_add_u32 s6, s3, s0
	v_cmp_le_i32_e32 vcc, s24, v34
	s_addc_u32 s7, s7, s1
	s_and_b64 vcc, s[30:31], vcc
	s_cmp_lt_i32 s2, 1
	v_lshlrev_b32_e32 v74, 3, v34
	s_barrier
	s_cbranch_scc1 .LBB112_76
; %bb.70:
	s_mul_i32 s0, s33, s26
	s_ashr_i32 s1, s0, 31
	s_lshl_b64 s[0:1], s[0:1], 3
	v_mov_b32_e32 v0, s1
	v_subrev_co_u32_e64 v38, s[0:1], s0, v16
	s_ashr_i32 s25, s24, 31
	s_nop 0
	v_subb_co_u32_e64 v39, s[0:1], v17, v0, s[0:1]
	s_lshl_b64 s[0:1], s[28:29], 3
	s_nop 0
	v_mov_b32_e32 v0, s1
	v_subrev_co_u32_e64 v2, s[0:1], s0, v20
	v_lshrrev_b32_e32 v4, 4, v22
	s_nop 0
	v_subb_co_u32_e64 v3, s[0:1], v21, v0, s[0:1]
	v_lshlrev_b64 v[0:1], 3, v[18:19]
	v_sub_co_u32_e64 v0, s[0:1], v2, v0
	v_mul_lo_u32 v2, v33, s22
	s_nop 0
	v_subb_co_u32_e64 v1, s[0:1], v3, v1, s[0:1]
	v_lshl_add_u32 v2, v2, 2, v34
	v_ashrrev_i32_e32 v3, 31, v2
	s_movk_i32 s0, 0xff00
	v_lshl_add_u64 v[0:1], v[2:3], 3, v[0:1]
	s_mov_b32 s1, -1
	v_lshl_add_u64 v[2:3], v[0:1], 0, s[0:1]
	v_sub_co_u32_e64 v0, s[0:1], v0, v74
	v_and_b32_e32 v5, 15, v34
	s_nop 0
	v_subbrev_co_u32_e64 v1, s[0:1], 0, v1, s[0:1]
	s_movk_i32 s0, 0xfef8
	v_lshl_add_u64 v[0:1], s[24:25], 3, v[0:1]
	s_mov_b32 s1, -1
	v_lshl_add_u64 v[0:1], v[0:1], 0, s[0:1]
	v_cndmask_b32_e32 v41, v3, v1, vcc
	v_cndmask_b32_e32 v40, v2, v0, vcc
	v_mov_b32_e32 v0, 0x2180
	v_and_b32_e32 v1, 48, v34
	v_lshl_add_u32 v76, v33, 5, v0
	v_lshlrev_b32_e32 v0, 5, v4
	s_movk_i32 s8, 0x218
	v_lshlrev_b32_e32 v1, 3, v1
	s_movk_i32 s0, 0x860
	v_mad_u32_u24 v79, v5, s8, v0
	v_mul_i32_i24_e32 v0, 0xffffffe8, v4
	v_mad_u32_u24 v80, v5, s8, v1
	v_or_b32_e32 v1, 0x78, v74
	s_ashr_i32 s23, s22, 31
	v_mov_b32_e32 v35, 0
	s_lshl_b32 s3, s33, 6
	v_add_u32_e32 v75, 0x2180, v74
	v_add_u32_e32 v77, 0x2380, v74
	v_mad_u32_u24 v78, v33, s0, v74
	v_cmp_gt_u32_e64 s[0:1], 64, v22
	v_mad_u32_u24 v81, v5, s8, v1
	s_lshl_b64 s[8:9], s[22:23], 3
	s_lshl_b64 s[10:11], s[22:23], 9
	;; [unrolled: 1-line block ×3, first 2 shown]
	s_mul_hi_i32 s15, s22, 24
	s_mul_i32 s14, s22, 24
	s_mul_hi_i32 s17, s22, 0x90
	s_mul_i32 s16, s22, 0x90
	s_mul_hi_i32 s21, s22, 0x98
	s_mul_i32 s20, s22, 0x98
	s_mul_hi_i32 s25, s22, 0x110
	s_mul_i32 s24, s22, 0x110
	s_mul_hi_i32 s27, s22, 0x118
	s_mul_i32 s26, s22, 0x118
	s_mul_hi_i32 s29, s22, 0x190
	s_mul_i32 s28, s22, 0x190
	s_mul_hi_i32 s31, s22, 0x198
	s_mul_i32 s30, s22, 0x198
	s_mul_hi_i32 s35, s22, 0x188
	s_mul_i32 s34, s22, 0x188
	s_mul_hi_i32 s37, s22, 0x180
	s_mul_i32 s36, s22, 0x180
	s_mul_hi_i32 s39, s22, 0x108
	s_mul_i32 s38, s22, 0x108
	s_lshl_b64 s[40:41], s[22:23], 8
	s_mul_hi_i32 s43, s22, 0x88
	s_mul_i32 s42, s22, 0x88
	s_lshl_b64 s[22:23], s[22:23], 7
	s_mov_b32 s44, 0
	v_add_u32_e32 v82, v79, v0
	s_branch .LBB112_72
.LBB112_71:                             ;   in Loop: Header=BB112_72 Depth=1
	s_or_b64 exec, exec, s[46:47]
	v_fmac_f64_e32 v[36:37], v[48:49], v[4:5]
	v_fmac_f64_e32 v[36:37], v[46:47], v[6:7]
	;; [unrolled: 1-line block ×15, first 2 shown]
	s_add_i32 s2, s2, -1
	s_add_i32 s44, s44, s3
	v_fmac_f64_e32 v[36:37], v[66:67], v[26:27]
	v_lshl_add_u64 v[40:41], v[40:41], 0, s[10:11]
	s_cmp_eq_u32 s2, 0
	v_add_u32_e32 v34, 64, v34
	s_barrier
	s_cbranch_scc1 .LBB112_76
.LBB112_72:                             ; =>This Inner Loop Header: Depth=1
	s_and_saveexec_b64 s[46:47], s[18:19]
	s_cbranch_execz .LBB112_74
; %bb.73:                               ;   in Loop: Header=BB112_72 Depth=1
	s_ashr_i32 s45, s44, 31
	v_lshl_add_u64 v[0:1], s[44:45], 3, v[38:39]
	global_load_dwordx2 v[0:1], v[0:1], off
	s_waitcnt vmcnt(0)
	ds_write_b64 v75, v[0:1]
.LBB112_74:                             ;   in Loop: Header=BB112_72 Depth=1
	s_or_b64 exec, exec, s[46:47]
	s_waitcnt lgkmcnt(0)
	s_barrier
	v_lshl_add_u64 v[0:1], v[40:41], 0, s[8:9]
	v_lshl_add_u64 v[2:3], v[40:41], 0, s[12:13]
	;; [unrolled: 1-line block ×3, first 2 shown]
	global_load_dwordx2 v[48:49], v[40:41], off
	global_load_dwordx2 v[46:47], v[0:1], off
	;; [unrolled: 1-line block ×4, first 2 shown]
	ds_read_b64 v[8:9], v77
	ds_read_b128 v[4:7], v76
	ds_read_b128 v[0:3], v76 offset:16
	v_lshl_add_u64 v[10:11], v[40:41], 0, s[22:23]
	v_lshl_add_u64 v[12:13], v[40:41], 0, s[42:43]
	;; [unrolled: 1-line block ×9, first 2 shown]
	s_waitcnt vmcnt(3) lgkmcnt(2)
	v_mul_f64 v[18:19], v[48:49], v[8:9]
	s_waitcnt vmcnt(2)
	v_mul_f64 v[20:21], v[46:47], v[8:9]
	s_waitcnt vmcnt(1)
	;; [unrolled: 2-line block ×3, first 2 shown]
	v_mul_f64 v[8:9], v[42:43], v[8:9]
	ds_write2_b64 v78, v[18:19], v[20:21] offset1:67
	ds_write2_b64 v78, v[22:23], v[8:9] offset0:134 offset1:201
	s_waitcnt lgkmcnt(0)
	s_barrier
	ds_read2_b64 v[24:27], v79 offset1:1
	ds_read2_b64 v[28:31], v79 offset0:2 offset1:3
	s_waitcnt lgkmcnt(0)
	s_barrier
	global_load_dwordx2 v[56:57], v[10:11], off
	global_load_dwordx2 v[54:55], v[12:13], off
	;; [unrolled: 1-line block ×4, first 2 shown]
	ds_read_b64 v[20:21], v77
	v_lshl_add_u64 v[16:17], v[40:41], 0, s[40:41]
	v_lshl_add_u64 v[18:19], v[40:41], 0, s[38:39]
	;; [unrolled: 1-line block ×3, first 2 shown]
	ds_read_b128 v[12:15], v76 offset:128
	ds_read_b128 v[8:11], v76 offset:144
	v_add_f64 v[24:25], v[24:25], 0
	v_add_f64 v[24:25], v[24:25], v[26:27]
	;; [unrolled: 1-line block ×3, first 2 shown]
	s_waitcnt vmcnt(3) lgkmcnt(2)
	v_mul_f64 v[58:59], v[56:57], v[20:21]
	s_waitcnt vmcnt(2)
	v_mul_f64 v[60:61], v[54:55], v[20:21]
	s_waitcnt vmcnt(1)
	;; [unrolled: 2-line block ×3, first 2 shown]
	v_mul_f64 v[20:21], v[50:51], v[20:21]
	ds_write2_b64 v78, v[58:59], v[60:61] offset1:67
	ds_write2_b64 v78, v[62:63], v[20:21] offset0:134 offset1:201
	s_waitcnt lgkmcnt(0)
	s_barrier
	ds_read2_b64 v[84:87], v79 offset1:1
	ds_read2_b64 v[88:91], v79 offset0:2 offset1:3
	s_waitcnt lgkmcnt(0)
	s_barrier
	global_load_dwordx2 v[64:65], v[16:17], off
	global_load_dwordx2 v[62:63], v[18:19], off
	;; [unrolled: 1-line block ×4, first 2 shown]
	ds_read_b64 v[66:67], v77
	ds_read_b128 v[20:23], v76 offset:256
	ds_read_b128 v[16:19], v76 offset:272
	s_waitcnt vmcnt(3) lgkmcnt(2)
	v_mul_f64 v[68:69], v[64:65], v[66:67]
	s_waitcnt vmcnt(2)
	v_mul_f64 v[70:71], v[62:63], v[66:67]
	s_waitcnt vmcnt(1)
	v_mul_f64 v[72:73], v[60:61], v[66:67]
	s_waitcnt vmcnt(0)
	v_mul_f64 v[66:67], v[58:59], v[66:67]
	ds_write2_b64 v78, v[68:69], v[70:71] offset1:67
	ds_write2_b64 v78, v[72:73], v[66:67] offset0:134 offset1:201
	s_waitcnt lgkmcnt(0)
	s_barrier
	ds_read2_b64 v[92:95], v79 offset1:1
	ds_read2_b64 v[96:99], v79 offset0:2 offset1:3
	s_waitcnt lgkmcnt(0)
	s_barrier
	global_load_dwordx2 v[72:73], v[100:101], off
	global_load_dwordx2 v[70:71], v[102:103], off
	;; [unrolled: 1-line block ×4, first 2 shown]
	v_add_f64 v[100:101], v[24:25], v[30:31]
	v_add_f64 v[24:25], v[84:85], 0
	;; [unrolled: 1-line block ×5, first 2 shown]
	ds_read_b64 v[84:85], v77
	ds_read_b128 v[28:31], v76 offset:384
	ds_read_b128 v[24:27], v76 offset:400
	v_add_f64 v[86:87], v[92:93], 0
	v_add_f64 v[86:87], v[86:87], v[94:95]
	v_add_f64 v[86:87], v[86:87], v[96:97]
	v_add_f64 v[92:93], v[86:87], v[98:99]
	s_waitcnt vmcnt(3) lgkmcnt(2)
	v_mul_f64 v[86:87], v[72:73], v[84:85]
	s_waitcnt vmcnt(2)
	v_mul_f64 v[88:89], v[70:71], v[84:85]
	s_waitcnt vmcnt(1)
	;; [unrolled: 2-line block ×3, first 2 shown]
	v_mul_f64 v[84:85], v[66:67], v[84:85]
	ds_write2_b64 v78, v[86:87], v[88:89] offset1:67
	ds_write2_b64 v78, v[90:91], v[84:85] offset0:134 offset1:201
	s_waitcnt lgkmcnt(0)
	s_barrier
	ds_read2_b64 v[84:87], v79 offset1:1
	ds_read2_b64 v[88:91], v79 offset0:2 offset1:3
	s_waitcnt lgkmcnt(0)
	s_barrier
	v_add_f64 v[84:85], v[84:85], 0
	v_add_f64 v[84:85], v[84:85], v[86:87]
	;; [unrolled: 1-line block ×4, first 2 shown]
	ds_write2_b64 v82, v[100:101], v[102:103] offset1:16
	ds_write2_b64 v82, v[92:93], v[84:85] offset0:32 offset1:48
	s_waitcnt lgkmcnt(0)
	s_barrier
	s_and_saveexec_b64 s[46:47], s[0:1]
	s_cbranch_execz .LBB112_71
; %bb.75:                               ;   in Loop: Header=BB112_72 Depth=1
	ds_read2_b64 v[84:87], v80 offset1:1
	ds_read2_b64 v[88:91], v80 offset0:2 offset1:3
	ds_read2_b64 v[92:95], v80 offset0:4 offset1:5
	;; [unrolled: 1-line block ×4, first 2 shown]
	s_waitcnt lgkmcnt(4)
	v_add_f64 v[84:85], v[84:85], v[86:87]
	s_waitcnt lgkmcnt(3)
	v_add_f64 v[84:85], v[84:85], v[88:89]
	v_add_f64 v[84:85], v[84:85], v[90:91]
	s_waitcnt lgkmcnt(2)
	v_add_f64 v[84:85], v[84:85], v[92:93]
	;; [unrolled: 3-line block ×3, first 2 shown]
	ds_read2_b64 v[84:87], v80 offset0:10 offset1:11
	v_add_f64 v[88:89], v[88:89], v[98:99]
	s_waitcnt lgkmcnt(1)
	v_add_f64 v[88:89], v[88:89], v[100:101]
	v_add_f64 v[92:93], v[88:89], v[102:103]
	ds_read2_b64 v[88:91], v80 offset0:12 offset1:13
	s_waitcnt lgkmcnt(1)
	v_add_f64 v[84:85], v[92:93], v[84:85]
	ds_read_b64 v[92:93], v80 offset:112
	ds_read_b64 v[94:95], v81
	v_add_f64 v[84:85], v[84:85], v[86:87]
	v_lshl_add_u64 v[86:87], v[34:35], 3, s[6:7]
	s_waitcnt lgkmcnt(2)
	v_add_f64 v[84:85], v[84:85], v[88:89]
	v_add_f64 v[84:85], v[84:85], v[90:91]
	s_waitcnt lgkmcnt(1)
	v_add_f64 v[84:85], v[84:85], v[92:93]
	s_waitcnt lgkmcnt(0)
	v_add_f64 v[84:85], v[84:85], v[94:95]
	global_store_dwordx2 v[86:87], v[84:85], off
	s_branch .LBB112_71
.LBB112_76:
	s_movk_i32 s0, 0x218
	v_mad_u32_u24 v0, v33, s0, v74
	s_nor_b64 s[0:1], s[4:5], vcc
	ds_write_b64 v0, v[36:37]
	s_waitcnt lgkmcnt(0)
	s_barrier
	s_and_saveexec_b64 s[2:3], s[0:1]
	s_cbranch_execz .LBB112_78
; %bb.77:
	ds_read2_b64 v[0:3], v74 offset1:67
	ds_read2_b64 v[4:7], v74 offset0:134 offset1:201
	v_ashrrev_i32_e32 v33, 31, v32
	s_waitcnt lgkmcnt(1)
	v_add_f64 v[0:1], v[0:1], v[2:3]
	s_waitcnt lgkmcnt(0)
	v_add_f64 v[0:1], v[0:1], v[4:5]
	v_add_f64 v[0:1], v[0:1], v[6:7]
	v_lshl_add_u64 v[2:3], v[32:33], 3, s[6:7]
	global_store_dwordx2 v[2:3], v[0:1], off
.LBB112_78:
	s_endpgm
	.section	.rodata,"a",@progbits
	.p2align	6, 0x0
	.amdhsa_kernel _ZL26rocblas_hemvn_kernel_lowerILb0ELi64ELi4ELi33ELi32ELi16EidPKdPdEviT6_lT7_lT5_lS4_lS5_lS3_lT8_i
		.amdhsa_group_segment_fixed_size 9600
		.amdhsa_private_segment_fixed_size 0
		.amdhsa_kernarg_size 376
		.amdhsa_user_sgpr_count 2
		.amdhsa_user_sgpr_dispatch_ptr 0
		.amdhsa_user_sgpr_queue_ptr 0
		.amdhsa_user_sgpr_kernarg_segment_ptr 1
		.amdhsa_user_sgpr_dispatch_id 0
		.amdhsa_user_sgpr_kernarg_preload_length 0
		.amdhsa_user_sgpr_kernarg_preload_offset 0
		.amdhsa_user_sgpr_private_segment_size 0
		.amdhsa_uses_dynamic_stack 0
		.amdhsa_enable_private_segment 0
		.amdhsa_system_sgpr_workgroup_id_x 1
		.amdhsa_system_sgpr_workgroup_id_y 0
		.amdhsa_system_sgpr_workgroup_id_z 1
		.amdhsa_system_sgpr_workgroup_info 0
		.amdhsa_system_vgpr_workitem_id 1
		.amdhsa_next_free_vgpr 108
		.amdhsa_next_free_sgpr 48
		.amdhsa_accum_offset 108
		.amdhsa_reserve_vcc 1
		.amdhsa_float_round_mode_32 0
		.amdhsa_float_round_mode_16_64 0
		.amdhsa_float_denorm_mode_32 3
		.amdhsa_float_denorm_mode_16_64 3
		.amdhsa_dx10_clamp 1
		.amdhsa_ieee_mode 1
		.amdhsa_fp16_overflow 0
		.amdhsa_tg_split 0
		.amdhsa_exception_fp_ieee_invalid_op 0
		.amdhsa_exception_fp_denorm_src 0
		.amdhsa_exception_fp_ieee_div_zero 0
		.amdhsa_exception_fp_ieee_overflow 0
		.amdhsa_exception_fp_ieee_underflow 0
		.amdhsa_exception_fp_ieee_inexact 0
		.amdhsa_exception_int_div_zero 0
	.end_amdhsa_kernel
	.section	.text._ZL26rocblas_hemvn_kernel_lowerILb0ELi64ELi4ELi33ELi32ELi16EidPKdPdEviT6_lT7_lT5_lS4_lS5_lS3_lT8_i,"axG",@progbits,_ZL26rocblas_hemvn_kernel_lowerILb0ELi64ELi4ELi33ELi32ELi16EidPKdPdEviT6_lT7_lT5_lS4_lS5_lS3_lT8_i,comdat
.Lfunc_end112:
	.size	_ZL26rocblas_hemvn_kernel_lowerILb0ELi64ELi4ELi33ELi32ELi16EidPKdPdEviT6_lT7_lT5_lS4_lS5_lS3_lT8_i, .Lfunc_end112-_ZL26rocblas_hemvn_kernel_lowerILb0ELi64ELi4ELi33ELi32ELi16EidPKdPdEviT6_lT7_lT5_lS4_lS5_lS3_lT8_i
                                        ; -- End function
	.set _ZL26rocblas_hemvn_kernel_lowerILb0ELi64ELi4ELi33ELi32ELi16EidPKdPdEviT6_lT7_lT5_lS4_lS5_lS3_lT8_i.num_vgpr, 108
	.set _ZL26rocblas_hemvn_kernel_lowerILb0ELi64ELi4ELi33ELi32ELi16EidPKdPdEviT6_lT7_lT5_lS4_lS5_lS3_lT8_i.num_agpr, 0
	.set _ZL26rocblas_hemvn_kernel_lowerILb0ELi64ELi4ELi33ELi32ELi16EidPKdPdEviT6_lT7_lT5_lS4_lS5_lS3_lT8_i.numbered_sgpr, 48
	.set _ZL26rocblas_hemvn_kernel_lowerILb0ELi64ELi4ELi33ELi32ELi16EidPKdPdEviT6_lT7_lT5_lS4_lS5_lS3_lT8_i.num_named_barrier, 0
	.set _ZL26rocblas_hemvn_kernel_lowerILb0ELi64ELi4ELi33ELi32ELi16EidPKdPdEviT6_lT7_lT5_lS4_lS5_lS3_lT8_i.private_seg_size, 0
	.set _ZL26rocblas_hemvn_kernel_lowerILb0ELi64ELi4ELi33ELi32ELi16EidPKdPdEviT6_lT7_lT5_lS4_lS5_lS3_lT8_i.uses_vcc, 1
	.set _ZL26rocblas_hemvn_kernel_lowerILb0ELi64ELi4ELi33ELi32ELi16EidPKdPdEviT6_lT7_lT5_lS4_lS5_lS3_lT8_i.uses_flat_scratch, 0
	.set _ZL26rocblas_hemvn_kernel_lowerILb0ELi64ELi4ELi33ELi32ELi16EidPKdPdEviT6_lT7_lT5_lS4_lS5_lS3_lT8_i.has_dyn_sized_stack, 0
	.set _ZL26rocblas_hemvn_kernel_lowerILb0ELi64ELi4ELi33ELi32ELi16EidPKdPdEviT6_lT7_lT5_lS4_lS5_lS3_lT8_i.has_recursion, 0
	.set _ZL26rocblas_hemvn_kernel_lowerILb0ELi64ELi4ELi33ELi32ELi16EidPKdPdEviT6_lT7_lT5_lS4_lS5_lS3_lT8_i.has_indirect_call, 0
	.section	.AMDGPU.csdata,"",@progbits
; Kernel info:
; codeLenInByte = 5860
; TotalNumSgprs: 54
; NumVgprs: 108
; NumAgprs: 0
; TotalNumVgprs: 108
; ScratchSize: 0
; MemoryBound: 0
; FloatMode: 240
; IeeeMode: 1
; LDSByteSize: 9600 bytes/workgroup (compile time only)
; SGPRBlocks: 6
; VGPRBlocks: 13
; NumSGPRsForWavesPerEU: 54
; NumVGPRsForWavesPerEU: 108
; AccumOffset: 108
; Occupancy: 4
; WaveLimiterHint : 1
; COMPUTE_PGM_RSRC2:SCRATCH_EN: 0
; COMPUTE_PGM_RSRC2:USER_SGPR: 2
; COMPUTE_PGM_RSRC2:TRAP_HANDLER: 0
; COMPUTE_PGM_RSRC2:TGID_X_EN: 1
; COMPUTE_PGM_RSRC2:TGID_Y_EN: 0
; COMPUTE_PGM_RSRC2:TGID_Z_EN: 1
; COMPUTE_PGM_RSRC2:TIDIG_COMP_CNT: 1
; COMPUTE_PGM_RSRC3_GFX90A:ACCUM_OFFSET: 26
; COMPUTE_PGM_RSRC3_GFX90A:TG_SPLIT: 0
	.section	.text._ZL36rocblas_hemvn_kernel_lower_block_sumILi64EidPddEviT1_lS1_lT2_lT0_lPT3_i,"axG",@progbits,_ZL36rocblas_hemvn_kernel_lower_block_sumILi64EidPddEviT1_lS1_lT2_lT0_lPT3_i,comdat
	.globl	_ZL36rocblas_hemvn_kernel_lower_block_sumILi64EidPddEviT1_lS1_lT2_lT0_lPT3_i ; -- Begin function _ZL36rocblas_hemvn_kernel_lower_block_sumILi64EidPddEviT1_lS1_lT2_lT0_lPT3_i
	.p2align	8
	.type	_ZL36rocblas_hemvn_kernel_lower_block_sumILi64EidPddEviT1_lS1_lT2_lT0_lPT3_i,@function
_ZL36rocblas_hemvn_kernel_lower_block_sumILi64EidPddEviT1_lS1_lT2_lT0_lPT3_i: ; @_ZL36rocblas_hemvn_kernel_lower_block_sumILi64EidPddEviT1_lS1_lT2_lT0_lPT3_i
; %bb.0:
	s_load_dwordx2 s[8:9], s[0:1], 0x8
	s_load_dwordx2 s[10:11], s[0:1], 0x18
	s_waitcnt lgkmcnt(0)
	v_cmp_eq_f64_e64 s[4:5], s[8:9], 0
	v_cmp_eq_f64_e64 s[6:7], s[10:11], 1.0
	s_and_b64 s[4:5], s[4:5], s[6:7]
	s_and_b64 vcc, exec, s[4:5]
	s_cbranch_vccnz .LBB113_19
; %bb.1:
	s_load_dwordx2 s[12:13], s[0:1], 0x40
	s_load_dwordx4 s[4:7], s[0:1], 0x28
	s_load_dword s20, s[0:1], 0x38
	s_load_dword s14, s[0:1], 0x0
	v_lshl_or_b32 v6, s2, 6, v0
	s_waitcnt lgkmcnt(0)
	s_mul_i32 s13, s13, s3
	s_mul_hi_u32 s15, s12, s3
	s_add_i32 s13, s15, s13
	s_mul_i32 s12, s12, s3
	s_lshl_b64 s[12:13], s[12:13], 3
	s_add_u32 s12, s4, s12
	s_addc_u32 s13, s5, s13
	s_lshl_b64 s[4:5], s[6:7], 3
	s_add_u32 s6, s12, s4
	s_addc_u32 s7, s13, s5
	v_cmp_neq_f64_e64 s[4:5], s[8:9], 0
	s_mov_b64 s[12:13], 0
	s_and_b64 vcc, exec, s[4:5]
	v_cmp_gt_i32_e64 s[4:5], s14, v6
	s_cbranch_vccnz .LBB113_6
; %bb.2:
	s_mov_b64 s[16:17], 0
                                        ; implicit-def: $vgpr2_vgpr3
                                        ; implicit-def: $vgpr0_vgpr1
	s_and_saveexec_b64 s[18:19], s[4:5]
	s_cbranch_execz .LBB113_7
; %bb.3:
	v_cmp_eq_f64_e64 s[4:5], s[10:11], 0
	v_mul_lo_u32 v0, s20, v6
	v_mov_b64_e32 v[2:3], 0
	v_ashrrev_i32_e32 v1, 31, v0
	s_and_b64 vcc, exec, s[4:5]
	s_cbranch_vccnz .LBB113_5
; %bb.4:
	v_lshl_add_u64 v[2:3], v[0:1], 3, s[6:7]
	global_load_dwordx2 v[2:3], v[2:3], off
	s_waitcnt vmcnt(0)
	v_mul_f64 v[2:3], s[10:11], v[2:3]
.LBB113_5:
	s_mov_b64 s[12:13], exec
	s_or_b64 exec, exec, s[18:19]
	s_and_b64 vcc, exec, s[16:17]
	s_cbranch_vccnz .LBB113_8
	s_branch .LBB113_17
.LBB113_6:
                                        ; implicit-def: $vgpr2_vgpr3
                                        ; implicit-def: $vgpr0_vgpr1
	s_cbranch_execnz .LBB113_8
	s_branch .LBB113_17
.LBB113_7:
	s_or_b64 exec, exec, s[18:19]
	s_and_b64 vcc, exec, s[16:17]
	s_cbranch_vccz .LBB113_17
.LBB113_8:
	v_cmp_gt_i32_e32 vcc, s14, v6
                                        ; implicit-def: $vgpr2_vgpr3
                                        ; implicit-def: $vgpr0_vgpr1
	s_and_saveexec_b64 s[4:5], vcc
	s_cbranch_execz .LBB113_16
; %bb.9:
	s_load_dword s16, s[0:1], 0x58
	v_mov_b64_e32 v[4:5], 0
	s_waitcnt lgkmcnt(0)
	s_cmp_ge_i32 s2, s16
	s_cbranch_scc1 .LBB113_12
; %bb.10:
	s_ashr_i32 s15, s14, 31
	s_mul_i32 s17, s14, s2
	s_load_dwordx2 s[0:1], s[0:1], 0x48
	v_add_u32_e32 v0, s17, v6
	s_mul_hi_u32 s17, s14, s3
	s_mul_i32 s18, s15, s3
	s_add_i32 s17, s17, s18
	s_mul_i32 s3, s14, s3
	s_mul_i32 s17, s17, s16
	s_mul_hi_u32 s18, s3, s16
	s_add_i32 s19, s18, s17
	s_mul_i32 s18, s3, s16
	s_lshl_b64 s[18:19], s[18:19], 3
	s_waitcnt lgkmcnt(0)
	s_add_u32 s0, s0, s18
	v_ashrrev_i32_e32 v1, 31, v0
	s_addc_u32 s1, s1, s19
	v_lshl_add_u64 v[0:1], v[0:1], 3, s[0:1]
	s_lshl_b64 s[0:1], s[14:15], 3
	v_mov_b64_e32 v[4:5], 0
.LBB113_11:                             ; =>This Inner Loop Header: Depth=1
	global_load_dwordx2 v[2:3], v[0:1], off
	s_add_i32 s2, s2, 1
	v_lshl_add_u64 v[0:1], v[0:1], 0, s[0:1]
	s_cmp_ge_i32 s2, s16
	s_waitcnt vmcnt(0)
	v_add_f64 v[4:5], v[4:5], v[2:3]
	s_cbranch_scc0 .LBB113_11
.LBB113_12:
	v_cmp_eq_f64_e64 s[2:3], s[10:11], 0
	v_mul_lo_u32 v0, s20, v6
	s_mov_b64 s[0:1], 0
	s_and_b64 vcc, exec, s[2:3]
	v_ashrrev_i32_e32 v1, 31, v0
	s_cbranch_vccz .LBB113_20
; %bb.13:
	v_mul_f64 v[2:3], s[8:9], v[4:5]
	s_andn2_b64 vcc, exec, s[0:1]
	s_cbranch_vccnz .LBB113_15
.LBB113_14:
	v_lshl_add_u64 v[2:3], v[0:1], 3, s[6:7]
	global_load_dwordx2 v[2:3], v[2:3], off
	s_waitcnt vmcnt(0)
	v_mul_f64 v[2:3], s[10:11], v[2:3]
	v_fmac_f64_e32 v[2:3], s[8:9], v[4:5]
.LBB113_15:
	s_or_b64 s[12:13], s[12:13], exec
.LBB113_16:
	s_or_b64 exec, exec, s[4:5]
.LBB113_17:
	s_and_saveexec_b64 s[0:1], s[12:13]
	s_cbranch_execz .LBB113_19
; %bb.18:
	v_lshl_add_u64 v[0:1], v[0:1], 3, s[6:7]
	global_store_dwordx2 v[0:1], v[2:3], off
.LBB113_19:
	s_endpgm
.LBB113_20:
                                        ; implicit-def: $vgpr2_vgpr3
	s_branch .LBB113_14
	.section	.rodata,"a",@progbits
	.p2align	6, 0x0
	.amdhsa_kernel _ZL36rocblas_hemvn_kernel_lower_block_sumILi64EidPddEviT1_lS1_lT2_lT0_lPT3_i
		.amdhsa_group_segment_fixed_size 0
		.amdhsa_private_segment_fixed_size 0
		.amdhsa_kernarg_size 344
		.amdhsa_user_sgpr_count 2
		.amdhsa_user_sgpr_dispatch_ptr 0
		.amdhsa_user_sgpr_queue_ptr 0
		.amdhsa_user_sgpr_kernarg_segment_ptr 1
		.amdhsa_user_sgpr_dispatch_id 0
		.amdhsa_user_sgpr_kernarg_preload_length 0
		.amdhsa_user_sgpr_kernarg_preload_offset 0
		.amdhsa_user_sgpr_private_segment_size 0
		.amdhsa_uses_dynamic_stack 0
		.amdhsa_enable_private_segment 0
		.amdhsa_system_sgpr_workgroup_id_x 1
		.amdhsa_system_sgpr_workgroup_id_y 0
		.amdhsa_system_sgpr_workgroup_id_z 1
		.amdhsa_system_sgpr_workgroup_info 0
		.amdhsa_system_vgpr_workitem_id 0
		.amdhsa_next_free_vgpr 7
		.amdhsa_next_free_sgpr 21
		.amdhsa_accum_offset 8
		.amdhsa_reserve_vcc 1
		.amdhsa_float_round_mode_32 0
		.amdhsa_float_round_mode_16_64 0
		.amdhsa_float_denorm_mode_32 3
		.amdhsa_float_denorm_mode_16_64 3
		.amdhsa_dx10_clamp 1
		.amdhsa_ieee_mode 1
		.amdhsa_fp16_overflow 0
		.amdhsa_tg_split 0
		.amdhsa_exception_fp_ieee_invalid_op 0
		.amdhsa_exception_fp_denorm_src 0
		.amdhsa_exception_fp_ieee_div_zero 0
		.amdhsa_exception_fp_ieee_overflow 0
		.amdhsa_exception_fp_ieee_underflow 0
		.amdhsa_exception_fp_ieee_inexact 0
		.amdhsa_exception_int_div_zero 0
	.end_amdhsa_kernel
	.section	.text._ZL36rocblas_hemvn_kernel_lower_block_sumILi64EidPddEviT1_lS1_lT2_lT0_lPT3_i,"axG",@progbits,_ZL36rocblas_hemvn_kernel_lower_block_sumILi64EidPddEviT1_lS1_lT2_lT0_lPT3_i,comdat
.Lfunc_end113:
	.size	_ZL36rocblas_hemvn_kernel_lower_block_sumILi64EidPddEviT1_lS1_lT2_lT0_lPT3_i, .Lfunc_end113-_ZL36rocblas_hemvn_kernel_lower_block_sumILi64EidPddEviT1_lS1_lT2_lT0_lPT3_i
                                        ; -- End function
	.set _ZL36rocblas_hemvn_kernel_lower_block_sumILi64EidPddEviT1_lS1_lT2_lT0_lPT3_i.num_vgpr, 7
	.set _ZL36rocblas_hemvn_kernel_lower_block_sumILi64EidPddEviT1_lS1_lT2_lT0_lPT3_i.num_agpr, 0
	.set _ZL36rocblas_hemvn_kernel_lower_block_sumILi64EidPddEviT1_lS1_lT2_lT0_lPT3_i.numbered_sgpr, 21
	.set _ZL36rocblas_hemvn_kernel_lower_block_sumILi64EidPddEviT1_lS1_lT2_lT0_lPT3_i.num_named_barrier, 0
	.set _ZL36rocblas_hemvn_kernel_lower_block_sumILi64EidPddEviT1_lS1_lT2_lT0_lPT3_i.private_seg_size, 0
	.set _ZL36rocblas_hemvn_kernel_lower_block_sumILi64EidPddEviT1_lS1_lT2_lT0_lPT3_i.uses_vcc, 1
	.set _ZL36rocblas_hemvn_kernel_lower_block_sumILi64EidPddEviT1_lS1_lT2_lT0_lPT3_i.uses_flat_scratch, 0
	.set _ZL36rocblas_hemvn_kernel_lower_block_sumILi64EidPddEviT1_lS1_lT2_lT0_lPT3_i.has_dyn_sized_stack, 0
	.set _ZL36rocblas_hemvn_kernel_lower_block_sumILi64EidPddEviT1_lS1_lT2_lT0_lPT3_i.has_recursion, 0
	.set _ZL36rocblas_hemvn_kernel_lower_block_sumILi64EidPddEviT1_lS1_lT2_lT0_lPT3_i.has_indirect_call, 0
	.section	.AMDGPU.csdata,"",@progbits
; Kernel info:
; codeLenInByte = 556
; TotalNumSgprs: 27
; NumVgprs: 7
; NumAgprs: 0
; TotalNumVgprs: 7
; ScratchSize: 0
; MemoryBound: 0
; FloatMode: 240
; IeeeMode: 1
; LDSByteSize: 0 bytes/workgroup (compile time only)
; SGPRBlocks: 3
; VGPRBlocks: 0
; NumSGPRsForWavesPerEU: 27
; NumVGPRsForWavesPerEU: 7
; AccumOffset: 8
; Occupancy: 8
; WaveLimiterHint : 0
; COMPUTE_PGM_RSRC2:SCRATCH_EN: 0
; COMPUTE_PGM_RSRC2:USER_SGPR: 2
; COMPUTE_PGM_RSRC2:TRAP_HANDLER: 0
; COMPUTE_PGM_RSRC2:TGID_X_EN: 1
; COMPUTE_PGM_RSRC2:TGID_Y_EN: 0
; COMPUTE_PGM_RSRC2:TGID_Z_EN: 1
; COMPUTE_PGM_RSRC2:TIDIG_COMP_CNT: 0
; COMPUTE_PGM_RSRC3_GFX90A:ACCUM_OFFSET: 1
; COMPUTE_PGM_RSRC3_GFX90A:TG_SPLIT: 0
	.section	.text._ZL26rocblas_hemvn_kernel_upperILb0ELi64ELi4ELi33ELi32ELi16ElPK19rocblas_complex_numIfES3_PS1_EviT6_lT7_lT5_lS6_lS7_lS5_lT8_i,"axG",@progbits,_ZL26rocblas_hemvn_kernel_upperILb0ELi64ELi4ELi33ELi32ELi16ElPK19rocblas_complex_numIfES3_PS1_EviT6_lT7_lT5_lS6_lS7_lS5_lT8_i,comdat
	.globl	_ZL26rocblas_hemvn_kernel_upperILb0ELi64ELi4ELi33ELi32ELi16ElPK19rocblas_complex_numIfES3_PS1_EviT6_lT7_lT5_lS6_lS7_lS5_lT8_i ; -- Begin function _ZL26rocblas_hemvn_kernel_upperILb0ELi64ELi4ELi33ELi32ELi16ElPK19rocblas_complex_numIfES3_PS1_EviT6_lT7_lT5_lS6_lS7_lS5_lT8_i
	.p2align	8
	.type	_ZL26rocblas_hemvn_kernel_upperILb0ELi64ELi4ELi33ELi32ELi16ElPK19rocblas_complex_numIfES3_PS1_EviT6_lT7_lT5_lS6_lS7_lS5_lT8_i,@function
_ZL26rocblas_hemvn_kernel_upperILb0ELi64ELi4ELi33ELi32ELi16ElPK19rocblas_complex_numIfES3_PS1_EviT6_lT7_lT5_lS6_lS7_lS5_lT8_i: ; @_ZL26rocblas_hemvn_kernel_upperILb0ELi64ELi4ELi33ELi32ELi16ElPK19rocblas_complex_numIfES3_PS1_EviT6_lT7_lT5_lS6_lS7_lS5_lT8_i
; %bb.0:
	s_load_dwordx2 s[6:7], s[0:1], 0x84
	s_add_u32 s4, s0, 0x78
	s_addc_u32 s5, s1, 0
	s_waitcnt lgkmcnt(0)
	s_lshr_b32 s8, s6, 16
	s_and_b32 s6, s6, 0xffff
	s_and_b32 s7, s7, 0xffff
	s_mul_i32 s6, s8, s6
	s_mul_i32 s6, s6, s7
	s_cmpk_lg_i32 s6, 0x100
	s_cbranch_scc1 .LBB114_150
; %bb.1:
	s_load_dwordx16 s[8:23], s[0:1], 0x8
	s_waitcnt lgkmcnt(0)
	s_mul_i32 s7, s11, s3
	s_mul_hi_u32 s11, s10, s3
	s_mul_i32 s6, s10, s3
	s_add_i32 s7, s11, s7
	s_lshl_b64 s[6:7], s[6:7], 3
	s_add_u32 s6, s8, s6
	s_addc_u32 s7, s9, s7
	s_load_dwordx2 s[8:9], s[6:7], 0x0
	s_load_dwordx2 s[34:35], s[0:1], 0x68
	s_load_dwordx8 s[24:31], s[0:1], 0x48
	s_waitcnt lgkmcnt(0)
	s_or_b32 s6, s8, s9
	s_bitset0_b32 s6, 31
	s_cmp_lg_u32 s6, 0
	s_cselect_b64 s[6:7], -1, 0
	s_mov_b64 s[8:9], -1
	s_and_b64 vcc, exec, s[6:7]
	s_cbranch_vccnz .LBB114_3
; %bb.2:
	s_mul_i32 s8, s31, s3
	s_mul_hi_u32 s9, s30, s3
	s_add_i32 s9, s9, s8
	s_mul_i32 s8, s30, s3
	s_lshl_b64 s[8:9], s[8:9], 3
	s_add_u32 s8, s28, s8
	s_addc_u32 s9, s29, s9
	s_load_dwordx2 s[10:11], s[8:9], 0x0
	s_waitcnt lgkmcnt(0)
	v_cmp_neq_f32_e64 s[8:9], s10, 1.0
	v_cmp_neq_f32_e64 s[10:11], s11, 0
	s_or_b64 s[8:9], s[8:9], s[10:11]
.LBB114_3:
	s_andn2_b64 vcc, exec, s[8:9]
	s_cbranch_vccnz .LBB114_150
; %bb.4:
	s_andn2_b64 vcc, exec, s[6:7]
	s_cbranch_vccnz .LBB114_150
; %bb.5:
	s_load_dword s30, s[4:5], 0x0
	s_load_dword s33, s[0:1], 0x0
	s_mul_i32 s0, s27, s3
	s_mul_hi_u32 s1, s26, s3
	s_add_i32 s1, s1, s0
	s_mul_i32 s0, s26, s3
	s_lshl_b64 s[0:1], s[0:1], 3
	s_add_u32 s4, s20, s0
	s_addc_u32 s5, s21, s1
	s_lshl_b64 s[0:1], s[22:23], 3
	s_add_u32 s0, s4, s0
	s_addc_u32 s1, s5, s1
	s_waitcnt lgkmcnt(0)
	s_ashr_i32 s36, s33, 31
	s_lshr_b32 s5, s36, 26
	v_and_b32_e32 v120, 0x3ff, v0
	s_lshl_b32 s22, s2, 6
	s_add_i32 s5, s33, s5
	s_andn2_b32 s5, s5, 63
	v_add_u32_e32 v48, s22, v120
	s_add_i32 s4, s30, -1
	s_sub_i32 s31, s33, s5
	v_ashrrev_i32_e32 v49, 31, v48
	v_bfe_u32 v121, v0, 10, 10
	s_cmp_eq_u32 s2, s4
	v_mul_lo_u32 v2, s24, v49
	v_mul_lo_u32 v3, s25, v48
	v_mad_u64_u32 v[0:1], s[4:5], s24, v48, 0
	v_add3_u32 v1, v1, v2, v3
	s_cselect_b32 s20, s31, 0
	v_lshl_add_u64 v[12:13], v[0:1], 3, s[0:1]
	v_cmp_eq_u32_e64 s[0:1], 0, v121
	s_and_saveexec_b64 s[4:5], s[0:1]
	s_cbranch_execz .LBB114_10
; %bb.6:
	s_cmp_lg_u32 s20, 0
	s_cselect_b64 s[6:7], -1, 0
	v_cmp_le_i32_e32 vcc, s20, v120
	v_mov_b32_e32 v0, 0x2380
	s_and_b64 s[6:7], s[6:7], vcc
	v_lshl_add_u32 v0, v120, 3, v0
	s_and_saveexec_b64 s[8:9], s[6:7]
	s_xor_b64 s[6:7], exec, s[8:9]
; %bb.7:
	v_mov_b32_e32 v2, 0
	v_mov_b32_e32 v3, v2
	ds_write_b64 v0, v[2:3]
                                        ; implicit-def: $vgpr0
; %bb.8:
	s_andn2_saveexec_b64 s[6:7], s[6:7]
	s_cbranch_execz .LBB114_10
; %bb.9:
	global_load_dwordx2 v[2:3], v[12:13], off
	s_waitcnt vmcnt(0)
	ds_write_b64 v0, v[2:3]
.LBB114_10:
	s_or_b64 exec, exec, s[4:5]
	s_mul_i32 s4, s19, s3
	s_mul_hi_u32 s5, s18, s3
	s_add_i32 s5, s5, s4
	s_mul_i32 s4, s18, s3
	s_lshl_b64 s[4:5], s[4:5], 3
	s_add_u32 s6, s12, s4
	s_addc_u32 s7, s13, s5
	s_lshl_b64 s[4:5], s[14:15], 3
	s_add_u32 s6, s6, s4
	s_addc_u32 s7, s7, s5
	s_ashr_i32 s23, s22, 31
	v_lshl_add_u32 v22, v121, 6, v120
	s_lshl_b64 s[4:5], s[22:23], 3
	v_and_b32_e32 v2, 31, v120
	v_lshrrev_b32_e32 v10, 5, v22
	s_add_u32 s4, s6, s4
	v_mov_b32_e32 v3, 0
	s_addc_u32 s5, s7, s5
	v_mad_u64_u32 v[14:15], s[6:7], s16, v10, v[2:3]
	v_mov_b32_e32 v0, v15
	v_mad_u64_u32 v[0:1], s[6:7], s17, v10, v[0:1]
	v_mov_b32_e32 v15, v0
	v_lshl_add_u64 v[0:1], v[14:15], 3, s[4:5]
	s_mul_hi_u32 s4, s16, s22
	s_mul_i32 s5, s16, s23
	s_add_i32 s4, s4, s5
	s_mul_i32 s5, s17, s22
	s_add_i32 s5, s4, s5
	s_cmp_eq_u32 s20, 0
	s_cselect_b64 s[18:19], -1, 0
	s_cmp_lg_u32 s20, 0
	s_mul_i32 s4, s16, s22
	s_cselect_b64 s[26:27], -1, 0
	v_lshl_add_u64 v[6:7], s[4:5], 3, v[0:1]
	s_and_b64 vcc, exec, s[26:27]
	v_cmp_gt_i32_e64 s[4:5], s20, v2
	v_lshlrev_b32_e32 v0, 3, v2
	s_cbranch_vccz .LBB114_26
; %bb.11:
	v_sub_co_u32_e32 v4, vcc, v6, v0
	s_ashr_i32 s21, s20, 31
	s_nop 0
	v_subbrev_co_u32_e32 v5, vcc, 0, v7, vcc
	v_lshl_add_u64 v[4:5], s[20:21], 3, v[4:5]
	v_lshl_add_u64 v[4:5], v[4:5], 0, -8
	v_cndmask_b32_e64 v5, v5, v7, s[4:5]
	v_cndmask_b32_e64 v4, v4, v6, s[4:5]
	v_cmp_gt_i32_e32 vcc, s20, v10
	v_mov_b32_e32 v9, 0
	s_and_saveexec_b64 s[6:7], vcc
	s_cbranch_execz .LBB114_13
; %bb.12:
	global_load_dwordx2 v[8:9], v[4:5], off
	s_waitcnt vmcnt(0)
	v_mov_b32_e32 v3, v8
.LBB114_13:
	s_or_b64 exec, exec, s[6:7]
	v_lshlrev_b32_e32 v1, 3, v2
	s_movk_i32 s6, 0x108
	v_mov_b32_e32 v8, v3
	v_mad_u32_u24 v3, v10, s6, v1
	v_mul_u32_u24_e32 v11, 0x108, v10
	ds_write_b64 v3, v[8:9]
	v_add_u32_e32 v3, 8, v10
	v_cmp_le_i32_e32 vcc, s20, v3
	v_add_u32_e32 v1, v11, v1
	s_and_saveexec_b64 s[6:7], vcc
	s_xor_b64 s[6:7], exec, s[6:7]
; %bb.14:
	v_mov_b32_e32 v8, 0
	v_mov_b32_e32 v9, v8
	ds_write_b64 v1, v[8:9] offset:2112
; %bb.15:
	s_andn2_saveexec_b64 s[6:7], s[6:7]
	s_cbranch_execz .LBB114_17
; %bb.16:
	s_lshl_b64 s[8:9], s[16:17], 6
	v_lshl_add_u64 v[8:9], v[4:5], 0, s[8:9]
	global_load_dwordx2 v[8:9], v[8:9], off
	s_waitcnt vmcnt(0)
	ds_write_b64 v1, v[8:9] offset:2112
.LBB114_17:
	s_or_b64 exec, exec, s[6:7]
	v_add_u32_e32 v3, 16, v10
	v_cmp_le_i32_e32 vcc, s20, v3
	s_and_saveexec_b64 s[6:7], vcc
	s_xor_b64 s[6:7], exec, s[6:7]
; %bb.18:
	v_mov_b32_e32 v8, 0
	v_mov_b32_e32 v9, v8
	ds_write_b64 v1, v[8:9] offset:4224
; %bb.19:
	s_andn2_saveexec_b64 s[6:7], s[6:7]
	s_cbranch_execz .LBB114_21
; %bb.20:
	s_lshl_b64 s[8:9], s[16:17], 7
	v_lshl_add_u64 v[8:9], v[4:5], 0, s[8:9]
	global_load_dwordx2 v[8:9], v[8:9], off
	s_waitcnt vmcnt(0)
	ds_write_b64 v1, v[8:9] offset:4224
.LBB114_21:
	s_or_b64 exec, exec, s[6:7]
	v_add_u32_e32 v3, 24, v10
	v_cmp_le_i32_e32 vcc, s20, v3
	s_and_saveexec_b64 s[6:7], vcc
	s_xor_b64 s[6:7], exec, s[6:7]
; %bb.22:
	v_mov_b32_e32 v8, 0
	v_mov_b32_e32 v9, v8
	ds_write_b64 v1, v[8:9] offset:6336
                                        ; implicit-def: $vgpr1
; %bb.23:
	s_andn2_saveexec_b64 s[6:7], s[6:7]
	s_cbranch_execz .LBB114_25
; %bb.24:
	v_mov_b32_e32 v3, 0xc0
	v_mad_u64_u32 v[8:9], s[8:9], s16, v3, v[4:5]
	s_mul_i32 s8, s17, 0xc0
	s_nop 0
	v_add_u32_e32 v9, s8, v9
	global_load_dwordx2 v[8:9], v[8:9], off
	s_waitcnt vmcnt(0)
	ds_write_b64 v1, v[8:9] offset:6336
.LBB114_25:
	s_or_b64 exec, exec, s[6:7]
	v_mov_b32_e32 v1, 0
	v_lshl_add_u64 v[4:5], v[4:5], 0, v[0:1]
	s_lshl_b64 s[6:7], s[20:21], 3
	v_mov_b32_e32 v1, s7
	v_subrev_co_u32_e32 v4, vcc, s6, v4
	s_nop 1
	v_subb_co_u32_e32 v5, vcc, v5, v1, vcc
	v_lshl_add_u64 v[4:5], v[4:5], 0, 8
	v_cndmask_b32_e64 v5, v5, v7, s[4:5]
	v_cndmask_b32_e64 v4, v4, v6, s[4:5]
	s_branch .LBB114_28
.LBB114_26:
                                        ; implicit-def: $vgpr4_vgpr5
	s_cbranch_execz .LBB114_28
; %bb.27:
	s_lshl_b64 s[4:5], s[16:17], 6
	v_lshl_add_u64 v[4:5], v[6:7], 0, s[4:5]
	v_lshl_add_u64 v[8:9], v[4:5], 0, s[4:5]
	;; [unrolled: 1-line block ×3, first 2 shown]
	global_load_dwordx2 v[18:19], v[6:7], off
	global_load_dwordx2 v[20:21], v[4:5], off
	;; [unrolled: 1-line block ×4, first 2 shown]
	v_mul_u32_u24_e32 v1, 0x108, v10
	v_lshl_add_u32 v1, v2, 3, v1
	v_mov_b64_e32 v[4:5], v[6:7]
	s_waitcnt vmcnt(3)
	ds_write_b64 v1, v[18:19]
	s_waitcnt vmcnt(2)
	ds_write_b64 v1, v[20:21] offset:2112
	s_waitcnt vmcnt(1)
	ds_write_b64 v1, v[24:25] offset:4224
	;; [unrolled: 2-line block ×3, first 2 shown]
.LBB114_28:
	v_lshlrev_b32_e32 v11, 3, v2
	v_lshlrev_b32_e32 v3, 2, v10
	v_lshl_or_b32 v1, v2, 8, v11
	v_cmp_gt_u32_e64 s[4:5], v3, v2
	v_lshl_add_u32 v1, v3, 3, v1
	s_waitcnt lgkmcnt(0)
	s_barrier
	s_and_saveexec_b64 s[6:7], s[4:5]
	s_cbranch_execz .LBB114_30
; %bb.29:
	s_movk_i32 s8, 0x420
	v_mad_u32_u24 v6, v10, s8, v11
	ds_read_b64 v[6:7], v6
	s_waitcnt lgkmcnt(0)
	ds_write_b64 v1, v[6:7]
.LBB114_30:
	s_or_b64 exec, exec, s[6:7]
	v_or_b32_e32 v16, 1, v3
	v_cmp_ge_u32_e64 s[6:7], v3, v2
	s_and_saveexec_b64 s[8:9], s[6:7]
	s_cbranch_execz .LBB114_32
; %bb.31:
	s_movk_i32 s10, 0x108
	v_mad_u32_u24 v6, v16, s10, v11
	ds_read_b64 v[6:7], v6
	s_waitcnt lgkmcnt(0)
	ds_write_b64 v1, v[6:7] offset:8
.LBB114_32:
	s_or_b64 exec, exec, s[8:9]
	v_or_b32_e32 v6, 2, v3
	v_cmp_gt_u32_e64 s[8:9], v6, v2
	s_and_saveexec_b64 s[10:11], s[8:9]
	s_cbranch_execz .LBB114_34
; %bb.33:
	s_movk_i32 s12, 0x108
	v_mad_u32_u24 v6, v6, s12, v11
	ds_read_b64 v[6:7], v6
	s_waitcnt lgkmcnt(0)
	ds_write_b64 v1, v[6:7] offset:16
.LBB114_34:
	s_or_b64 exec, exec, s[10:11]
	v_or_b32_e32 v7, 3, v3
	v_cmp_gt_u32_e64 s[10:11], v7, v2
	v_cmp_le_u32_e32 vcc, v7, v2
                                        ; implicit-def: $vgpr6
	s_and_saveexec_b64 s[12:13], vcc
	s_xor_b64 s[12:13], exec, s[12:13]
; %bb.35:
	v_mul_u32_u24_e32 v6, 0x108, v7
                                        ; implicit-def: $vgpr7
                                        ; implicit-def: $vgpr1
; %bb.36:
	s_andn2_saveexec_b64 s[12:13], s[12:13]
	s_cbranch_execz .LBB114_38
; %bb.37:
	s_movk_i32 s14, 0x108
	v_mad_u32_u24 v6, v7, s14, v11
	ds_read_b64 v[8:9], v6
	v_mul_u32_u24_e32 v6, 0x108, v7
	s_waitcnt lgkmcnt(0)
	ds_write_b64 v1, v[8:9] offset:24
.LBB114_38:
	s_or_b64 exec, exec, s[12:13]
	s_movk_i32 s12, 0x420
	v_mad_u32_u24 v1, v10, s12, v11
	s_movk_i32 s12, 0x108
	v_mad_u32_u24 v7, v16, s12, v11
	s_waitcnt lgkmcnt(0)
	s_barrier
	v_lshlrev_b32_e32 v17, 3, v3
	ds_read2_b64 v[26:29], v7 offset1:33
	v_add_u32_e32 v18, v11, v6
	ds_read_b64 v[20:21], v1
	ds_read_b128 v[6:9], v17 offset:9088
	ds_read_b64 v[34:35], v18
	ds_read_b128 v[30:33], v17 offset:9104
	v_mul_u32_u24_e32 v19, 33, v2
	v_lshlrev_b32_e32 v23, 3, v19
	v_mov_b32_e32 v50, 0
	s_waitcnt lgkmcnt(2)
	v_pk_mul_f32 v[36:37], v[6:7], v[20:21] op_sel:[1,1] op_sel_hi:[0,1]
	v_pk_fma_f32 v[38:39], v[6:7], v[20:21], v[36:37] neg_lo:[0,0,1] neg_hi:[0,0,1]
	v_pk_fma_f32 v[6:7], v[6:7], v[20:21], v[36:37] op_sel_hi:[1,0,1]
	v_pk_mul_f32 v[20:21], v[8:9], v[26:27] op_sel:[1,1] op_sel_hi:[0,1]
	v_pk_fma_f32 v[36:37], v[8:9], v[26:27], v[20:21] neg_lo:[0,0,1] neg_hi:[0,0,1]
	v_pk_fma_f32 v[8:9], v[8:9], v[26:27], v[20:21] op_sel_hi:[1,0,1]
	v_mov_b32_e32 v39, v7
	v_mov_b32_e32 v37, v9
	s_waitcnt lgkmcnt(0)
	v_pk_mul_f32 v[8:9], v[30:31], v[28:29] op_sel:[1,1] op_sel_hi:[0,1]
	v_pk_add_f32 v[6:7], v[38:39], 0 op_sel_hi:[1,0]
	v_pk_fma_f32 v[20:21], v[30:31], v[28:29], v[8:9] neg_lo:[0,0,1] neg_hi:[0,0,1]
	v_pk_fma_f32 v[8:9], v[30:31], v[28:29], v[8:9] op_sel_hi:[1,0,1]
	v_pk_add_f32 v[6:7], v[6:7], v[36:37]
	v_mov_b32_e32 v21, v9
	v_pk_mul_f32 v[8:9], v[32:33], v[34:35] op_sel:[1,1] op_sel_hi:[0,1]
	v_pk_add_f32 v[6:7], v[6:7], v[20:21]
	v_pk_fma_f32 v[20:21], v[32:33], v[34:35], v[8:9] neg_lo:[0,0,1] neg_hi:[0,0,1]
	v_pk_fma_f32 v[8:9], v[32:33], v[34:35], v[8:9] op_sel_hi:[1,0,1]
	v_lshl_add_u32 v24, v10, 3, v23
	v_mov_b32_e32 v21, v9
	v_mov_b32_e32 v51, v50
	v_pk_add_f32 v[6:7], v[6:7], v[20:21]
	v_cmp_gt_u32_e64 s[12:13], 32, v22
	s_barrier
	ds_write_b64 v24, v[6:7]
	s_waitcnt lgkmcnt(0)
	s_barrier
	s_and_saveexec_b64 s[14:15], s[12:13]
	s_cbranch_execz .LBB114_40
; %bb.39:
	ds_read2_b64 v[6:9], v23 offset1:7
	ds_read2_b64 v[26:29], v23 offset0:1 offset1:2
	ds_read2_b64 v[30:33], v23 offset0:3 offset1:4
	s_waitcnt lgkmcnt(1)
	v_add_f32_e32 v1, v26, v6
	v_add_f32_e32 v6, v27, v7
	;; [unrolled: 1-line block ×4, first 2 shown]
	ds_read2_b64 v[26:29], v23 offset0:5 offset1:6
	s_waitcnt lgkmcnt(1)
	v_add_f32_e32 v1, v1, v30
	v_add_f32_e32 v6, v6, v31
	;; [unrolled: 1-line block ×4, first 2 shown]
	s_waitcnt lgkmcnt(0)
	v_add_f32_e32 v1, v1, v26
	v_add_f32_e32 v7, v6, v27
	v_add_f32_e32 v6, v1, v28
	v_add_f32_e32 v7, v7, v29
	v_pk_add_f32 v[50:51], v[6:7], v[8:9]
.LBB114_40:
	s_or_b64 exec, exec, s[14:15]
	s_lshl_b64 s[14:15], s[16:17], 8
	v_lshl_add_u64 v[8:9], v[4:5], 0, s[14:15]
	s_mov_b64 s[14:15], 0x100
	v_lshl_add_u64 v[6:7], v[8:9], 0, s[14:15]
	s_and_b64 vcc, exec, s[26:27]
	s_barrier
	s_cbranch_vccz .LBB114_56
; %bb.41:
	v_sub_co_u32_e32 v4, vcc, v8, v0
	s_ashr_i32 s21, s20, 31
	s_nop 0
	v_subbrev_co_u32_e32 v5, vcc, 0, v9, vcc
	v_or_b32_e32 v1, 32, v2
	v_lshl_add_u64 v[4:5], s[20:21], 3, v[4:5]
	v_mov_b32_e32 v20, 0
	v_lshl_add_u64 v[4:5], v[4:5], 0, -8
	v_cmp_gt_i32_e32 vcc, s20, v1
	s_sub_i32 s37, s20, 32
	v_cmp_gt_i32_e64 s[14:15], s37, v10
	v_cndmask_b32_e32 v5, v5, v7, vcc
	v_cndmask_b32_e32 v4, v4, v6, vcc
	v_mov_b32_e32 v21, v20
	s_and_saveexec_b64 s[28:29], s[14:15]
	s_cbranch_execz .LBB114_43
; %bb.42:
	global_load_dwordx2 v[20:21], v[4:5], off
.LBB114_43:
	s_or_b64 exec, exec, s[28:29]
	s_movk_i32 s14, 0x108
	v_mad_u32_u24 v19, v10, s14, v11
	v_mul_u32_u24_e32 v1, 0x108, v10
	s_waitcnt vmcnt(0)
	ds_write_b64 v19, v[20:21]
	v_add_u32_e32 v19, 8, v10
	v_cmp_le_i32_e64 s[14:15], s37, v19
	v_add_u32_e32 v1, v1, v11
	s_and_saveexec_b64 s[28:29], s[14:15]
	s_xor_b64 s[14:15], exec, s[28:29]
; %bb.44:
	v_mov_b32_e32 v20, 0
	v_mov_b32_e32 v21, v20
	ds_write_b64 v1, v[20:21] offset:2112
; %bb.45:
	s_andn2_saveexec_b64 s[14:15], s[14:15]
	s_cbranch_execz .LBB114_47
; %bb.46:
	s_lshl_b64 s[28:29], s[16:17], 6
	v_lshl_add_u64 v[20:21], v[4:5], 0, s[28:29]
	global_load_dwordx2 v[20:21], v[20:21], off
	s_waitcnt vmcnt(0)
	ds_write_b64 v1, v[20:21] offset:2112
.LBB114_47:
	s_or_b64 exec, exec, s[14:15]
	v_add_u32_e32 v19, 16, v10
	v_cmp_le_i32_e64 s[14:15], s37, v19
	s_and_saveexec_b64 s[28:29], s[14:15]
	s_xor_b64 s[14:15], exec, s[28:29]
; %bb.48:
	v_mov_b32_e32 v20, 0
	v_mov_b32_e32 v21, v20
	ds_write_b64 v1, v[20:21] offset:4224
; %bb.49:
	s_andn2_saveexec_b64 s[14:15], s[14:15]
	s_cbranch_execz .LBB114_51
; %bb.50:
	s_lshl_b64 s[28:29], s[16:17], 7
	v_lshl_add_u64 v[20:21], v[4:5], 0, s[28:29]
	global_load_dwordx2 v[20:21], v[20:21], off
	s_waitcnt vmcnt(0)
	ds_write_b64 v1, v[20:21] offset:4224
.LBB114_51:
	s_or_b64 exec, exec, s[14:15]
	v_add_u32_e32 v19, 24, v10
	v_cmp_le_i32_e64 s[14:15], s37, v19
	s_and_saveexec_b64 s[28:29], s[14:15]
	s_xor_b64 s[14:15], exec, s[28:29]
; %bb.52:
	v_mov_b32_e32 v20, 0
	v_mov_b32_e32 v21, v20
	ds_write_b64 v1, v[20:21] offset:6336
                                        ; implicit-def: $vgpr1
; %bb.53:
	s_andn2_saveexec_b64 s[14:15], s[14:15]
	s_cbranch_execz .LBB114_55
; %bb.54:
	v_mov_b32_e32 v19, 0xc0
	v_mad_u64_u32 v[20:21], s[28:29], s16, v19, v[4:5]
	s_mul_i32 s28, s17, 0xc0
	s_nop 0
	v_add_u32_e32 v21, s28, v21
	global_load_dwordx2 v[20:21], v[20:21], off
	s_waitcnt vmcnt(0)
	ds_write_b64 v1, v[20:21] offset:6336
.LBB114_55:
	s_or_b64 exec, exec, s[14:15]
	v_mov_b32_e32 v1, 0
	v_lshl_add_u64 v[4:5], v[4:5], 0, v[0:1]
	s_lshl_b64 s[14:15], s[20:21], 3
	v_mov_b32_e32 v1, s15
	v_subrev_co_u32_e64 v4, s[14:15], s14, v4
	s_nop 1
	v_subb_co_u32_e64 v5, s[14:15], v5, v1, s[14:15]
	s_mov_b64 s[14:15], 0x108
	s_nop 0
	v_lshl_add_u64 v[4:5], v[4:5], 0, s[14:15]
	v_cndmask_b32_e32 v5, v5, v7, vcc
	v_cndmask_b32_e32 v4, v4, v6, vcc
	v_mul_u32_u24_e32 v1, 0x420, v10
	s_branch .LBB114_58
.LBB114_56:
                                        ; implicit-def: $vgpr4_vgpr5
	v_mul_u32_u24_e32 v1, 0x420, v10
	s_cbranch_execz .LBB114_58
; %bb.57:
	s_lshl_b64 s[14:15], s[16:17], 6
	v_lshl_add_u64 v[4:5], v[8:9], 0, s[14:15]
	v_lshl_add_u64 v[20:21], v[4:5], 0, s[14:15]
	;; [unrolled: 1-line block ×3, first 2 shown]
	global_load_dwordx2 v[28:29], v[8:9], off offset:256
	global_load_dwordx2 v[30:31], v[4:5], off offset:256
	;; [unrolled: 1-line block ×4, first 2 shown]
	s_movk_i32 s14, 0x108
	v_mad_u32_u24 v4, v10, s14, v11
	s_waitcnt vmcnt(3)
	ds_write_b64 v4, v[28:29]
	s_waitcnt vmcnt(2)
	ds_write_b64 v4, v[30:31] offset:2112
	s_waitcnt vmcnt(1)
	ds_write_b64 v4, v[32:33] offset:4224
	;; [unrolled: 2-line block ×3, first 2 shown]
	v_mov_b64_e32 v[4:5], v[6:7]
.LBB114_58:
	v_mul_u32_u24_e32 v6, 0x108, v16
	v_add_u32_e32 v8, v11, v1
	v_lshl_add_u32 v1, v3, 3, v23
	s_waitcnt lgkmcnt(0)
	s_barrier
	s_and_saveexec_b64 s[14:15], s[4:5]
	s_cbranch_execnz .LBB114_81
; %bb.59:
	s_or_b64 exec, exec, s[14:15]
	v_add_u32_e32 v9, v11, v6
	s_and_saveexec_b64 s[4:5], s[6:7]
	s_cbranch_execnz .LBB114_82
.LBB114_60:
	s_or_b64 exec, exec, s[4:5]
	s_and_saveexec_b64 s[4:5], s[8:9]
	s_cbranch_execnz .LBB114_83
.LBB114_61:
	s_or_b64 exec, exec, s[4:5]
	v_add_u32_e32 v19, 0x2380, v17
	s_and_saveexec_b64 s[4:5], s[10:11]
	s_cbranch_execz .LBB114_63
.LBB114_62:
	ds_read_b64 v[6:7], v18
	s_waitcnt lgkmcnt(0)
	ds_write_b64 v1, v[6:7] offset:24
.LBB114_63:
	s_or_b64 exec, exec, s[4:5]
	s_waitcnt lgkmcnt(0)
	s_barrier
	ds_read_b64 v[6:7], v8
	ds_read_b128 v[26:29], v19 offset:256
	ds_read2_b64 v[30:33], v9 offset1:33
	ds_read_b64 v[16:17], v18
	ds_read_b128 v[34:37], v19 offset:272
	v_cmp_eq_u32_e64 s[4:5], 1, v10
	s_waitcnt lgkmcnt(3)
	v_pk_mul_f32 v[20:21], v[26:27], v[6:7] op_sel:[1,1] op_sel_hi:[0,1]
	v_pk_fma_f32 v[38:39], v[26:27], v[6:7], v[20:21] neg_lo:[0,0,1] neg_hi:[0,0,1]
	v_pk_fma_f32 v[6:7], v[26:27], v[6:7], v[20:21] op_sel_hi:[1,0,1]
	s_waitcnt lgkmcnt(2)
	v_pk_mul_f32 v[20:21], v[28:29], v[30:31] op_sel:[1,1] op_sel_hi:[0,1]
	v_mov_b32_e32 v39, v7
	v_pk_fma_f32 v[26:27], v[28:29], v[30:31], v[20:21] neg_lo:[0,0,1] neg_hi:[0,0,1]
	v_pk_fma_f32 v[20:21], v[28:29], v[30:31], v[20:21] op_sel_hi:[1,0,1]
	v_pk_add_f32 v[6:7], v[38:39], 0 op_sel_hi:[1,0]
	v_mov_b32_e32 v27, v21
	s_waitcnt lgkmcnt(0)
	v_pk_mul_f32 v[20:21], v[34:35], v[32:33] op_sel:[1,1] op_sel_hi:[0,1]
	v_pk_add_f32 v[6:7], v[6:7], v[26:27]
	v_pk_fma_f32 v[26:27], v[34:35], v[32:33], v[20:21] neg_lo:[0,0,1] neg_hi:[0,0,1]
	v_pk_fma_f32 v[20:21], v[34:35], v[32:33], v[20:21] op_sel_hi:[1,0,1]
	s_nop 0
	v_mov_b32_e32 v27, v21
	v_pk_mul_f32 v[20:21], v[36:37], v[16:17] op_sel:[1,1] op_sel_hi:[0,1]
	v_pk_add_f32 v[6:7], v[6:7], v[26:27]
	v_pk_fma_f32 v[26:27], v[36:37], v[16:17], v[20:21] neg_lo:[0,0,1] neg_hi:[0,0,1]
	v_pk_fma_f32 v[16:17], v[36:37], v[16:17], v[20:21] op_sel_hi:[1,0,1]
	s_barrier
	v_mov_b32_e32 v27, v17
	v_pk_add_f32 v[6:7], v[6:7], v[26:27]
	ds_write_b64 v24, v[6:7]
	s_waitcnt lgkmcnt(0)
	s_barrier
	s_and_saveexec_b64 s[6:7], s[4:5]
	s_cbranch_execz .LBB114_65
; %bb.64:
	ds_read2_b64 v[26:29], v23 offset1:7
	ds_read2_b64 v[30:33], v23 offset0:1 offset1:2
	ds_read2_b64 v[34:37], v23 offset0:3 offset1:4
	s_waitcnt lgkmcnt(1)
	v_add_f32_e32 v1, v30, v26
	v_add_f32_e32 v3, v31, v27
	;; [unrolled: 1-line block ×4, first 2 shown]
	ds_read2_b64 v[30:33], v23 offset0:5 offset1:6
	s_waitcnt lgkmcnt(1)
	v_add_f32_e32 v1, v1, v34
	v_add_f32_e32 v3, v3, v35
	;; [unrolled: 1-line block ×4, first 2 shown]
	s_waitcnt lgkmcnt(0)
	v_add_f32_e32 v6, v1, v30
	v_add_f32_e32 v7, v3, v31
	v_pk_add_f32 v[6:7], v[6:7], v[32:33]
	s_nop 0
	v_pk_add_f32 v[50:51], v[6:7], v[28:29]
.LBB114_65:
	s_or_b64 exec, exec, s[6:7]
	s_movk_i32 s6, 0xff00
	s_mov_b32 s7, -1
	v_lshl_add_u64 v[6:7], v[4:5], 0, s[6:7]
	s_and_b64 vcc, exec, s[26:27]
	s_barrier
	s_cbranch_vccz .LBB114_84
; %bb.66:
	v_sub_co_u32_e32 v20, vcc, v4, v0
	s_ashr_i32 s21, s20, 31
	s_nop 0
	v_subbrev_co_u32_e32 v21, vcc, 0, v5, vcc
	s_movk_i32 s6, 0xfef8
	v_lshl_add_u64 v[20:21], s[20:21], 3, v[20:21]
	s_mov_b32 s7, -1
	v_mov_b32_e32 v16, 0
	v_lshl_add_u64 v[20:21], v[20:21], 0, s[6:7]
	v_cmp_gt_i32_e32 vcc, s20, v2
	s_sub_i32 s10, s20, 32
	v_cmp_gt_i32_e64 s[6:7], s10, v10
	v_cndmask_b32_e32 v3, v21, v7, vcc
	v_cndmask_b32_e32 v2, v20, v6, vcc
	v_mov_b32_e32 v17, v16
	s_and_saveexec_b64 s[8:9], s[6:7]
	s_cbranch_execz .LBB114_68
; %bb.67:
	global_load_dwordx2 v[16:17], v[2:3], off
.LBB114_68:
	s_or_b64 exec, exec, s[8:9]
	s_movk_i32 s6, 0x108
	v_mad_u32_u24 v20, v10, s6, v11
	v_mul_u32_u24_e32 v1, 0x108, v10
	s_waitcnt vmcnt(0)
	ds_write_b64 v20, v[16:17]
	v_add_u32_e32 v20, 8, v10
	v_cmp_le_i32_e64 s[6:7], s10, v20
	v_add_u32_e32 v1, v1, v11
	s_and_saveexec_b64 s[8:9], s[6:7]
	s_xor_b64 s[6:7], exec, s[8:9]
; %bb.69:
	v_mov_b32_e32 v16, 0
	v_mov_b32_e32 v17, v16
	ds_write_b64 v1, v[16:17] offset:2112
; %bb.70:
	s_andn2_saveexec_b64 s[6:7], s[6:7]
	s_cbranch_execz .LBB114_72
; %bb.71:
	s_lshl_b64 s[8:9], s[16:17], 6
	v_lshl_add_u64 v[16:17], v[2:3], 0, s[8:9]
	global_load_dwordx2 v[16:17], v[16:17], off
	s_waitcnt vmcnt(0)
	ds_write_b64 v1, v[16:17] offset:2112
.LBB114_72:
	s_or_b64 exec, exec, s[6:7]
	v_add_u32_e32 v21, 16, v10
	v_cmp_le_i32_e64 s[6:7], s10, v21
	s_and_saveexec_b64 s[8:9], s[6:7]
	s_xor_b64 s[6:7], exec, s[8:9]
; %bb.73:
	v_mov_b32_e32 v16, 0
	v_mov_b32_e32 v17, v16
	ds_write_b64 v1, v[16:17] offset:4224
; %bb.74:
	s_andn2_saveexec_b64 s[6:7], s[6:7]
	s_cbranch_execz .LBB114_76
; %bb.75:
	s_lshl_b64 s[8:9], s[16:17], 7
	v_lshl_add_u64 v[16:17], v[2:3], 0, s[8:9]
	global_load_dwordx2 v[16:17], v[16:17], off
	s_waitcnt vmcnt(0)
	ds_write_b64 v1, v[16:17] offset:4224
.LBB114_76:
	s_or_b64 exec, exec, s[6:7]
	v_add_u32_e32 v25, 24, v10
	v_cmp_le_i32_e64 s[6:7], s10, v25
	s_and_saveexec_b64 s[8:9], s[6:7]
	s_xor_b64 s[6:7], exec, s[8:9]
; %bb.77:
	v_mov_b32_e32 v16, 0
	v_mov_b32_e32 v17, v16
	ds_write_b64 v1, v[16:17] offset:6336
                                        ; implicit-def: $vgpr1
; %bb.78:
	s_andn2_saveexec_b64 s[6:7], s[6:7]
	s_cbranch_execz .LBB114_80
; %bb.79:
	v_mov_b32_e32 v16, 0xc0
	v_mad_u64_u32 v[16:17], s[8:9], s16, v16, v[2:3]
	s_mul_i32 s8, s17, 0xc0
	s_nop 0
	v_add_u32_e32 v17, s8, v17
	global_load_dwordx2 v[16:17], v[16:17], off
	s_waitcnt vmcnt(0)
	ds_write_b64 v1, v[16:17] offset:6336
.LBB114_80:
	s_or_b64 exec, exec, s[6:7]
	v_mov_b32_e32 v1, 0
	v_lshl_add_u64 v[0:1], v[2:3], 0, v[0:1]
	s_lshl_b64 s[6:7], s[20:21], 3
	v_mov_b32_e32 v2, s7
	v_subrev_co_u32_e64 v0, s[6:7], s6, v0
	s_nop 1
	v_subb_co_u32_e64 v1, s[6:7], v1, v2, s[6:7]
	v_lshl_add_u64 v[0:1], v[0:1], 0, 8
	v_cndmask_b32_e32 v17, v1, v7, vcc
	v_cndmask_b32_e32 v16, v0, v6, vcc
	s_branch .LBB114_86
.LBB114_81:
	ds_read_b64 v[20:21], v8
	s_waitcnt lgkmcnt(0)
	ds_write_b64 v1, v[20:21]
	s_or_b64 exec, exec, s[14:15]
	v_add_u32_e32 v9, v11, v6
	s_and_saveexec_b64 s[4:5], s[6:7]
	s_cbranch_execz .LBB114_60
.LBB114_82:
	ds_read_b64 v[6:7], v9
	s_waitcnt lgkmcnt(0)
	ds_write_b64 v1, v[6:7] offset:8
	s_or_b64 exec, exec, s[4:5]
	s_and_saveexec_b64 s[4:5], s[8:9]
	s_cbranch_execz .LBB114_61
.LBB114_83:
	ds_read_b64 v[6:7], v9 offset:264
	s_waitcnt lgkmcnt(0)
	ds_write_b64 v1, v[6:7] offset:16
	s_or_b64 exec, exec, s[4:5]
	v_add_u32_e32 v19, 0x2380, v17
	s_and_saveexec_b64 s[4:5], s[10:11]
	s_cbranch_execnz .LBB114_62
	s_branch .LBB114_63
.LBB114_84:
                                        ; implicit-def: $vgpr16_vgpr17
                                        ; implicit-def: $vgpr20
                                        ; implicit-def: $vgpr21
                                        ; implicit-def: $vgpr25
	s_cbranch_execz .LBB114_86
; %bb.85:
	s_lshl_b64 s[6:7], s[16:17], 6
	v_lshl_add_u64 v[0:1], v[4:5], 0, s[6:7]
	v_lshl_add_u64 v[2:3], v[0:1], 0, s[6:7]
	;; [unrolled: 1-line block ×3, first 2 shown]
	global_load_dwordx2 v[26:27], v[4:5], off offset:-256
	global_load_dwordx2 v[28:29], v[0:1], off offset:-256
	;; [unrolled: 1-line block ×4, first 2 shown]
	s_movk_i32 s6, 0x108
	v_add_u32_e32 v20, 8, v10
	v_add_u32_e32 v21, 16, v10
	;; [unrolled: 1-line block ×3, first 2 shown]
	v_mad_u32_u24 v0, v10, s6, v11
	v_mov_b64_e32 v[16:17], v[6:7]
	s_waitcnt vmcnt(3)
	ds_write_b64 v0, v[26:27]
	s_waitcnt vmcnt(2)
	ds_write_b64 v0, v[28:29] offset:2112
	s_waitcnt vmcnt(1)
	ds_write_b64 v0, v[30:31] offset:4224
	;; [unrolled: 2-line block ×3, first 2 shown]
.LBB114_86:
	v_lshlrev_b32_e32 v32, 3, v10
	v_lshlrev_b32_e32 v30, 3, v20
	;; [unrolled: 1-line block ×4, first 2 shown]
	v_add_u32_e32 v28, v23, v32
	v_add_u32_e32 v34, v23, v30
	;; [unrolled: 1-line block ×4, first 2 shown]
	s_waitcnt lgkmcnt(0)
	s_barrier
	ds_read_b64 v[26:27], v0
	ds_read_b64 v[20:21], v8
	ds_read2_b64 v[4:7], v9 offset1:33
	ds_read_b128 v[8:11], v19 offset:256
	ds_read_b128 v[0:3], v19 offset:272
	ds_read_b64 v[28:29], v28
	ds_read_b64 v[18:19], v18
	ds_read_b64 v[30:31], v30 offset:9088
	ds_read_b64 v[32:33], v32 offset:9088
	ds_read_b64 v[34:35], v34
	ds_read_b64 v[36:37], v36
	ds_read_b64 v[38:39], v25 offset:9088
	ds_read_b64 v[40:41], v40 offset:9088
	s_waitcnt lgkmcnt(4)
	v_pk_mul_f32 v[42:43], v[32:33], v[28:29] op_sel:[1,1] op_sel_hi:[0,1]
	v_pk_fma_f32 v[44:45], v[32:33], v[28:29], v[42:43] neg_lo:[0,0,1] neg_hi:[0,0,1]
	v_pk_fma_f32 v[28:29], v[32:33], v[28:29], v[42:43] op_sel_hi:[1,0,1]
	s_waitcnt lgkmcnt(3)
	v_pk_mul_f32 v[32:33], v[30:31], v[34:35] op_sel:[1,1] op_sel_hi:[0,1]
	v_pk_fma_f32 v[42:43], v[30:31], v[34:35], v[32:33] neg_lo:[0,0,1] neg_hi:[0,0,1]
	v_pk_fma_f32 v[30:31], v[30:31], v[34:35], v[32:33] op_sel_hi:[1,0,1]
	v_mov_b32_e32 v45, v29
	v_mov_b32_e32 v43, v31
	s_waitcnt lgkmcnt(0)
	v_pk_mul_f32 v[30:31], v[40:41], v[36:37] op_sel:[1,1] op_sel_hi:[0,1]
	v_pk_add_f32 v[28:29], v[44:45], 0 op_sel_hi:[1,0]
	v_pk_fma_f32 v[32:33], v[40:41], v[36:37], v[30:31] neg_lo:[0,0,1] neg_hi:[0,0,1]
	v_pk_fma_f32 v[30:31], v[40:41], v[36:37], v[30:31] op_sel_hi:[1,0,1]
	v_pk_add_f32 v[28:29], v[28:29], v[42:43]
	v_mov_b32_e32 v33, v31
	v_pk_mul_f32 v[30:31], v[38:39], v[26:27] op_sel:[1,1] op_sel_hi:[0,1]
	v_pk_add_f32 v[28:29], v[28:29], v[32:33]
	v_pk_fma_f32 v[32:33], v[38:39], v[26:27], v[30:31] neg_lo:[0,0,1] neg_hi:[0,0,1]
	v_pk_fma_f32 v[26:27], v[38:39], v[26:27], v[30:31] op_sel_hi:[1,0,1]
	s_nop 0
	v_mov_b32_e32 v33, v27
	v_pk_add_f32 v[26:27], v[28:29], v[32:33]
	s_barrier
	ds_write_b64 v24, v[26:27]
	s_waitcnt lgkmcnt(0)
	s_barrier
	s_and_saveexec_b64 s[6:7], s[4:5]
	s_cbranch_execz .LBB114_88
; %bb.87:
	ds_read2_b64 v[26:29], v23 offset1:1
	ds_read2_b64 v[30:33], v23 offset0:2 offset1:3
	ds_read2_b64 v[34:37], v23 offset0:4 offset1:5
	s_waitcnt lgkmcnt(2)
	v_pk_add_f32 v[26:27], v[50:51], v[26:27]
	s_nop 0
	v_pk_add_f32 v[38:39], v[26:27], v[28:29]
	ds_read2_b64 v[26:29], v23 offset0:6 offset1:7
	s_waitcnt lgkmcnt(2)
	v_pk_add_f32 v[30:31], v[38:39], v[30:31]
	s_nop 0
	v_pk_add_f32 v[30:31], v[30:31], v[32:33]
	s_waitcnt lgkmcnt(1)
	v_pk_add_f32 v[30:31], v[30:31], v[34:35]
	s_nop 0
	v_pk_add_f32 v[30:31], v[30:31], v[36:37]
	;; [unrolled: 4-line block ×3, first 2 shown]
.LBB114_88:
	s_or_b64 exec, exec, s[6:7]
	v_pk_mul_f32 v[26:27], v[8:9], v[20:21] op_sel:[1,1] op_sel_hi:[0,1]
	v_pk_fma_f32 v[28:29], v[8:9], v[20:21], v[26:27] neg_lo:[0,0,1] neg_hi:[0,0,1]
	v_pk_fma_f32 v[8:9], v[8:9], v[20:21], v[26:27] op_sel_hi:[1,0,1]
	v_pk_mul_f32 v[20:21], v[10:11], v[4:5] op_sel:[1,1] op_sel_hi:[0,1]
	v_mov_b32_e32 v29, v9
	v_pk_fma_f32 v[26:27], v[10:11], v[4:5], v[20:21] neg_lo:[0,0,1] neg_hi:[0,0,1]
	v_pk_fma_f32 v[4:5], v[10:11], v[4:5], v[20:21] op_sel_hi:[1,0,1]
	v_pk_add_f32 v[8:9], v[28:29], 0 op_sel_hi:[1,0]
	v_mov_b32_e32 v27, v5
	v_pk_add_f32 v[4:5], v[8:9], v[26:27]
	v_pk_mul_f32 v[8:9], v[0:1], v[6:7] op_sel:[1,1] op_sel_hi:[0,1]
	v_pk_fma_f32 v[10:11], v[0:1], v[6:7], v[8:9] neg_lo:[0,0,1] neg_hi:[0,0,1]
	v_pk_fma_f32 v[0:1], v[0:1], v[6:7], v[8:9] op_sel_hi:[1,0,1]
	s_nop 0
	v_mov_b32_e32 v11, v1
	v_pk_add_f32 v[0:1], v[4:5], v[10:11]
	v_pk_mul_f32 v[4:5], v[2:3], v[18:19] op_sel:[1,1] op_sel_hi:[0,1]
	v_pk_fma_f32 v[6:7], v[2:3], v[18:19], v[4:5] neg_lo:[0,0,1] neg_hi:[0,0,1]
	v_pk_fma_f32 v[2:3], v[2:3], v[18:19], v[4:5] op_sel_hi:[1,0,1]
	s_barrier
	v_mov_b32_e32 v7, v3
	v_pk_add_f32 v[0:1], v[0:1], v[6:7]
	ds_write_b64 v24, v[0:1]
	s_waitcnt lgkmcnt(0)
	s_barrier
	s_and_saveexec_b64 s[4:5], s[12:13]
	s_cbranch_execz .LBB114_90
; %bb.89:
	ds_read2_b64 v[0:3], v23 offset1:1
	ds_read2_b64 v[4:7], v23 offset0:2 offset1:3
	ds_read2_b64 v[8:11], v23 offset0:4 offset1:5
	s_waitcnt lgkmcnt(2)
	v_pk_add_f32 v[0:1], v[50:51], v[0:1]
	s_nop 0
	v_pk_add_f32 v[18:19], v[0:1], v[2:3]
	ds_read2_b64 v[0:3], v23 offset0:6 offset1:7
	s_waitcnt lgkmcnt(2)
	v_pk_add_f32 v[4:5], v[18:19], v[4:5]
	s_nop 0
	v_pk_add_f32 v[4:5], v[4:5], v[6:7]
	s_waitcnt lgkmcnt(1)
	v_pk_add_f32 v[4:5], v[4:5], v[8:9]
	s_nop 0
	v_pk_add_f32 v[4:5], v[4:5], v[10:11]
	;; [unrolled: 4-line block ×3, first 2 shown]
.LBB114_90:
	s_or_b64 exec, exec, s[4:5]
	s_mul_hi_u32 s4, s33, s3
	s_mul_i32 s36, s36, s3
	s_add_i32 s4, s4, s36
	s_mul_i32 s3, s33, s3
	s_mul_i32 s4, s4, s30
	s_mul_hi_u32 s5, s3, s30
	s_add_i32 s5, s5, s4
	s_mul_i32 s4, s3, s30
	s_lshl_b64 s[4:5], s[4:5], 3
	s_add_u32 s3, s34, s4
	s_addc_u32 s6, s35, s5
	s_mul_hi_i32 s5, s33, s2
	s_mul_i32 s4, s33, s2
	s_lshl_b64 s[4:5], s[4:5], 3
	s_add_u32 s8, s3, s4
	s_addc_u32 s9, s6, s5
	s_add_i32 s3, s2, 1
	s_cmp_ge_u32 s3, s30
	v_lshlrev_b32_e32 v52, 3, v120
	s_barrier
	s_cbranch_scc1 .LBB114_148
; %bb.91:
	s_mul_i32 s3, s24, s23
	s_mul_hi_u32 s4, s24, s22
	s_add_i32 s3, s4, s3
	s_mul_i32 s4, s25, s22
	s_add_i32 s5, s3, s4
	s_mul_i32 s4, s24, s22
	s_lshl_b64 s[4:5], s[4:5], 3
	v_mov_b32_e32 v0, s5
	v_subrev_co_u32_e32 v54, vcc, s4, v12
	s_movk_i32 s4, 0x860
	s_nop 0
	v_subb_co_u32_e32 v55, vcc, v13, v0, vcc
	v_lshrrev_b32_e32 v0, 4, v22
	v_lshlrev_b32_e32 v2, 5, v0
	v_mul_i32_i24_e32 v38, 0xffffffe8, v0
	v_and_b32_e32 v0, 48, v120
	v_and_b32_e32 v1, 15, v120
	v_lshlrev_b32_e32 v36, 5, v121
	v_mad_u32_u24 v126, v121, s4, v52
	s_movk_i32 s4, 0x218
	v_lshlrev_b32_e32 v0, 3, v0
	v_mad_u32_u24 v128, v1, s4, v0
	v_or_b32_e32 v0, 0x78, v52
	v_add_u32_e32 v3, 0x100, v36
	v_mad_u32_u24 v127, v1, s4, v2
	v_mad_u32_u24 v129, v1, s4, v0
	v_mad_u64_u32 v[0:1], s[4:5], s16, v3, 0
	v_mov_b32_e32 v2, v1
	v_lshlrev_b64 v[4:5], 3, v[14:15]
	v_mad_u64_u32 v[2:3], s[4:5], s17, v3, v[2:3]
	v_sub_co_u32_e32 v0, vcc, v0, v4
	v_add_u32_e32 v7, 0x110, v36
	s_nop 0
	v_subb_co_u32_e32 v1, vcc, v2, v5, vcc
	v_mad_u64_u32 v[2:3], s[4:5], s16, v7, 0
	v_mov_b32_e32 v6, v3
	v_mad_u64_u32 v[6:7], s[4:5], s17, v7, v[6:7]
	v_sub_co_u32_e32 v2, vcc, v2, v4
	v_add_u32_e32 v9, 0x108, v36
	s_nop 0
	v_subb_co_u32_e32 v3, vcc, v6, v5, vcc
	v_mad_u64_u32 v[6:7], s[4:5], s16, v9, 0
	v_mov_b32_e32 v8, v7
	;; [unrolled: 7-line block ×7, first 2 shown]
	v_mad_u64_u32 v[20:21], s[4:5], s17, v21, v[20:21]
	v_sub_co_u32_e32 v18, vcc, v18, v4
	v_add_u32_e32 v23, 0x200, v36
	s_nop 0
	v_subb_co_u32_e32 v19, vcc, v20, v5, vcc
	v_mad_u64_u32 v[20:21], s[4:5], s16, v23, 0
	v_cmp_gt_u32_e64 s[6:7], 64, v22
	v_mov_b32_e32 v22, v21
	v_mad_u64_u32 v[22:23], s[4:5], s17, v23, v[22:23]
	v_sub_co_u32_e32 v20, vcc, v20, v4
	v_add_u32_e32 v25, 0x208, v36
	s_nop 0
	v_subb_co_u32_e32 v21, vcc, v22, v5, vcc
	v_mad_u64_u32 v[22:23], s[4:5], s16, v25, 0
	v_mov_b32_e32 v24, v23
	v_mad_u64_u32 v[24:25], s[4:5], s17, v25, v[24:25]
	v_sub_co_u32_e32 v22, vcc, v22, v4
	v_add_u32_e32 v27, 0x210, v36
	s_nop 0
	v_subb_co_u32_e32 v23, vcc, v24, v5, vcc
	v_mad_u64_u32 v[24:25], s[4:5], s16, v27, 0
	;; [unrolled: 7-line block ×7, first 2 shown]
	v_add_u32_e32 v124, 0x2180, v36
	v_mov_b32_e32 v36, v35
	v_mad_u64_u32 v[36:37], s[4:5], s17, v37, v[36:37]
	v_sub_co_u32_e32 v4, vcc, v34, v4
	v_lshlrev_b32_e32 v122, 2, v121
	s_nop 0
	v_subb_co_u32_e32 v5, vcc, v36, v5, vcc
	v_mov_b32_e32 v53, 0
	s_add_i32 s3, s30, -2
	v_add_u32_e32 v123, 0x2180, v52
	v_add_u32_e32 v125, 0x2380, v52
	v_or_b32_e32 v130, 1, v122
	v_or_b32_e32 v131, 2, v122
	;; [unrolled: 1-line block ×3, first 2 shown]
	v_add_u32_e32 v133, 16, v122
	v_add_u32_e32 v134, 17, v122
	;; [unrolled: 1-line block ×8, first 2 shown]
	v_lshl_add_u64 v[56:57], v[16:17], 0, v[0:1]
	v_lshl_add_u64 v[58:59], v[16:17], 0, v[2:3]
	;; [unrolled: 1-line block ×16, first 2 shown]
	v_add_u32_e32 v141, 48, v122
	v_add_u32_e32 v142, 49, v122
	s_add_i32 s21, s22, 64
	s_lshl_b64 s[10:11], s[16:17], 9
	v_add_u32_e32 v143, v127, v38
	v_mov_b32_e32 v146, v53
	v_mov_b32_e32 v147, v53
	v_add_u32_e32 v144, 50, v122
	v_add_u32_e32 v145, 51, v122
	s_branch .LBB114_93
.LBB114_92:                             ;   in Loop: Header=BB114_93 Depth=1
	s_or_b64 exec, exec, s[4:5]
	v_mul_f32_e32 v148, v5, v91
	v_fma_f32 v148, v4, v90, -v148
	v_mul_f32_e32 v5, v5, v90
	v_mul_f32_e32 v90, v7, v89
	v_add_f32_e32 v50, v50, v148
	v_fma_f32 v90, v6, v88, -v90
	v_mul_f32_e32 v7, v7, v88
	v_mul_f32_e32 v88, v1, v93
	v_fmac_f32_e32 v5, v4, v91
	v_add_f32_e32 v50, v50, v90
	v_fma_f32 v88, v0, v92, -v88
	v_mul_f32_e32 v1, v1, v92
	v_add_f32_e32 v4, v51, v5
	v_fmac_f32_e32 v7, v6, v89
	v_add_f32_e32 v50, v50, v88
	v_mul_f32_e32 v88, v3, v95
	v_mul_f32_e32 v3, v3, v94
	v_add_f32_e32 v4, v4, v7
	v_fmac_f32_e32 v1, v0, v93
	v_add_f32_e32 v0, v4, v1
	v_fmac_f32_e32 v3, v2, v95
	v_fma_f32 v88, v2, v94, -v88
	v_add_f32_e32 v1, v0, v3
	v_mul_f32_e32 v0, v13, v99
	v_add_f32_e32 v50, v50, v88
	v_fma_f32 v0, v12, v98, -v0
	v_mul_f32_e32 v6, v13, v98
	v_mul_f32_e32 v2, v15, v97
	v_add_f32_e32 v0, v50, v0
	v_fma_f32 v2, v14, v96, -v2
	v_mul_f32_e32 v7, v15, v96
	v_fmac_f32_e32 v6, v12, v99
	v_add_f32_e32 v0, v0, v2
	v_mul_f32_e32 v2, v9, v101
	v_mul_f32_e32 v3, v9, v100
	v_add_f32_e32 v1, v1, v6
	v_fmac_f32_e32 v7, v14, v97
	v_mov_b32_e32 v16, v107
	v_mov_b32_e32 v17, v107
	v_fma_f32 v2, v8, v100, -v2
	v_mul_f32_e32 v4, v11, v103
	v_mul_f32_e32 v5, v11, v102
	v_add_f32_e32 v1, v1, v7
	v_fmac_f32_e32 v3, v8, v101
	v_mov_b32_e32 v107, v106
	v_fma_f32 v4, v10, v102, -v4
	v_pk_add_f32 v[0:1], v[0:1], v[2:3]
	v_fmac_f32_e32 v5, v10, v103
	v_pk_mul_f32 v[2:3], v[28:29], v[16:17]
	v_mov_b32_e32 v18, v105
	v_mov_b32_e32 v19, v105
	v_pk_add_f32 v[0:1], v[0:1], v[4:5]
	v_pk_fma_f32 v[4:5], v[28:29], v[106:107], v[2:3] op_sel:[0,0,1] op_sel_hi:[1,1,0] neg_lo:[0,0,1] neg_hi:[0,0,1]
	v_pk_fma_f32 v[2:3], v[28:29], v[106:107], v[2:3] op_sel:[0,0,1] op_sel_hi:[1,1,0]
	v_mov_b32_e32 v105, v104
	v_mov_b32_e32 v5, v3
	v_pk_mul_f32 v[2:3], v[30:31], v[18:19]
	v_mov_b32_e32 v20, v109
	v_mov_b32_e32 v21, v109
	v_pk_add_f32 v[0:1], v[0:1], v[4:5]
	v_pk_fma_f32 v[4:5], v[30:31], v[104:105], v[2:3] op_sel:[0,0,1] op_sel_hi:[1,1,0] neg_lo:[0,0,1] neg_hi:[0,0,1]
	v_pk_fma_f32 v[2:3], v[30:31], v[104:105], v[2:3] op_sel:[0,0,1] op_sel_hi:[1,1,0]
	v_mov_b32_e32 v109, v108
	v_mov_b32_e32 v5, v3
	;; [unrolled: 8-line block ×5, first 2 shown]
	v_pk_mul_f32 v[2:3], v[38:39], v[42:43]
	v_mov_b32_e32 v44, v117
	v_mov_b32_e32 v45, v117
	v_pk_fma_f32 v[6:7], v[38:39], v[112:113], v[2:3] op_sel:[0,0,1] op_sel_hi:[1,1,0] neg_lo:[0,0,1] neg_hi:[0,0,1]
	v_pk_fma_f32 v[2:3], v[38:39], v[112:113], v[2:3] op_sel:[0,0,1] op_sel_hi:[1,1,0]
	v_mov_b32_e32 v117, v116
	v_mov_b32_e32 v7, v3
	v_pk_mul_f32 v[2:3], v[32:33], v[44:45]
	v_mov_b32_e32 v46, v119
	v_mov_b32_e32 v47, v119
	v_pk_fma_f32 v[8:9], v[32:33], v[116:117], v[2:3] op_sel:[0,0,1] op_sel_hi:[1,1,0] neg_lo:[0,0,1] neg_hi:[0,0,1]
	v_pk_fma_f32 v[2:3], v[32:33], v[116:117], v[2:3] op_sel:[0,0,1] op_sel_hi:[1,1,0]
	v_mov_b32_e32 v119, v118
	v_mov_b32_e32 v9, v3
	v_pk_mul_f32 v[2:3], v[34:35], v[46:47]
	v_pk_add_f32 v[0:1], v[0:1], v[4:5]
	v_pk_fma_f32 v[10:11], v[34:35], v[118:119], v[2:3] op_sel:[0,0,1] op_sel_hi:[1,1,0] neg_lo:[0,0,1] neg_hi:[0,0,1]
	v_pk_fma_f32 v[2:3], v[34:35], v[118:119], v[2:3] op_sel:[0,0,1] op_sel_hi:[1,1,0]
	v_pk_add_f32 v[0:1], v[0:1], v[6:7]
	v_mov_b32_e32 v11, v3
	v_pk_add_f32 v[0:1], v[0:1], v[8:9]
	s_add_i32 s4, s2, 1
	s_add_i32 s21, s21, 64
	;; [unrolled: 1-line block ×3, first 2 shown]
	v_pk_add_f32 v[50:51], v[0:1], v[10:11]
	v_lshl_add_u64 v[56:57], v[56:57], 0, s[10:11]
	v_lshl_add_u64 v[58:59], v[58:59], 0, s[10:11]
	;; [unrolled: 1-line block ×16, first 2 shown]
	s_cmp_ge_u32 s2, s30
	s_mov_b32 s2, s4
	s_barrier
	s_cbranch_scc1 .LBB114_148
.LBB114_93:                             ; =>This Inner Loop Header: Depth=1
	s_cmp_eq_u32 s3, s2
	s_cselect_b32 s22, s31, 0
	s_and_saveexec_b64 s[4:5], s[0:1]
	s_cbranch_execz .LBB114_98
; %bb.94:                               ;   in Loop: Header=BB114_93 Depth=1
	s_cmp_lg_u32 s22, 0
	s_cselect_b64 s[12:13], -1, 0
	v_cmp_le_i32_e32 vcc, s22, v120
	s_and_b64 s[12:13], s[12:13], vcc
	s_and_saveexec_b64 s[14:15], s[12:13]
	s_xor_b64 s[12:13], exec, s[14:15]
; %bb.95:                               ;   in Loop: Header=BB114_93 Depth=1
	ds_write_b64 v123, v[146:147]
; %bb.96:                               ;   in Loop: Header=BB114_93 Depth=1
	s_andn2_saveexec_b64 s[12:13], s[12:13]
	s_cbranch_execz .LBB114_98
; %bb.97:                               ;   in Loop: Header=BB114_93 Depth=1
	s_ashr_i32 s12, s21, 31
	s_mul_hi_u32 s13, s24, s21
	s_mul_i32 s12, s24, s12
	s_add_i32 s12, s13, s12
	s_mul_i32 s13, s25, s21
	s_add_i32 s13, s12, s13
	s_mul_i32 s12, s24, s21
	v_lshl_add_u64 v[0:1], s[12:13], 3, v[54:55]
	global_load_dwordx2 v[0:1], v[0:1], off
	s_waitcnt vmcnt(0)
	ds_write_b64 v123, v[0:1]
.LBB114_98:                             ;   in Loop: Header=BB114_93 Depth=1
	s_or_b64 exec, exec, s[4:5]
	s_cmp_eq_u32 s22, 0
	s_cselect_b64 s[12:13], -1, 0
	s_cmp_lg_u32 s22, 0
	s_cselect_b64 s[14:15], -1, 0
	v_lshl_add_u64 v[0:1], v[56:57], 0, v[52:53]
	s_and_b64 vcc, exec, s[14:15]
	s_waitcnt lgkmcnt(0)
	s_barrier
	s_cbranch_vccz .LBB114_106
; %bb.99:                               ;   in Loop: Header=BB114_93 Depth=1
	v_cmp_gt_i32_e32 vcc, s22, v122
	v_mov_b64_e32 v[88:89], 0
	v_mov_b64_e32 v[90:91], 0
	s_and_saveexec_b64 s[4:5], vcc
	s_cbranch_execz .LBB114_101
; %bb.100:                              ;   in Loop: Header=BB114_93 Depth=1
	global_load_dwordx2 v[90:91], v[0:1], off
.LBB114_101:                            ;   in Loop: Header=BB114_93 Depth=1
	s_or_b64 exec, exec, s[4:5]
	v_cmp_gt_i32_e32 vcc, s22, v130
	s_and_saveexec_b64 s[4:5], vcc
	s_cbranch_execz .LBB114_103
; %bb.102:                              ;   in Loop: Header=BB114_93 Depth=1
	v_lshl_add_u64 v[2:3], v[60:61], 0, v[52:53]
	global_load_dwordx2 v[88:89], v[2:3], off
.LBB114_103:                            ;   in Loop: Header=BB114_93 Depth=1
	s_or_b64 exec, exec, s[4:5]
	v_cmp_gt_i32_e32 vcc, s22, v131
	v_mov_b64_e32 v[92:93], 0
	s_and_saveexec_b64 s[4:5], vcc
	s_cbranch_execz .LBB114_105
; %bb.104:                              ;   in Loop: Header=BB114_93 Depth=1
	v_lshl_add_u64 v[2:3], v[58:59], 0, v[52:53]
	global_load_dwordx2 v[92:93], v[2:3], off
.LBB114_105:                            ;   in Loop: Header=BB114_93 Depth=1
	s_or_b64 exec, exec, s[4:5]
	v_cmp_gt_i32_e64 s[4:5], s22, v132
	s_branch .LBB114_108
.LBB114_106:                            ;   in Loop: Header=BB114_93 Depth=1
	s_mov_b64 s[4:5], 0
                                        ; implicit-def: $vgpr92_vgpr93
                                        ; implicit-def: $vgpr88_vgpr89
                                        ; implicit-def: $vgpr90_vgpr91
	s_cbranch_execz .LBB114_108
; %bb.107:                              ;   in Loop: Header=BB114_93 Depth=1
	global_load_dwordx2 v[90:91], v[0:1], off
	v_lshl_add_u64 v[0:1], v[60:61], 0, v[52:53]
	global_load_dwordx2 v[88:89], v[0:1], off
	v_lshl_add_u64 v[0:1], v[58:59], 0, v[52:53]
	global_load_dwordx2 v[92:93], v[0:1], off
	s_or_b64 s[4:5], s[4:5], exec
.LBB114_108:                            ;   in Loop: Header=BB114_93 Depth=1
	v_mov_b64_e32 v[94:95], 0
	s_and_saveexec_b64 s[16:17], s[4:5]
	s_cbranch_execz .LBB114_110
; %bb.109:                              ;   in Loop: Header=BB114_93 Depth=1
	v_lshl_add_u64 v[0:1], v[62:63], 0, v[52:53]
	global_load_dwordx2 v[94:95], v[0:1], off
.LBB114_110:                            ;   in Loop: Header=BB114_93 Depth=1
	s_or_b64 exec, exec, s[16:17]
	ds_read_b64 v[8:9], v125
	ds_read_b128 v[4:7], v124
	ds_read_b128 v[0:3], v124 offset:16
	s_andn2_b64 vcc, exec, s[14:15]
	s_waitcnt vmcnt(0) lgkmcnt(2)
	v_pk_mul_f32 v[10:11], v[8:9], v[90:91] op_sel:[1,1] op_sel_hi:[0,1]
	v_pk_mul_f32 v[12:13], v[8:9], v[88:89] op_sel:[1,1] op_sel_hi:[0,1]
	v_pk_fma_f32 v[14:15], v[8:9], v[90:91], v[10:11] neg_lo:[0,0,1] neg_hi:[0,0,1]
	v_pk_fma_f32 v[10:11], v[8:9], v[90:91], v[10:11] op_sel_hi:[1,0,1]
	s_nop 0
	v_mov_b32_e32 v15, v11
	v_pk_fma_f32 v[10:11], v[8:9], v[88:89], v[12:13] neg_lo:[0,0,1] neg_hi:[0,0,1]
	v_pk_fma_f32 v[12:13], v[8:9], v[88:89], v[12:13] op_sel_hi:[1,0,1]
	s_nop 0
	v_mov_b32_e32 v11, v13
	ds_write2_b64 v126, v[14:15], v[10:11] offset1:67
	v_pk_mul_f32 v[10:11], v[8:9], v[92:93] op_sel:[1,1] op_sel_hi:[0,1]
	v_pk_fma_f32 v[12:13], v[8:9], v[92:93], v[10:11] neg_lo:[0,0,1] neg_hi:[0,0,1]
	v_pk_fma_f32 v[10:11], v[8:9], v[92:93], v[10:11] op_sel_hi:[1,0,1]
	s_nop 0
	v_mov_b32_e32 v13, v11
	v_pk_mul_f32 v[10:11], v[8:9], v[94:95] op_sel:[1,1] op_sel_hi:[0,1]
	v_pk_fma_f32 v[14:15], v[8:9], v[94:95], v[10:11] neg_lo:[0,0,1] neg_hi:[0,0,1]
	v_pk_fma_f32 v[8:9], v[8:9], v[94:95], v[10:11] op_sel_hi:[1,0,1]
	s_nop 0
	v_mov_b32_e32 v15, v9
	ds_write2_b64 v126, v[12:13], v[14:15] offset0:134 offset1:201
	s_waitcnt lgkmcnt(0)
	s_barrier
	ds_read2_b64 v[20:23], v127 offset1:1
	ds_read2_b64 v[16:19], v127 offset0:2 offset1:3
	v_cndmask_b32_e64 v8, 0, 1, s[14:15]
	v_cmp_ne_u32_e64 s[4:5], 1, v8
	v_lshl_add_u64 v[8:9], v[64:65], 0, v[52:53]
	s_waitcnt lgkmcnt(0)
	s_barrier
	s_cbranch_vccnz .LBB114_118
; %bb.111:                              ;   in Loop: Header=BB114_93 Depth=1
	v_cmp_gt_i32_e32 vcc, s22, v133
	v_mov_b64_e32 v[96:97], 0
	v_mov_b64_e32 v[98:99], 0
	s_and_saveexec_b64 s[14:15], vcc
	s_cbranch_execz .LBB114_113
; %bb.112:                              ;   in Loop: Header=BB114_93 Depth=1
	global_load_dwordx2 v[98:99], v[8:9], off
.LBB114_113:                            ;   in Loop: Header=BB114_93 Depth=1
	s_or_b64 exec, exec, s[14:15]
	v_cmp_gt_i32_e32 vcc, s22, v134
	s_and_saveexec_b64 s[14:15], vcc
	s_cbranch_execz .LBB114_115
; %bb.114:                              ;   in Loop: Header=BB114_93 Depth=1
	v_lshl_add_u64 v[10:11], v[66:67], 0, v[52:53]
	global_load_dwordx2 v[96:97], v[10:11], off
.LBB114_115:                            ;   in Loop: Header=BB114_93 Depth=1
	s_or_b64 exec, exec, s[14:15]
	v_cmp_gt_i32_e32 vcc, s22, v135
	v_mov_b64_e32 v[100:101], 0
	s_and_saveexec_b64 s[14:15], vcc
	s_cbranch_execz .LBB114_117
; %bb.116:                              ;   in Loop: Header=BB114_93 Depth=1
	v_lshl_add_u64 v[10:11], v[68:69], 0, v[52:53]
	global_load_dwordx2 v[100:101], v[10:11], off
.LBB114_117:                            ;   in Loop: Header=BB114_93 Depth=1
	s_or_b64 exec, exec, s[14:15]
	v_cmp_gt_i32_e64 s[14:15], s22, v136
	s_branch .LBB114_120
.LBB114_118:                            ;   in Loop: Header=BB114_93 Depth=1
	s_mov_b64 s[14:15], 0
                                        ; implicit-def: $vgpr100_vgpr101
                                        ; implicit-def: $vgpr96_vgpr97
                                        ; implicit-def: $vgpr98_vgpr99
	s_cbranch_execz .LBB114_120
; %bb.119:                              ;   in Loop: Header=BB114_93 Depth=1
	global_load_dwordx2 v[98:99], v[8:9], off
	v_lshl_add_u64 v[8:9], v[66:67], 0, v[52:53]
	global_load_dwordx2 v[96:97], v[8:9], off
	v_lshl_add_u64 v[8:9], v[68:69], 0, v[52:53]
	global_load_dwordx2 v[100:101], v[8:9], off
	s_or_b64 s[14:15], s[14:15], exec
.LBB114_120:                            ;   in Loop: Header=BB114_93 Depth=1
	v_mov_b64_e32 v[102:103], 0
	s_and_saveexec_b64 s[16:17], s[14:15]
	s_cbranch_execz .LBB114_122
; %bb.121:                              ;   in Loop: Header=BB114_93 Depth=1
	v_lshl_add_u64 v[8:9], v[70:71], 0, v[52:53]
	global_load_dwordx2 v[102:103], v[8:9], off
.LBB114_122:                            ;   in Loop: Header=BB114_93 Depth=1
	s_or_b64 exec, exec, s[16:17]
	ds_read_b64 v[24:25], v125
	ds_read_b128 v[12:15], v124 offset:128
	ds_read_b128 v[8:11], v124 offset:144
	s_and_b64 vcc, exec, s[4:5]
	s_waitcnt vmcnt(0) lgkmcnt(2)
	v_pk_mul_f32 v[26:27], v[24:25], v[98:99] op_sel:[1,1] op_sel_hi:[0,1]
	v_pk_mul_f32 v[28:29], v[24:25], v[96:97] op_sel:[1,1] op_sel_hi:[0,1]
	v_pk_fma_f32 v[30:31], v[24:25], v[98:99], v[26:27] neg_lo:[0,0,1] neg_hi:[0,0,1]
	v_pk_fma_f32 v[26:27], v[24:25], v[98:99], v[26:27] op_sel_hi:[1,0,1]
	s_nop 0
	v_mov_b32_e32 v31, v27
	v_pk_fma_f32 v[26:27], v[24:25], v[96:97], v[28:29] neg_lo:[0,0,1] neg_hi:[0,0,1]
	v_pk_fma_f32 v[28:29], v[24:25], v[96:97], v[28:29] op_sel_hi:[1,0,1]
	s_nop 0
	v_mov_b32_e32 v27, v29
	ds_write2_b64 v126, v[30:31], v[26:27] offset1:67
	v_pk_mul_f32 v[26:27], v[24:25], v[100:101] op_sel:[1,1] op_sel_hi:[0,1]
	v_pk_fma_f32 v[28:29], v[24:25], v[100:101], v[26:27] neg_lo:[0,0,1] neg_hi:[0,0,1]
	v_pk_fma_f32 v[26:27], v[24:25], v[100:101], v[26:27] op_sel_hi:[1,0,1]
	s_nop 0
	v_mov_b32_e32 v29, v27
	v_pk_mul_f32 v[26:27], v[24:25], v[102:103] op_sel:[1,1] op_sel_hi:[0,1]
	v_pk_fma_f32 v[30:31], v[24:25], v[102:103], v[26:27] neg_lo:[0,0,1] neg_hi:[0,0,1]
	v_pk_fma_f32 v[24:25], v[24:25], v[102:103], v[26:27] op_sel_hi:[1,0,1]
	s_nop 0
	v_mov_b32_e32 v31, v25
	ds_write2_b64 v126, v[28:29], v[30:31] offset0:134 offset1:201
	s_waitcnt lgkmcnt(0)
	s_barrier
	ds_read2_b64 v[36:39], v127 offset1:1
	ds_read2_b64 v[32:35], v127 offset0:2 offset1:3
	v_lshl_add_u64 v[24:25], v[72:73], 0, v[52:53]
	s_waitcnt lgkmcnt(0)
	s_barrier
	s_cbranch_vccnz .LBB114_130
; %bb.123:                              ;   in Loop: Header=BB114_93 Depth=1
	v_cmp_gt_i32_e32 vcc, s22, v137
	v_mov_b64_e32 v[104:105], 0
	v_mov_b64_e32 v[106:107], 0
	s_and_saveexec_b64 s[14:15], vcc
	s_cbranch_execz .LBB114_125
; %bb.124:                              ;   in Loop: Header=BB114_93 Depth=1
	global_load_dwordx2 v[106:107], v[24:25], off
.LBB114_125:                            ;   in Loop: Header=BB114_93 Depth=1
	s_or_b64 exec, exec, s[14:15]
	v_cmp_gt_i32_e32 vcc, s22, v138
	s_and_saveexec_b64 s[14:15], vcc
	s_cbranch_execz .LBB114_127
; %bb.126:                              ;   in Loop: Header=BB114_93 Depth=1
	v_lshl_add_u64 v[26:27], v[74:75], 0, v[52:53]
	global_load_dwordx2 v[104:105], v[26:27], off
.LBB114_127:                            ;   in Loop: Header=BB114_93 Depth=1
	s_or_b64 exec, exec, s[14:15]
	v_cmp_gt_i32_e32 vcc, s22, v139
	v_mov_b64_e32 v[108:109], 0
	s_and_saveexec_b64 s[14:15], vcc
	s_cbranch_execz .LBB114_129
; %bb.128:                              ;   in Loop: Header=BB114_93 Depth=1
	v_lshl_add_u64 v[26:27], v[76:77], 0, v[52:53]
	global_load_dwordx2 v[108:109], v[26:27], off
.LBB114_129:                            ;   in Loop: Header=BB114_93 Depth=1
	s_or_b64 exec, exec, s[14:15]
	v_cmp_gt_i32_e64 s[14:15], s22, v140
	s_branch .LBB114_132
.LBB114_130:                            ;   in Loop: Header=BB114_93 Depth=1
	s_mov_b64 s[14:15], 0
                                        ; implicit-def: $vgpr108_vgpr109
                                        ; implicit-def: $vgpr104_vgpr105
                                        ; implicit-def: $vgpr106_vgpr107
	s_cbranch_execz .LBB114_132
; %bb.131:                              ;   in Loop: Header=BB114_93 Depth=1
	global_load_dwordx2 v[106:107], v[24:25], off
	v_lshl_add_u64 v[24:25], v[74:75], 0, v[52:53]
	global_load_dwordx2 v[104:105], v[24:25], off
	v_lshl_add_u64 v[24:25], v[76:77], 0, v[52:53]
	global_load_dwordx2 v[108:109], v[24:25], off
	s_or_b64 s[14:15], s[14:15], exec
.LBB114_132:                            ;   in Loop: Header=BB114_93 Depth=1
	v_mov_b64_e32 v[110:111], 0
	s_and_saveexec_b64 s[16:17], s[14:15]
	s_cbranch_execz .LBB114_134
; %bb.133:                              ;   in Loop: Header=BB114_93 Depth=1
	v_lshl_add_u64 v[24:25], v[78:79], 0, v[52:53]
	global_load_dwordx2 v[110:111], v[24:25], off
.LBB114_134:                            ;   in Loop: Header=BB114_93 Depth=1
	s_or_b64 exec, exec, s[16:17]
	ds_read_b64 v[24:25], v125
	s_and_b64 vcc, exec, s[4:5]
	v_lshl_add_u64 v[118:119], v[80:81], 0, v[52:53]
	s_waitcnt vmcnt(0) lgkmcnt(0)
	v_pk_mul_f32 v[26:27], v[24:25], v[106:107] op_sel:[0,1]
	v_pk_mul_f32 v[28:29], v[24:25], v[104:105] op_sel:[0,1]
	v_pk_fma_f32 v[30:31], v[24:25], v[106:107], v[26:27] op_sel:[0,0,1] op_sel_hi:[1,1,0] neg_lo:[0,0,1] neg_hi:[0,0,1]
	v_pk_fma_f32 v[26:27], v[24:25], v[106:107], v[26:27] op_sel:[0,0,1] op_sel_hi:[1,0,0]
	v_pk_fma_f32 v[40:41], v[24:25], v[104:105], v[28:29] op_sel:[0,0,1] op_sel_hi:[1,1,0] neg_lo:[0,0,1] neg_hi:[0,0,1]
	v_pk_fma_f32 v[28:29], v[24:25], v[104:105], v[28:29] op_sel:[0,0,1] op_sel_hi:[1,0,0]
	v_mov_b32_e32 v31, v27
	v_pk_mul_f32 v[26:27], v[24:25], v[108:109] op_sel:[0,1]
	v_mov_b32_e32 v41, v29
	v_pk_fma_f32 v[28:29], v[24:25], v[108:109], v[26:27] op_sel:[0,0,1] op_sel_hi:[1,1,0] neg_lo:[0,0,1] neg_hi:[0,0,1]
	v_pk_fma_f32 v[26:27], v[24:25], v[108:109], v[26:27] op_sel:[0,0,1] op_sel_hi:[1,0,0]
	ds_write2_b64 v126, v[30:31], v[40:41] offset1:67
	v_mov_b32_e32 v29, v27
	v_pk_mul_f32 v[26:27], v[24:25], v[110:111] op_sel:[0,1]
	s_nop 0
	v_pk_fma_f32 v[30:31], v[24:25], v[110:111], v[26:27] op_sel:[0,0,1] op_sel_hi:[1,1,0] neg_lo:[0,0,1] neg_hi:[0,0,1]
	v_pk_fma_f32 v[24:25], v[24:25], v[110:111], v[26:27] op_sel:[0,0,1] op_sel_hi:[1,0,0]
	s_nop 0
	v_mov_b32_e32 v31, v25
	ds_write2_b64 v126, v[28:29], v[30:31] offset0:134 offset1:201
	ds_read_b128 v[28:31], v124 offset:256
	ds_read_b128 v[24:27], v124 offset:272
	s_waitcnt lgkmcnt(0)
	s_barrier
	ds_read2_b64 v[44:47], v127 offset1:1
	ds_read2_b64 v[40:43], v127 offset0:2 offset1:3
	s_waitcnt lgkmcnt(0)
	s_barrier
	s_cbranch_vccnz .LBB114_142
; %bb.135:                              ;   in Loop: Header=BB114_93 Depth=1
	v_cmp_gt_i32_e32 vcc, s22, v141
	v_mov_b64_e32 v[112:113], 0
	v_mov_b64_e32 v[114:115], 0
	s_and_saveexec_b64 s[4:5], vcc
	s_cbranch_execz .LBB114_137
; %bb.136:                              ;   in Loop: Header=BB114_93 Depth=1
	global_load_dwordx2 v[114:115], v[118:119], off
.LBB114_137:                            ;   in Loop: Header=BB114_93 Depth=1
	s_or_b64 exec, exec, s[4:5]
	v_cmp_gt_i32_e32 vcc, s22, v142
	s_and_saveexec_b64 s[4:5], vcc
	s_cbranch_execz .LBB114_139
; %bb.138:                              ;   in Loop: Header=BB114_93 Depth=1
	v_lshl_add_u64 v[112:113], v[82:83], 0, v[52:53]
	global_load_dwordx2 v[112:113], v[112:113], off
.LBB114_139:                            ;   in Loop: Header=BB114_93 Depth=1
	s_or_b64 exec, exec, s[4:5]
	v_cmp_gt_i32_e32 vcc, s22, v144
	v_mov_b64_e32 v[116:117], 0
	s_and_saveexec_b64 s[4:5], vcc
	s_cbranch_execz .LBB114_141
; %bb.140:                              ;   in Loop: Header=BB114_93 Depth=1
	v_lshl_add_u64 v[116:117], v[84:85], 0, v[52:53]
	global_load_dwordx2 v[116:117], v[116:117], off
.LBB114_141:                            ;   in Loop: Header=BB114_93 Depth=1
	s_or_b64 exec, exec, s[4:5]
	v_cmp_gt_i32_e64 s[4:5], s22, v145
	s_branch .LBB114_144
.LBB114_142:                            ;   in Loop: Header=BB114_93 Depth=1
	s_mov_b64 s[4:5], 0
                                        ; implicit-def: $vgpr116_vgpr117
                                        ; implicit-def: $vgpr112_vgpr113
                                        ; implicit-def: $vgpr114_vgpr115
	s_cbranch_execz .LBB114_144
; %bb.143:                              ;   in Loop: Header=BB114_93 Depth=1
	s_waitcnt vmcnt(0)
	v_lshl_add_u64 v[112:113], v[82:83], 0, v[52:53]
	v_lshl_add_u64 v[116:117], v[84:85], 0, v[52:53]
	global_load_dwordx2 v[114:115], v[118:119], off
	s_or_b64 s[4:5], s[4:5], exec
	global_load_dwordx2 v[112:113], v[112:113], off
	s_nop 0
	global_load_dwordx2 v[116:117], v[116:117], off
.LBB114_144:                            ;   in Loop: Header=BB114_93 Depth=1
	v_mov_b64_e32 v[118:119], 0
	s_and_saveexec_b64 s[14:15], s[4:5]
	s_cbranch_execz .LBB114_146
; %bb.145:                              ;   in Loop: Header=BB114_93 Depth=1
	v_lshl_add_u64 v[118:119], v[86:87], 0, v[52:53]
	global_load_dwordx2 v[118:119], v[118:119], off
.LBB114_146:                            ;   in Loop: Header=BB114_93 Depth=1
	s_or_b64 exec, exec, s[14:15]
	v_pk_add_f32 v[44:45], v[44:45], 0 op_sel_hi:[1,0]
	v_pk_add_f32 v[36:37], v[36:37], 0 op_sel_hi:[1,0]
	v_pk_add_f32 v[44:45], v[44:45], v[46:47]
	v_pk_add_f32 v[36:37], v[36:37], v[38:39]
	v_pk_add_f32 v[40:41], v[44:45], v[40:41]
	v_pk_add_f32 v[32:33], v[36:37], v[32:33]
	v_pk_add_f32 v[44:45], v[40:41], v[42:43]
	ds_read_b64 v[40:41], v125
	v_pk_add_f32 v[46:47], v[32:33], v[34:35]
	v_pk_add_f32 v[20:21], v[20:21], 0 op_sel_hi:[1,0]
	v_cmp_gt_i32_e32 vcc, s22, v120
	v_pk_add_f32 v[148:149], v[20:21], v[22:23]
	s_waitcnt vmcnt(0) lgkmcnt(0)
	v_pk_mul_f32 v[32:33], v[40:41], v[114:115] op_sel:[0,1]
	v_pk_add_f32 v[16:17], v[148:149], v[16:17]
	v_pk_fma_f32 v[34:35], v[40:41], v[114:115], v[32:33] op_sel:[0,0,1] op_sel_hi:[1,1,0] neg_lo:[0,0,1] neg_hi:[0,0,1]
	v_pk_fma_f32 v[32:33], v[40:41], v[114:115], v[32:33] op_sel:[0,0,1] op_sel_hi:[1,0,0]
	v_pk_add_f32 v[16:17], v[16:17], v[18:19]
	v_mov_b32_e32 v35, v33
	v_pk_mul_f32 v[32:33], v[40:41], v[112:113] op_sel:[0,1]
	s_or_b64 s[4:5], s[12:13], vcc
	v_pk_fma_f32 v[36:37], v[40:41], v[112:113], v[32:33] op_sel:[0,0,1] op_sel_hi:[1,1,0] neg_lo:[0,0,1] neg_hi:[0,0,1]
	v_pk_fma_f32 v[32:33], v[40:41], v[112:113], v[32:33] op_sel:[0,0,1] op_sel_hi:[1,0,0]
	s_and_b64 s[12:13], s[6:7], s[4:5]
	v_mov_b32_e32 v37, v33
	v_pk_mul_f32 v[32:33], v[40:41], v[116:117] op_sel:[0,1]
	ds_write2_b64 v126, v[34:35], v[36:37] offset1:67
	v_pk_fma_f32 v[34:35], v[40:41], v[116:117], v[32:33] op_sel:[0,0,1] op_sel_hi:[1,1,0] neg_lo:[0,0,1] neg_hi:[0,0,1]
	v_pk_fma_f32 v[32:33], v[40:41], v[116:117], v[32:33] op_sel:[0,0,1] op_sel_hi:[1,0,0]
	s_nop 0
	v_mov_b32_e32 v35, v33
	v_pk_mul_f32 v[32:33], v[40:41], v[118:119] op_sel:[0,1]
	s_nop 0
	v_pk_fma_f32 v[36:37], v[40:41], v[118:119], v[32:33] op_sel:[0,0,1] op_sel_hi:[1,1,0] neg_lo:[0,0,1] neg_hi:[0,0,1]
	v_pk_fma_f32 v[32:33], v[40:41], v[118:119], v[32:33] op_sel:[0,0,1] op_sel_hi:[1,0,0]
	s_nop 0
	v_mov_b32_e32 v37, v33
	ds_write2_b64 v126, v[34:35], v[36:37] offset0:134 offset1:201
	ds_read_b128 v[36:39], v124 offset:384
	ds_read_b128 v[32:35], v124 offset:400
	s_waitcnt lgkmcnt(0)
	s_barrier
	ds_read2_b64 v[40:43], v127 offset1:1
	ds_read2_b64 v[20:23], v127 offset0:2 offset1:3
	s_waitcnt lgkmcnt(0)
	s_barrier
	v_pk_add_f32 v[18:19], v[40:41], 0 op_sel_hi:[1,0]
	s_nop 0
	v_pk_add_f32 v[18:19], v[18:19], v[42:43]
	s_nop 0
	v_pk_add_f32 v[18:19], v[18:19], v[20:21]
	;; [unrolled: 2-line block ×3, first 2 shown]
	ds_write2_b64 v143, v[16:17], v[46:47] offset1:16
	ds_write2_b64 v143, v[44:45], v[18:19] offset0:32 offset1:48
	s_waitcnt lgkmcnt(0)
	s_barrier
	s_and_saveexec_b64 s[4:5], s[12:13]
	s_cbranch_execz .LBB114_92
; %bb.147:                              ;   in Loop: Header=BB114_93 Depth=1
	ds_read_b64 v[40:41], v128
	ds_read2_b64 v[16:19], v128 offset0:1 offset1:2
	ds_read2_b64 v[20:23], v128 offset0:3 offset1:4
	v_add_u32_e32 v42, s21, v120
	v_ashrrev_i32_e32 v43, 31, v42
	v_lshl_add_u64 v[44:45], v[42:43], 3, s[8:9]
	s_waitcnt lgkmcnt(1)
	v_add_f32_e32 v16, v16, v40
	v_add_f32_e32 v17, v17, v41
	;; [unrolled: 1-line block ×4, first 2 shown]
	ds_read2_b64 v[16:19], v128 offset0:5 offset1:6
	s_waitcnt lgkmcnt(1)
	v_add_f32_e32 v20, v40, v20
	v_add_f32_e32 v21, v41, v21
	;; [unrolled: 1-line block ×4, first 2 shown]
	ds_read2_b64 v[20:23], v128 offset0:7 offset1:8
	s_waitcnt lgkmcnt(1)
	v_pk_add_f32 v[16:17], v[40:41], v[16:17]
	ds_read2_b64 v[40:43], v128 offset0:9 offset1:10
	v_pk_add_f32 v[16:17], v[16:17], v[18:19]
	s_waitcnt lgkmcnt(1)
	v_pk_add_f32 v[16:17], v[16:17], v[20:21]
	s_nop 0
	v_pk_add_f32 v[20:21], v[16:17], v[22:23]
	ds_read2_b64 v[16:19], v128 offset0:11 offset1:12
	s_waitcnt lgkmcnt(1)
	v_pk_add_f32 v[40:41], v[20:21], v[40:41]
	ds_read2_b64 v[20:23], v128 offset0:13 offset1:14
	v_pk_add_f32 v[40:41], v[40:41], v[42:43]
	ds_read_b64 v[42:43], v129
	s_waitcnt lgkmcnt(2)
	v_pk_add_f32 v[16:17], v[40:41], v[16:17]
	s_nop 0
	v_pk_add_f32 v[16:17], v[16:17], v[18:19]
	s_waitcnt lgkmcnt(1)
	v_pk_add_f32 v[16:17], v[16:17], v[20:21]
	s_nop 0
	v_pk_add_f32 v[16:17], v[16:17], v[22:23]
	s_waitcnt lgkmcnt(0)
	v_pk_add_f32 v[16:17], v[16:17], v[42:43]
	global_store_dwordx2 v[44:45], v[16:17], off
	s_branch .LBB114_92
.LBB114_148:
	s_movk_i32 s2, 0x218
	v_cmp_gt_i32_e32 vcc, s20, v120
	v_mad_u32_u24 v0, v121, s2, v52
	s_or_b64 s[2:3], s[18:19], vcc
	s_and_b64 s[0:1], s[0:1], s[2:3]
	ds_write_b64 v0, v[50:51]
	s_waitcnt lgkmcnt(0)
	s_barrier
	s_and_saveexec_b64 s[2:3], s[0:1]
	s_cbranch_execz .LBB114_150
; %bb.149:
	ds_read2_b64 v[0:3], v52 offset1:67
	ds_read2_b64 v[4:7], v52 offset0:134 offset1:201
	v_lshl_add_u64 v[8:9], v[48:49], 3, s[8:9]
	s_waitcnt lgkmcnt(1)
	v_pk_add_f32 v[0:1], v[2:3], v[0:1]
	s_waitcnt lgkmcnt(0)
	v_pk_add_f32 v[0:1], v[4:5], v[0:1]
	s_nop 0
	v_pk_add_f32 v[0:1], v[0:1], v[6:7]
	global_store_dwordx2 v[8:9], v[0:1], off
.LBB114_150:
	s_endpgm
	.section	.rodata,"a",@progbits
	.p2align	6, 0x0
	.amdhsa_kernel _ZL26rocblas_hemvn_kernel_upperILb0ELi64ELi4ELi33ELi32ELi16ElPK19rocblas_complex_numIfES3_PS1_EviT6_lT7_lT5_lS6_lS7_lS5_lT8_i
		.amdhsa_group_segment_fixed_size 9600
		.amdhsa_private_segment_fixed_size 0
		.amdhsa_kernarg_size 376
		.amdhsa_user_sgpr_count 2
		.amdhsa_user_sgpr_dispatch_ptr 0
		.amdhsa_user_sgpr_queue_ptr 0
		.amdhsa_user_sgpr_kernarg_segment_ptr 1
		.amdhsa_user_sgpr_dispatch_id 0
		.amdhsa_user_sgpr_kernarg_preload_length 0
		.amdhsa_user_sgpr_kernarg_preload_offset 0
		.amdhsa_user_sgpr_private_segment_size 0
		.amdhsa_uses_dynamic_stack 0
		.amdhsa_enable_private_segment 0
		.amdhsa_system_sgpr_workgroup_id_x 1
		.amdhsa_system_sgpr_workgroup_id_y 0
		.amdhsa_system_sgpr_workgroup_id_z 1
		.amdhsa_system_sgpr_workgroup_info 0
		.amdhsa_system_vgpr_workitem_id 1
		.amdhsa_next_free_vgpr 150
		.amdhsa_next_free_sgpr 38
		.amdhsa_accum_offset 152
		.amdhsa_reserve_vcc 1
		.amdhsa_float_round_mode_32 0
		.amdhsa_float_round_mode_16_64 0
		.amdhsa_float_denorm_mode_32 3
		.amdhsa_float_denorm_mode_16_64 3
		.amdhsa_dx10_clamp 1
		.amdhsa_ieee_mode 1
		.amdhsa_fp16_overflow 0
		.amdhsa_tg_split 0
		.amdhsa_exception_fp_ieee_invalid_op 0
		.amdhsa_exception_fp_denorm_src 0
		.amdhsa_exception_fp_ieee_div_zero 0
		.amdhsa_exception_fp_ieee_overflow 0
		.amdhsa_exception_fp_ieee_underflow 0
		.amdhsa_exception_fp_ieee_inexact 0
		.amdhsa_exception_int_div_zero 0
	.end_amdhsa_kernel
	.section	.text._ZL26rocblas_hemvn_kernel_upperILb0ELi64ELi4ELi33ELi32ELi16ElPK19rocblas_complex_numIfES3_PS1_EviT6_lT7_lT5_lS6_lS7_lS5_lT8_i,"axG",@progbits,_ZL26rocblas_hemvn_kernel_upperILb0ELi64ELi4ELi33ELi32ELi16ElPK19rocblas_complex_numIfES3_PS1_EviT6_lT7_lT5_lS6_lS7_lS5_lT8_i,comdat
.Lfunc_end114:
	.size	_ZL26rocblas_hemvn_kernel_upperILb0ELi64ELi4ELi33ELi32ELi16ElPK19rocblas_complex_numIfES3_PS1_EviT6_lT7_lT5_lS6_lS7_lS5_lT8_i, .Lfunc_end114-_ZL26rocblas_hemvn_kernel_upperILb0ELi64ELi4ELi33ELi32ELi16ElPK19rocblas_complex_numIfES3_PS1_EviT6_lT7_lT5_lS6_lS7_lS5_lT8_i
                                        ; -- End function
	.set _ZL26rocblas_hemvn_kernel_upperILb0ELi64ELi4ELi33ELi32ELi16ElPK19rocblas_complex_numIfES3_PS1_EviT6_lT7_lT5_lS6_lS7_lS5_lT8_i.num_vgpr, 150
	.set _ZL26rocblas_hemvn_kernel_upperILb0ELi64ELi4ELi33ELi32ELi16ElPK19rocblas_complex_numIfES3_PS1_EviT6_lT7_lT5_lS6_lS7_lS5_lT8_i.num_agpr, 0
	.set _ZL26rocblas_hemvn_kernel_upperILb0ELi64ELi4ELi33ELi32ELi16ElPK19rocblas_complex_numIfES3_PS1_EviT6_lT7_lT5_lS6_lS7_lS5_lT8_i.numbered_sgpr, 38
	.set _ZL26rocblas_hemvn_kernel_upperILb0ELi64ELi4ELi33ELi32ELi16ElPK19rocblas_complex_numIfES3_PS1_EviT6_lT7_lT5_lS6_lS7_lS5_lT8_i.num_named_barrier, 0
	.set _ZL26rocblas_hemvn_kernel_upperILb0ELi64ELi4ELi33ELi32ELi16ElPK19rocblas_complex_numIfES3_PS1_EviT6_lT7_lT5_lS6_lS7_lS5_lT8_i.private_seg_size, 0
	.set _ZL26rocblas_hemvn_kernel_upperILb0ELi64ELi4ELi33ELi32ELi16ElPK19rocblas_complex_numIfES3_PS1_EviT6_lT7_lT5_lS6_lS7_lS5_lT8_i.uses_vcc, 1
	.set _ZL26rocblas_hemvn_kernel_upperILb0ELi64ELi4ELi33ELi32ELi16ElPK19rocblas_complex_numIfES3_PS1_EviT6_lT7_lT5_lS6_lS7_lS5_lT8_i.uses_flat_scratch, 0
	.set _ZL26rocblas_hemvn_kernel_upperILb0ELi64ELi4ELi33ELi32ELi16ElPK19rocblas_complex_numIfES3_PS1_EviT6_lT7_lT5_lS6_lS7_lS5_lT8_i.has_dyn_sized_stack, 0
	.set _ZL26rocblas_hemvn_kernel_upperILb0ELi64ELi4ELi33ELi32ELi16ElPK19rocblas_complex_numIfES3_PS1_EviT6_lT7_lT5_lS6_lS7_lS5_lT8_i.has_recursion, 0
	.set _ZL26rocblas_hemvn_kernel_upperILb0ELi64ELi4ELi33ELi32ELi16ElPK19rocblas_complex_numIfES3_PS1_EviT6_lT7_lT5_lS6_lS7_lS5_lT8_i.has_indirect_call, 0
	.section	.AMDGPU.csdata,"",@progbits
; Kernel info:
; codeLenInByte = 8776
; TotalNumSgprs: 44
; NumVgprs: 150
; NumAgprs: 0
; TotalNumVgprs: 150
; ScratchSize: 0
; MemoryBound: 1
; FloatMode: 240
; IeeeMode: 1
; LDSByteSize: 9600 bytes/workgroup (compile time only)
; SGPRBlocks: 5
; VGPRBlocks: 18
; NumSGPRsForWavesPerEU: 44
; NumVGPRsForWavesPerEU: 150
; AccumOffset: 152
; Occupancy: 3
; WaveLimiterHint : 0
; COMPUTE_PGM_RSRC2:SCRATCH_EN: 0
; COMPUTE_PGM_RSRC2:USER_SGPR: 2
; COMPUTE_PGM_RSRC2:TRAP_HANDLER: 0
; COMPUTE_PGM_RSRC2:TGID_X_EN: 1
; COMPUTE_PGM_RSRC2:TGID_Y_EN: 0
; COMPUTE_PGM_RSRC2:TGID_Z_EN: 1
; COMPUTE_PGM_RSRC2:TIDIG_COMP_CNT: 1
; COMPUTE_PGM_RSRC3_GFX90A:ACCUM_OFFSET: 37
; COMPUTE_PGM_RSRC3_GFX90A:TG_SPLIT: 0
	.section	.text._ZL26rocblas_hemvn_kernel_upperILb0ELi64ELi4ELi33ELi32ELi16EiPK19rocblas_complex_numIfES3_PS1_EviT6_lT7_lT5_lS6_lS7_lS5_lT8_i,"axG",@progbits,_ZL26rocblas_hemvn_kernel_upperILb0ELi64ELi4ELi33ELi32ELi16EiPK19rocblas_complex_numIfES3_PS1_EviT6_lT7_lT5_lS6_lS7_lS5_lT8_i,comdat
	.globl	_ZL26rocblas_hemvn_kernel_upperILb0ELi64ELi4ELi33ELi32ELi16EiPK19rocblas_complex_numIfES3_PS1_EviT6_lT7_lT5_lS6_lS7_lS5_lT8_i ; -- Begin function _ZL26rocblas_hemvn_kernel_upperILb0ELi64ELi4ELi33ELi32ELi16EiPK19rocblas_complex_numIfES3_PS1_EviT6_lT7_lT5_lS6_lS7_lS5_lT8_i
	.p2align	8
	.type	_ZL26rocblas_hemvn_kernel_upperILb0ELi64ELi4ELi33ELi32ELi16EiPK19rocblas_complex_numIfES3_PS1_EviT6_lT7_lT5_lS6_lS7_lS5_lT8_i,@function
_ZL26rocblas_hemvn_kernel_upperILb0ELi64ELi4ELi33ELi32ELi16EiPK19rocblas_complex_numIfES3_PS1_EviT6_lT7_lT5_lS6_lS7_lS5_lT8_i: ; @_ZL26rocblas_hemvn_kernel_upperILb0ELi64ELi4ELi33ELi32ELi16EiPK19rocblas_complex_numIfES3_PS1_EviT6_lT7_lT5_lS6_lS7_lS5_lT8_i
; %bb.0:
	s_load_dwordx2 s[4:5], s[0:1], 0x84
	s_add_u32 s20, s0, 0x78
	s_addc_u32 s21, s1, 0
	s_waitcnt lgkmcnt(0)
	s_lshr_b32 s6, s4, 16
	s_and_b32 s4, s4, 0xffff
	s_and_b32 s5, s5, 0xffff
	s_mul_i32 s4, s6, s4
	s_mul_i32 s4, s4, s5
	s_cmpk_lg_i32 s4, 0x100
	s_cbranch_scc1 .LBB115_150
; %bb.1:
	s_load_dwordx8 s[4:11], s[0:1], 0x8
	s_waitcnt lgkmcnt(0)
	s_mul_i32 s7, s7, s3
	s_mul_hi_u32 s12, s6, s3
	s_mul_i32 s6, s6, s3
	s_add_i32 s7, s12, s7
	s_lshl_b64 s[6:7], s[6:7], 3
	s_add_u32 s4, s4, s6
	s_addc_u32 s5, s5, s7
	s_load_dwordx2 s[6:7], s[4:5], 0x0
	s_load_dwordx8 s[12:19], s[0:1], 0x50
	s_waitcnt lgkmcnt(0)
	s_or_b32 s4, s6, s7
	s_bitset0_b32 s4, 31
	s_cmp_lg_u32 s4, 0
	s_cselect_b64 s[4:5], -1, 0
	s_mov_b64 s[6:7], -1
	s_and_b64 vcc, exec, s[4:5]
	s_cbranch_vccnz .LBB115_3
; %bb.2:
	s_mul_i32 s6, s17, s3
	s_mul_hi_u32 s7, s16, s3
	s_add_i32 s7, s7, s6
	s_mul_i32 s6, s16, s3
	s_lshl_b64 s[6:7], s[6:7], 3
	s_add_u32 s6, s14, s6
	s_addc_u32 s7, s15, s7
	s_load_dwordx2 s[14:15], s[6:7], 0x0
	s_waitcnt lgkmcnt(0)
	v_cmp_neq_f32_e64 s[6:7], s14, 1.0
	v_cmp_neq_f32_e64 s[14:15], s15, 0
	s_or_b64 s[6:7], s[6:7], s[14:15]
.LBB115_3:
	s_andn2_b64 vcc, exec, s[6:7]
	s_cbranch_vccnz .LBB115_150
; %bb.4:
	s_andn2_b64 vcc, exec, s[4:5]
	s_cbranch_vccnz .LBB115_150
; %bb.5:
	s_load_dword s33, s[20:21], 0x0
	s_load_dword s36, s[0:1], 0x0
	s_load_dwordx4 s[4:7], s[0:1], 0x30
	s_load_dwordx2 s[14:15], s[0:1], 0x40
	s_load_dword s35, s[0:1], 0x48
	s_mul_i32 s13, s13, s3
	s_mul_hi_u32 s16, s12, s3
	s_add_i32 s13, s16, s13
	s_mul_i32 s12, s12, s3
	s_lshl_b64 s[12:13], s[12:13], 3
	s_waitcnt lgkmcnt(0)
	s_add_u32 s12, s6, s12
	s_addc_u32 s13, s7, s13
	s_lshl_b64 s[6:7], s[14:15], 3
	s_add_u32 s6, s12, s6
	s_addc_u32 s7, s13, s7
	s_ashr_i32 s37, s36, 31
	s_lshr_b32 s13, s37, 26
	v_and_b32_e32 v50, 0x3ff, v0
	s_lshl_b32 s24, s2, 6
	s_add_i32 s13, s36, s13
	s_andn2_b32 s13, s13, 63
	v_add_u32_e32 v48, s24, v50
	v_bfe_u32 v49, v0, 10, 10
	s_add_i32 s12, s33, -1
	s_sub_i32 s34, s36, s13
	v_mul_lo_u32 v0, s35, v48
	s_cmp_eq_u32 s2, s12
	v_ashrrev_i32_e32 v1, 31, v0
	s_cselect_b32 s16, s34, 0
	v_lshl_add_u64 v[12:13], v[0:1], 3, s[6:7]
	v_cmp_eq_u32_e64 s[12:13], 0, v49
	s_and_saveexec_b64 s[6:7], s[12:13]
	s_cbranch_execz .LBB115_10
; %bb.6:
	s_cmp_lg_u32 s16, 0
	s_cselect_b64 s[14:15], -1, 0
	v_cmp_le_i32_e32 vcc, s16, v50
	v_mov_b32_e32 v0, 0x2380
	s_and_b64 s[14:15], s[14:15], vcc
	v_lshl_add_u32 v0, v50, 3, v0
	s_and_saveexec_b64 s[20:21], s[14:15]
	s_xor_b64 s[14:15], exec, s[20:21]
; %bb.7:
	v_mov_b32_e32 v2, 0
	v_mov_b32_e32 v3, v2
	ds_write_b64 v0, v[2:3]
                                        ; implicit-def: $vgpr0
; %bb.8:
	s_andn2_saveexec_b64 s[14:15], s[14:15]
	s_cbranch_execz .LBB115_10
; %bb.9:
	global_load_dwordx2 v[2:3], v[12:13], off
	s_waitcnt vmcnt(0)
	ds_write_b64 v0, v[2:3]
.LBB115_10:
	s_or_b64 exec, exec, s[6:7]
	s_mul_i32 s5, s5, s3
	s_mul_hi_u32 s6, s4, s3
	s_add_i32 s5, s6, s5
	s_mul_i32 s4, s4, s3
	s_lshl_b64 s[4:5], s[4:5], 3
	s_add_u32 s6, s8, s4
	s_addc_u32 s7, s9, s5
	s_lshl_b64 s[4:5], s[10:11], 3
	s_load_dword s22, s[0:1], 0x28
	s_add_u32 s4, s6, s4
	s_addc_u32 s5, s7, s5
	s_ashr_i32 s25, s24, 31
	v_lshl_add_u32 v22, v49, 6, v50
	s_lshl_b64 s[0:1], s[24:25], 3
	v_and_b32_e32 v2, 31, v50
	v_lshrrev_b32_e32 v10, 5, v22
	s_add_u32 s0, s4, s0
	s_addc_u32 s1, s5, s1
	s_waitcnt lgkmcnt(0)
	v_mad_u64_u32 v[14:15], s[4:5], s22, v10, v[2:3]
	v_ashrrev_i32_e32 v15, 31, v14
	v_lshl_add_u64 v[0:1], v[14:15], 3, s[0:1]
	s_mul_i32 s0, s22, s24
	s_ashr_i32 s1, s0, 31
	s_cmp_eq_u32 s16, 0
	s_cselect_b64 s[20:21], -1, 0
	s_cmp_lg_u32 s16, 0
	s_cselect_b64 s[28:29], -1, 0
	v_lshl_add_u64 v[6:7], s[0:1], 3, v[0:1]
	s_and_b64 vcc, exec, s[28:29]
	v_cmp_gt_i32_e64 s[0:1], s16, v2
	v_lshlrev_b32_e32 v0, 3, v2
	s_cbranch_vccz .LBB115_26
; %bb.11:
	v_sub_co_u32_e32 v4, vcc, v6, v0
	s_ashr_i32 s17, s16, 31
	s_nop 0
	v_subbrev_co_u32_e32 v5, vcc, 0, v7, vcc
	v_lshl_add_u64 v[4:5], s[16:17], 3, v[4:5]
	v_mov_b32_e32 v8, 0
	v_lshl_add_u64 v[4:5], v[4:5], 0, -8
	v_cndmask_b32_e64 v5, v5, v7, s[0:1]
	v_cndmask_b32_e64 v4, v4, v6, s[0:1]
	v_cmp_gt_i32_e32 vcc, s16, v10
	v_mov_b32_e32 v9, v8
	s_and_saveexec_b64 s[4:5], vcc
	s_cbranch_execz .LBB115_13
; %bb.12:
	global_load_dwordx2 v[8:9], v[4:5], off
.LBB115_13:
	s_or_b64 exec, exec, s[4:5]
	s_movk_i32 s4, 0x108
	v_mad_u32_u24 v3, v10, s4, v0
	v_mul_u32_u24_e32 v1, 0x108, v10
	s_waitcnt vmcnt(0)
	ds_write_b64 v3, v[8:9]
	v_add_u32_e32 v3, 8, v10
	v_cmp_le_i32_e32 vcc, s16, v3
	v_add_u32_e32 v1, v1, v0
	s_and_saveexec_b64 s[4:5], vcc
	s_xor_b64 s[4:5], exec, s[4:5]
; %bb.14:
	v_mov_b32_e32 v8, 0
	v_mov_b32_e32 v9, v8
	ds_write_b64 v1, v[8:9] offset:2112
; %bb.15:
	s_andn2_saveexec_b64 s[4:5], s[4:5]
	s_cbranch_execz .LBB115_17
; %bb.16:
	s_lshl_b32 s6, s22, 3
	s_ashr_i32 s7, s6, 31
	v_lshl_add_u64 v[8:9], s[6:7], 3, v[4:5]
	global_load_dwordx2 v[8:9], v[8:9], off
	s_waitcnt vmcnt(0)
	ds_write_b64 v1, v[8:9] offset:2112
.LBB115_17:
	s_or_b64 exec, exec, s[4:5]
	v_add_u32_e32 v3, 16, v10
	v_cmp_le_i32_e32 vcc, s16, v3
	s_and_saveexec_b64 s[4:5], vcc
	s_xor_b64 s[4:5], exec, s[4:5]
; %bb.18:
	v_mov_b32_e32 v8, 0
	v_mov_b32_e32 v9, v8
	ds_write_b64 v1, v[8:9] offset:4224
; %bb.19:
	s_andn2_saveexec_b64 s[4:5], s[4:5]
	s_cbranch_execz .LBB115_21
; %bb.20:
	s_lshl_b32 s6, s22, 4
	s_ashr_i32 s7, s6, 31
	v_lshl_add_u64 v[8:9], s[6:7], 3, v[4:5]
	global_load_dwordx2 v[8:9], v[8:9], off
	s_waitcnt vmcnt(0)
	ds_write_b64 v1, v[8:9] offset:4224
.LBB115_21:
	s_or_b64 exec, exec, s[4:5]
	v_add_u32_e32 v3, 24, v10
	v_cmp_le_i32_e32 vcc, s16, v3
	s_and_saveexec_b64 s[4:5], vcc
	s_xor_b64 s[4:5], exec, s[4:5]
; %bb.22:
	v_mov_b32_e32 v8, 0
	v_mov_b32_e32 v9, v8
	ds_write_b64 v1, v[8:9] offset:6336
                                        ; implicit-def: $vgpr1
; %bb.23:
	s_andn2_saveexec_b64 s[4:5], s[4:5]
	s_cbranch_execz .LBB115_25
; %bb.24:
	s_mul_i32 s6, s22, 24
	s_ashr_i32 s7, s6, 31
	v_lshl_add_u64 v[8:9], s[6:7], 3, v[4:5]
	global_load_dwordx2 v[8:9], v[8:9], off
	s_waitcnt vmcnt(0)
	ds_write_b64 v1, v[8:9] offset:6336
.LBB115_25:
	s_or_b64 exec, exec, s[4:5]
	v_mov_b32_e32 v1, 0
	v_lshl_add_u64 v[4:5], v[4:5], 0, v[0:1]
	s_lshl_b64 s[4:5], s[16:17], 3
	v_mov_b32_e32 v1, s5
	v_subrev_co_u32_e32 v4, vcc, s4, v4
	s_nop 1
	v_subb_co_u32_e32 v5, vcc, v5, v1, vcc
	v_lshl_add_u64 v[4:5], v[4:5], 0, 8
	v_cndmask_b32_e64 v5, v5, v7, s[0:1]
	v_cndmask_b32_e64 v4, v4, v6, s[0:1]
	s_branch .LBB115_28
.LBB115_26:
                                        ; implicit-def: $vgpr4_vgpr5
	s_cbranch_execz .LBB115_28
; %bb.27:
	s_lshl_b32 s0, s22, 3
	s_ashr_i32 s1, s0, 31
	s_ashr_i32 s23, s22, 31
	v_lshl_add_u64 v[4:5], s[0:1], 3, v[6:7]
	s_lshl_b64 s[0:1], s[22:23], 6
	v_lshl_add_u64 v[8:9], v[4:5], 0, s[0:1]
	v_lshl_add_u64 v[16:17], v[8:9], 0, s[0:1]
	global_load_dwordx2 v[18:19], v[6:7], off
	global_load_dwordx2 v[20:21], v[4:5], off
	;; [unrolled: 1-line block ×4, first 2 shown]
	v_mul_u32_u24_e32 v1, 0x108, v10
	v_lshl_add_u32 v1, v2, 3, v1
	v_mov_b64_e32 v[4:5], v[6:7]
	s_waitcnt vmcnt(3)
	ds_write_b64 v1, v[18:19]
	s_waitcnt vmcnt(2)
	ds_write_b64 v1, v[20:21] offset:2112
	s_waitcnt vmcnt(1)
	ds_write_b64 v1, v[24:25] offset:4224
	;; [unrolled: 2-line block ×3, first 2 shown]
.LBB115_28:
	v_lshlrev_b32_e32 v3, 2, v10
	v_lshl_or_b32 v1, v2, 8, v0
	v_cmp_gt_u32_e64 s[4:5], v3, v2
	v_lshl_add_u32 v1, v3, 3, v1
	s_waitcnt lgkmcnt(0)
	s_barrier
	s_and_saveexec_b64 s[0:1], s[4:5]
	s_cbranch_execz .LBB115_30
; %bb.29:
	s_movk_i32 s6, 0x420
	v_mad_u32_u24 v6, v10, s6, v0
	ds_read_b64 v[6:7], v6
	s_waitcnt lgkmcnt(0)
	ds_write_b64 v1, v[6:7]
.LBB115_30:
	s_or_b64 exec, exec, s[0:1]
	v_or_b32_e32 v11, 1, v3
	v_cmp_ge_u32_e64 s[6:7], v3, v2
	s_and_saveexec_b64 s[0:1], s[6:7]
	s_cbranch_execz .LBB115_32
; %bb.31:
	s_movk_i32 s8, 0x108
	v_mad_u32_u24 v6, v11, s8, v0
	ds_read_b64 v[6:7], v6
	s_waitcnt lgkmcnt(0)
	ds_write_b64 v1, v[6:7] offset:8
.LBB115_32:
	s_or_b64 exec, exec, s[0:1]
	v_or_b32_e32 v6, 2, v3
	v_cmp_gt_u32_e64 s[8:9], v6, v2
	s_and_saveexec_b64 s[0:1], s[8:9]
	s_cbranch_execz .LBB115_34
; %bb.33:
	s_movk_i32 s10, 0x108
	v_mad_u32_u24 v6, v6, s10, v0
	ds_read_b64 v[6:7], v6
	s_waitcnt lgkmcnt(0)
	ds_write_b64 v1, v[6:7] offset:16
.LBB115_34:
	s_or_b64 exec, exec, s[0:1]
	v_or_b32_e32 v7, 3, v3
	v_cmp_gt_u32_e64 s[10:11], v7, v2
	v_cmp_le_u32_e32 vcc, v7, v2
                                        ; implicit-def: $vgpr6
	s_and_saveexec_b64 s[0:1], vcc
	s_xor_b64 s[0:1], exec, s[0:1]
; %bb.35:
	v_mul_u32_u24_e32 v6, 0x108, v7
                                        ; implicit-def: $vgpr7
                                        ; implicit-def: $vgpr1
; %bb.36:
	s_andn2_saveexec_b64 s[0:1], s[0:1]
	s_cbranch_execz .LBB115_38
; %bb.37:
	s_movk_i32 s14, 0x108
	v_mad_u32_u24 v6, v7, s14, v0
	ds_read_b64 v[8:9], v6
	v_mul_u32_u24_e32 v6, 0x108, v7
	s_waitcnt lgkmcnt(0)
	ds_write_b64 v1, v[8:9] offset:24
.LBB115_38:
	s_or_b64 exec, exec, s[0:1]
	s_movk_i32 s0, 0x420
	v_mad_u32_u24 v1, v10, s0, v0
	s_movk_i32 s0, 0x108
	v_mad_u32_u24 v7, v11, s0, v0
	s_waitcnt lgkmcnt(0)
	s_barrier
	v_lshlrev_b32_e32 v16, 3, v3
	ds_read2_b64 v[26:29], v7 offset1:33
	v_add_u32_e32 v18, v0, v6
	ds_read_b64 v[20:21], v1
	ds_read_b128 v[6:9], v16 offset:9088
	ds_read_b64 v[34:35], v18
	ds_read_b128 v[30:33], v16 offset:9104
	v_mul_u32_u24_e32 v17, 33, v2
	v_lshlrev_b32_e32 v23, 3, v17
	v_mov_b32_e32 v52, 0
	s_waitcnt lgkmcnt(2)
	v_pk_mul_f32 v[36:37], v[6:7], v[20:21] op_sel:[1,1] op_sel_hi:[0,1]
	v_pk_fma_f32 v[38:39], v[6:7], v[20:21], v[36:37] neg_lo:[0,0,1] neg_hi:[0,0,1]
	v_pk_fma_f32 v[6:7], v[6:7], v[20:21], v[36:37] op_sel_hi:[1,0,1]
	v_pk_mul_f32 v[20:21], v[8:9], v[26:27] op_sel:[1,1] op_sel_hi:[0,1]
	v_pk_fma_f32 v[36:37], v[8:9], v[26:27], v[20:21] neg_lo:[0,0,1] neg_hi:[0,0,1]
	v_pk_fma_f32 v[8:9], v[8:9], v[26:27], v[20:21] op_sel_hi:[1,0,1]
	v_mov_b32_e32 v39, v7
	v_mov_b32_e32 v37, v9
	s_waitcnt lgkmcnt(0)
	v_pk_mul_f32 v[8:9], v[30:31], v[28:29] op_sel:[1,1] op_sel_hi:[0,1]
	v_pk_add_f32 v[6:7], v[38:39], 0 op_sel_hi:[1,0]
	v_pk_fma_f32 v[20:21], v[30:31], v[28:29], v[8:9] neg_lo:[0,0,1] neg_hi:[0,0,1]
	v_pk_fma_f32 v[8:9], v[30:31], v[28:29], v[8:9] op_sel_hi:[1,0,1]
	v_pk_add_f32 v[6:7], v[6:7], v[36:37]
	v_mov_b32_e32 v21, v9
	v_pk_mul_f32 v[8:9], v[32:33], v[34:35] op_sel:[1,1] op_sel_hi:[0,1]
	v_pk_add_f32 v[6:7], v[6:7], v[20:21]
	v_pk_fma_f32 v[20:21], v[32:33], v[34:35], v[8:9] neg_lo:[0,0,1] neg_hi:[0,0,1]
	v_pk_fma_f32 v[8:9], v[32:33], v[34:35], v[8:9] op_sel_hi:[1,0,1]
	v_lshl_add_u32 v24, v10, 3, v23
	v_mov_b32_e32 v21, v9
	v_mov_b32_e32 v53, v52
	v_pk_add_f32 v[6:7], v[6:7], v[20:21]
	v_cmp_gt_u32_e64 s[0:1], 32, v22
	s_barrier
	ds_write_b64 v24, v[6:7]
	s_waitcnt lgkmcnt(0)
	s_barrier
	s_and_saveexec_b64 s[14:15], s[0:1]
	s_cbranch_execz .LBB115_40
; %bb.39:
	ds_read2_b64 v[6:9], v23 offset1:7
	ds_read2_b64 v[26:29], v23 offset0:1 offset1:2
	ds_read2_b64 v[30:33], v23 offset0:3 offset1:4
	s_waitcnt lgkmcnt(1)
	v_add_f32_e32 v1, v26, v6
	v_add_f32_e32 v6, v27, v7
	;; [unrolled: 1-line block ×4, first 2 shown]
	ds_read2_b64 v[26:29], v23 offset0:5 offset1:6
	s_waitcnt lgkmcnt(1)
	v_add_f32_e32 v1, v1, v30
	v_add_f32_e32 v6, v6, v31
	;; [unrolled: 1-line block ×4, first 2 shown]
	s_waitcnt lgkmcnt(0)
	v_add_f32_e32 v1, v1, v26
	v_add_f32_e32 v7, v6, v27
	;; [unrolled: 1-line block ×4, first 2 shown]
	v_pk_add_f32 v[52:53], v[6:7], v[8:9]
.LBB115_40:
	s_or_b64 exec, exec, s[14:15]
	s_lshl_b32 s26, s22, 5
	s_ashr_i32 s27, s26, 31
	v_lshl_add_u64 v[8:9], s[26:27], 3, v[4:5]
	s_mov_b64 s[14:15], 0x100
	v_lshl_add_u64 v[6:7], v[8:9], 0, s[14:15]
	s_and_b64 vcc, exec, s[28:29]
	s_barrier
	s_cbranch_vccz .LBB115_56
; %bb.41:
	v_sub_co_u32_e32 v4, vcc, v8, v0
	s_ashr_i32 s17, s16, 31
	s_nop 0
	v_subbrev_co_u32_e32 v5, vcc, 0, v9, vcc
	v_or_b32_e32 v1, 32, v2
	v_lshl_add_u64 v[4:5], s[16:17], 3, v[4:5]
	v_mov_b32_e32 v20, 0
	v_lshl_add_u64 v[4:5], v[4:5], 0, -8
	v_cmp_gt_i32_e32 vcc, s16, v1
	s_sub_i32 s23, s16, 32
	v_cmp_gt_i32_e64 s[14:15], s23, v10
	v_cndmask_b32_e32 v5, v5, v7, vcc
	v_cndmask_b32_e32 v4, v4, v6, vcc
	v_mov_b32_e32 v21, v20
	s_and_saveexec_b64 s[30:31], s[14:15]
	s_cbranch_execz .LBB115_43
; %bb.42:
	global_load_dwordx2 v[20:21], v[4:5], off
.LBB115_43:
	s_or_b64 exec, exec, s[30:31]
	s_movk_i32 s14, 0x108
	v_mad_u32_u24 v17, v10, s14, v0
	v_mul_u32_u24_e32 v1, 0x108, v10
	s_waitcnt vmcnt(0)
	ds_write_b64 v17, v[20:21]
	v_add_u32_e32 v17, 8, v10
	v_cmp_le_i32_e64 s[14:15], s23, v17
	v_add_u32_e32 v1, v1, v0
	s_and_saveexec_b64 s[30:31], s[14:15]
	s_xor_b64 s[14:15], exec, s[30:31]
; %bb.44:
	v_mov_b32_e32 v20, 0
	v_mov_b32_e32 v21, v20
	ds_write_b64 v1, v[20:21] offset:2112
; %bb.45:
	s_andn2_saveexec_b64 s[14:15], s[14:15]
	s_cbranch_execz .LBB115_47
; %bb.46:
	s_lshl_b32 s30, s22, 3
	s_ashr_i32 s31, s30, 31
	v_lshl_add_u64 v[20:21], s[30:31], 3, v[4:5]
	global_load_dwordx2 v[20:21], v[20:21], off
	s_waitcnt vmcnt(0)
	ds_write_b64 v1, v[20:21] offset:2112
.LBB115_47:
	s_or_b64 exec, exec, s[14:15]
	v_add_u32_e32 v17, 16, v10
	v_cmp_le_i32_e64 s[14:15], s23, v17
	s_and_saveexec_b64 s[30:31], s[14:15]
	s_xor_b64 s[14:15], exec, s[30:31]
; %bb.48:
	v_mov_b32_e32 v20, 0
	v_mov_b32_e32 v21, v20
	ds_write_b64 v1, v[20:21] offset:4224
; %bb.49:
	s_andn2_saveexec_b64 s[14:15], s[14:15]
	s_cbranch_execz .LBB115_51
; %bb.50:
	s_lshl_b32 s30, s22, 4
	s_ashr_i32 s31, s30, 31
	v_lshl_add_u64 v[20:21], s[30:31], 3, v[4:5]
	global_load_dwordx2 v[20:21], v[20:21], off
	s_waitcnt vmcnt(0)
	ds_write_b64 v1, v[20:21] offset:4224
.LBB115_51:
	s_or_b64 exec, exec, s[14:15]
	v_add_u32_e32 v17, 24, v10
	v_cmp_le_i32_e64 s[14:15], s23, v17
	s_and_saveexec_b64 s[30:31], s[14:15]
	s_xor_b64 s[14:15], exec, s[30:31]
; %bb.52:
	v_mov_b32_e32 v20, 0
	v_mov_b32_e32 v21, v20
	ds_write_b64 v1, v[20:21] offset:6336
                                        ; implicit-def: $vgpr1
; %bb.53:
	s_andn2_saveexec_b64 s[14:15], s[14:15]
	s_cbranch_execz .LBB115_55
; %bb.54:
	s_mul_i32 s30, s22, 24
	s_ashr_i32 s31, s30, 31
	v_lshl_add_u64 v[20:21], s[30:31], 3, v[4:5]
	global_load_dwordx2 v[20:21], v[20:21], off
	s_waitcnt vmcnt(0)
	ds_write_b64 v1, v[20:21] offset:6336
.LBB115_55:
	s_or_b64 exec, exec, s[14:15]
	v_mov_b32_e32 v1, 0
	v_lshl_add_u64 v[4:5], v[4:5], 0, v[0:1]
	s_lshl_b64 s[14:15], s[16:17], 3
	v_mov_b32_e32 v1, s15
	v_subrev_co_u32_e64 v4, s[14:15], s14, v4
	s_nop 1
	v_subb_co_u32_e64 v5, s[14:15], v5, v1, s[14:15]
	s_mov_b64 s[14:15], 0x108
	s_nop 0
	v_lshl_add_u64 v[4:5], v[4:5], 0, s[14:15]
	v_cndmask_b32_e32 v5, v5, v7, vcc
	v_cndmask_b32_e32 v4, v4, v6, vcc
	v_mul_u32_u24_e32 v1, 0x420, v10
	s_branch .LBB115_58
.LBB115_56:
                                        ; implicit-def: $vgpr4_vgpr5
	v_mul_u32_u24_e32 v1, 0x420, v10
	s_cbranch_execz .LBB115_58
; %bb.57:
	s_lshl_b32 s14, s22, 3
	s_ashr_i32 s15, s14, 31
	s_ashr_i32 s23, s22, 31
	v_lshl_add_u64 v[4:5], s[14:15], 3, v[8:9]
	s_lshl_b64 s[14:15], s[22:23], 6
	v_lshl_add_u64 v[20:21], v[4:5], 0, s[14:15]
	v_lshl_add_u64 v[26:27], v[20:21], 0, s[14:15]
	global_load_dwordx2 v[28:29], v[8:9], off offset:256
	global_load_dwordx2 v[30:31], v[4:5], off offset:256
	;; [unrolled: 1-line block ×4, first 2 shown]
	s_movk_i32 s14, 0x108
	v_mad_u32_u24 v4, v10, s14, v0
	s_waitcnt vmcnt(3)
	ds_write_b64 v4, v[28:29]
	s_waitcnt vmcnt(2)
	ds_write_b64 v4, v[30:31] offset:2112
	s_waitcnt vmcnt(1)
	ds_write_b64 v4, v[32:33] offset:4224
	;; [unrolled: 2-line block ×3, first 2 shown]
	v_mov_b64_e32 v[4:5], v[6:7]
.LBB115_58:
	v_mul_u32_u24_e32 v6, 0x108, v11
	v_add_u32_e32 v8, v0, v1
	v_lshl_add_u32 v1, v3, 3, v23
	s_waitcnt lgkmcnt(0)
	s_barrier
	s_and_saveexec_b64 s[14:15], s[4:5]
	s_cbranch_execnz .LBB115_81
; %bb.59:
	s_or_b64 exec, exec, s[14:15]
	v_add_u32_e32 v9, v0, v6
	s_and_saveexec_b64 s[4:5], s[6:7]
	s_cbranch_execnz .LBB115_82
.LBB115_60:
	s_or_b64 exec, exec, s[4:5]
	s_and_saveexec_b64 s[4:5], s[8:9]
	s_cbranch_execnz .LBB115_83
.LBB115_61:
	s_or_b64 exec, exec, s[4:5]
	v_add_u32_e32 v19, 0x2380, v16
	s_and_saveexec_b64 s[4:5], s[10:11]
	s_cbranch_execz .LBB115_63
.LBB115_62:
	ds_read_b64 v[6:7], v18
	s_waitcnt lgkmcnt(0)
	ds_write_b64 v1, v[6:7] offset:24
.LBB115_63:
	s_or_b64 exec, exec, s[4:5]
	s_waitcnt lgkmcnt(0)
	s_barrier
	ds_read_b64 v[6:7], v8
	ds_read_b128 v[26:29], v19 offset:256
	ds_read2_b64 v[30:33], v9 offset1:33
	ds_read_b64 v[16:17], v18
	ds_read_b128 v[34:37], v19 offset:272
	v_cmp_eq_u32_e64 s[4:5], 1, v10
	s_waitcnt lgkmcnt(3)
	v_pk_mul_f32 v[20:21], v[26:27], v[6:7] op_sel:[1,1] op_sel_hi:[0,1]
	v_pk_fma_f32 v[38:39], v[26:27], v[6:7], v[20:21] neg_lo:[0,0,1] neg_hi:[0,0,1]
	v_pk_fma_f32 v[6:7], v[26:27], v[6:7], v[20:21] op_sel_hi:[1,0,1]
	s_waitcnt lgkmcnt(2)
	v_pk_mul_f32 v[20:21], v[28:29], v[30:31] op_sel:[1,1] op_sel_hi:[0,1]
	v_mov_b32_e32 v39, v7
	v_pk_fma_f32 v[26:27], v[28:29], v[30:31], v[20:21] neg_lo:[0,0,1] neg_hi:[0,0,1]
	v_pk_fma_f32 v[20:21], v[28:29], v[30:31], v[20:21] op_sel_hi:[1,0,1]
	v_pk_add_f32 v[6:7], v[38:39], 0 op_sel_hi:[1,0]
	v_mov_b32_e32 v27, v21
	s_waitcnt lgkmcnt(0)
	v_pk_mul_f32 v[20:21], v[34:35], v[32:33] op_sel:[1,1] op_sel_hi:[0,1]
	v_pk_add_f32 v[6:7], v[6:7], v[26:27]
	v_pk_fma_f32 v[26:27], v[34:35], v[32:33], v[20:21] neg_lo:[0,0,1] neg_hi:[0,0,1]
	v_pk_fma_f32 v[20:21], v[34:35], v[32:33], v[20:21] op_sel_hi:[1,0,1]
	s_nop 0
	v_mov_b32_e32 v27, v21
	v_pk_mul_f32 v[20:21], v[36:37], v[16:17] op_sel:[1,1] op_sel_hi:[0,1]
	v_pk_add_f32 v[6:7], v[6:7], v[26:27]
	v_pk_fma_f32 v[26:27], v[36:37], v[16:17], v[20:21] neg_lo:[0,0,1] neg_hi:[0,0,1]
	v_pk_fma_f32 v[16:17], v[36:37], v[16:17], v[20:21] op_sel_hi:[1,0,1]
	s_barrier
	v_mov_b32_e32 v27, v17
	v_pk_add_f32 v[6:7], v[6:7], v[26:27]
	ds_write_b64 v24, v[6:7]
	s_waitcnt lgkmcnt(0)
	s_barrier
	s_and_saveexec_b64 s[6:7], s[4:5]
	s_cbranch_execz .LBB115_65
; %bb.64:
	ds_read2_b64 v[26:29], v23 offset1:7
	ds_read2_b64 v[30:33], v23 offset0:1 offset1:2
	ds_read2_b64 v[34:37], v23 offset0:3 offset1:4
	s_waitcnt lgkmcnt(1)
	v_add_f32_e32 v1, v30, v26
	v_add_f32_e32 v3, v31, v27
	;; [unrolled: 1-line block ×4, first 2 shown]
	ds_read2_b64 v[30:33], v23 offset0:5 offset1:6
	s_waitcnt lgkmcnt(1)
	v_add_f32_e32 v1, v1, v34
	v_add_f32_e32 v3, v3, v35
	;; [unrolled: 1-line block ×4, first 2 shown]
	s_waitcnt lgkmcnt(0)
	v_add_f32_e32 v6, v1, v30
	v_add_f32_e32 v7, v3, v31
	v_pk_add_f32 v[6:7], v[6:7], v[32:33]
	s_nop 0
	v_pk_add_f32 v[52:53], v[6:7], v[28:29]
.LBB115_65:
	s_or_b64 exec, exec, s[6:7]
	s_movk_i32 s6, 0xff00
	s_mov_b32 s7, -1
	v_lshl_add_u64 v[6:7], v[4:5], 0, s[6:7]
	s_and_b64 vcc, exec, s[28:29]
	s_barrier
	s_cbranch_vccz .LBB115_84
; %bb.66:
	v_sub_co_u32_e32 v20, vcc, v4, v0
	s_ashr_i32 s17, s16, 31
	s_nop 0
	v_subbrev_co_u32_e32 v21, vcc, 0, v5, vcc
	s_movk_i32 s6, 0xfef8
	v_lshl_add_u64 v[20:21], s[16:17], 3, v[20:21]
	s_mov_b32 s7, -1
	v_mov_b32_e32 v16, 0
	v_lshl_add_u64 v[20:21], v[20:21], 0, s[6:7]
	v_cmp_gt_i32_e32 vcc, s16, v2
	s_sub_i32 s10, s16, 32
	v_cmp_gt_i32_e64 s[6:7], s10, v10
	v_cndmask_b32_e32 v3, v21, v7, vcc
	v_cndmask_b32_e32 v2, v20, v6, vcc
	v_mov_b32_e32 v17, v16
	s_and_saveexec_b64 s[8:9], s[6:7]
	s_cbranch_execz .LBB115_68
; %bb.67:
	global_load_dwordx2 v[16:17], v[2:3], off
.LBB115_68:
	s_or_b64 exec, exec, s[8:9]
	s_movk_i32 s6, 0x108
	v_mad_u32_u24 v11, v10, s6, v0
	v_mul_u32_u24_e32 v1, 0x108, v10
	s_waitcnt vmcnt(0)
	ds_write_b64 v11, v[16:17]
	v_add_u32_e32 v11, 8, v10
	v_cmp_le_i32_e64 s[6:7], s10, v11
	v_add_u32_e32 v1, v1, v0
	s_and_saveexec_b64 s[8:9], s[6:7]
	s_xor_b64 s[6:7], exec, s[8:9]
; %bb.69:
	v_mov_b32_e32 v16, 0
	v_mov_b32_e32 v17, v16
	ds_write_b64 v1, v[16:17] offset:2112
; %bb.70:
	s_andn2_saveexec_b64 s[6:7], s[6:7]
	s_cbranch_execz .LBB115_72
; %bb.71:
	s_lshl_b32 s8, s22, 3
	s_ashr_i32 s9, s8, 31
	v_lshl_add_u64 v[16:17], s[8:9], 3, v[2:3]
	global_load_dwordx2 v[16:17], v[16:17], off
	s_waitcnt vmcnt(0)
	ds_write_b64 v1, v[16:17] offset:2112
.LBB115_72:
	s_or_b64 exec, exec, s[6:7]
	v_add_u32_e32 v20, 16, v10
	v_cmp_le_i32_e64 s[6:7], s10, v20
	s_and_saveexec_b64 s[8:9], s[6:7]
	s_xor_b64 s[6:7], exec, s[8:9]
; %bb.73:
	v_mov_b32_e32 v16, 0
	v_mov_b32_e32 v17, v16
	ds_write_b64 v1, v[16:17] offset:4224
; %bb.74:
	s_andn2_saveexec_b64 s[6:7], s[6:7]
	s_cbranch_execz .LBB115_76
; %bb.75:
	s_lshl_b32 s8, s22, 4
	s_ashr_i32 s9, s8, 31
	v_lshl_add_u64 v[16:17], s[8:9], 3, v[2:3]
	global_load_dwordx2 v[16:17], v[16:17], off
	s_waitcnt vmcnt(0)
	ds_write_b64 v1, v[16:17] offset:4224
.LBB115_76:
	s_or_b64 exec, exec, s[6:7]
	v_add_u32_e32 v21, 24, v10
	v_cmp_le_i32_e64 s[6:7], s10, v21
	s_and_saveexec_b64 s[8:9], s[6:7]
	s_xor_b64 s[6:7], exec, s[8:9]
; %bb.77:
	v_mov_b32_e32 v16, 0
	v_mov_b32_e32 v17, v16
	ds_write_b64 v1, v[16:17] offset:6336
                                        ; implicit-def: $vgpr1
; %bb.78:
	s_andn2_saveexec_b64 s[6:7], s[6:7]
	s_cbranch_execz .LBB115_80
; %bb.79:
	s_mul_i32 s8, s22, 24
	s_ashr_i32 s9, s8, 31
	v_lshl_add_u64 v[16:17], s[8:9], 3, v[2:3]
	global_load_dwordx2 v[16:17], v[16:17], off
	s_waitcnt vmcnt(0)
	ds_write_b64 v1, v[16:17] offset:6336
.LBB115_80:
	s_or_b64 exec, exec, s[6:7]
	v_mov_b32_e32 v1, 0
	v_lshl_add_u64 v[2:3], v[2:3], 0, v[0:1]
	s_lshl_b64 s[6:7], s[16:17], 3
	v_mov_b32_e32 v1, s7
	v_subrev_co_u32_e64 v2, s[6:7], s6, v2
	s_nop 1
	v_subb_co_u32_e64 v3, s[6:7], v3, v1, s[6:7]
	v_lshl_add_u64 v[2:3], v[2:3], 0, 8
	v_cndmask_b32_e32 v17, v3, v7, vcc
	v_cndmask_b32_e32 v16, v2, v6, vcc
	s_branch .LBB115_86
.LBB115_81:
	ds_read_b64 v[20:21], v8
	s_waitcnt lgkmcnt(0)
	ds_write_b64 v1, v[20:21]
	s_or_b64 exec, exec, s[14:15]
	v_add_u32_e32 v9, v0, v6
	s_and_saveexec_b64 s[4:5], s[6:7]
	s_cbranch_execz .LBB115_60
.LBB115_82:
	ds_read_b64 v[6:7], v9
	s_waitcnt lgkmcnt(0)
	ds_write_b64 v1, v[6:7] offset:8
	s_or_b64 exec, exec, s[4:5]
	s_and_saveexec_b64 s[4:5], s[8:9]
	s_cbranch_execz .LBB115_61
.LBB115_83:
	ds_read_b64 v[6:7], v9 offset:264
	s_waitcnt lgkmcnt(0)
	ds_write_b64 v1, v[6:7] offset:16
	s_or_b64 exec, exec, s[4:5]
	v_add_u32_e32 v19, 0x2380, v16
	s_and_saveexec_b64 s[4:5], s[10:11]
	s_cbranch_execnz .LBB115_62
	s_branch .LBB115_63
.LBB115_84:
                                        ; implicit-def: $vgpr16_vgpr17
                                        ; implicit-def: $vgpr11
                                        ; implicit-def: $vgpr20
                                        ; implicit-def: $vgpr21
	s_cbranch_execz .LBB115_86
; %bb.85:
	s_lshl_b32 s6, s22, 3
	s_ashr_i32 s7, s6, 31
	s_ashr_i32 s23, s22, 31
	v_lshl_add_u64 v[2:3], s[6:7], 3, v[4:5]
	s_lshl_b64 s[6:7], s[22:23], 6
	v_lshl_add_u64 v[16:17], v[2:3], 0, s[6:7]
	v_lshl_add_u64 v[20:21], v[16:17], 0, s[6:7]
	global_load_dwordx2 v[26:27], v[4:5], off offset:-256
	global_load_dwordx2 v[28:29], v[2:3], off offset:-256
	;; [unrolled: 1-line block ×4, first 2 shown]
	s_movk_i32 s6, 0x108
	v_add_u32_e32 v11, 8, v10
	v_add_u32_e32 v20, 16, v10
	;; [unrolled: 1-line block ×3, first 2 shown]
	v_mad_u32_u24 v0, v10, s6, v0
	v_mov_b64_e32 v[16:17], v[6:7]
	s_waitcnt vmcnt(3)
	ds_write_b64 v0, v[26:27]
	s_waitcnt vmcnt(2)
	ds_write_b64 v0, v[28:29] offset:2112
	s_waitcnt vmcnt(1)
	ds_write_b64 v0, v[30:31] offset:4224
	;; [unrolled: 2-line block ×3, first 2 shown]
.LBB115_86:
	v_lshlrev_b32_e32 v25, 3, v10
	v_lshlrev_b32_e32 v30, 3, v11
	;; [unrolled: 1-line block ×4, first 2 shown]
	v_add_u32_e32 v28, v23, v25
	v_add_u32_e32 v34, v23, v30
	;; [unrolled: 1-line block ×4, first 2 shown]
	s_waitcnt lgkmcnt(0)
	s_barrier
	ds_read_b64 v[26:27], v0
	ds_read_b64 v[20:21], v8
	ds_read2_b64 v[4:7], v9 offset1:33
	ds_read_b128 v[8:11], v19 offset:256
	ds_read_b128 v[0:3], v19 offset:272
	ds_read_b64 v[28:29], v28
	ds_read_b64 v[18:19], v18
	ds_read_b64 v[30:31], v30 offset:9088
	ds_read_b64 v[32:33], v25 offset:9088
	ds_read_b64 v[34:35], v34
	ds_read_b64 v[36:37], v36
	ds_read_b64 v[38:39], v38 offset:9088
	ds_read_b64 v[40:41], v40 offset:9088
	s_waitcnt lgkmcnt(4)
	v_pk_mul_f32 v[42:43], v[32:33], v[28:29] op_sel:[1,1] op_sel_hi:[0,1]
	v_pk_fma_f32 v[44:45], v[32:33], v[28:29], v[42:43] neg_lo:[0,0,1] neg_hi:[0,0,1]
	v_pk_fma_f32 v[28:29], v[32:33], v[28:29], v[42:43] op_sel_hi:[1,0,1]
	s_waitcnt lgkmcnt(3)
	v_pk_mul_f32 v[32:33], v[30:31], v[34:35] op_sel:[1,1] op_sel_hi:[0,1]
	v_pk_fma_f32 v[42:43], v[30:31], v[34:35], v[32:33] neg_lo:[0,0,1] neg_hi:[0,0,1]
	v_pk_fma_f32 v[30:31], v[30:31], v[34:35], v[32:33] op_sel_hi:[1,0,1]
	v_mov_b32_e32 v45, v29
	v_mov_b32_e32 v43, v31
	s_waitcnt lgkmcnt(0)
	v_pk_mul_f32 v[30:31], v[40:41], v[36:37] op_sel:[1,1] op_sel_hi:[0,1]
	v_pk_add_f32 v[28:29], v[44:45], 0 op_sel_hi:[1,0]
	v_pk_fma_f32 v[32:33], v[40:41], v[36:37], v[30:31] neg_lo:[0,0,1] neg_hi:[0,0,1]
	v_pk_fma_f32 v[30:31], v[40:41], v[36:37], v[30:31] op_sel_hi:[1,0,1]
	v_pk_add_f32 v[28:29], v[28:29], v[42:43]
	v_mov_b32_e32 v33, v31
	v_pk_mul_f32 v[30:31], v[38:39], v[26:27] op_sel:[1,1] op_sel_hi:[0,1]
	v_pk_add_f32 v[28:29], v[28:29], v[32:33]
	v_pk_fma_f32 v[32:33], v[38:39], v[26:27], v[30:31] neg_lo:[0,0,1] neg_hi:[0,0,1]
	v_pk_fma_f32 v[26:27], v[38:39], v[26:27], v[30:31] op_sel_hi:[1,0,1]
	s_nop 0
	v_mov_b32_e32 v33, v27
	v_pk_add_f32 v[26:27], v[28:29], v[32:33]
	s_barrier
	ds_write_b64 v24, v[26:27]
	s_waitcnt lgkmcnt(0)
	s_barrier
	s_and_saveexec_b64 s[6:7], s[4:5]
	s_cbranch_execz .LBB115_88
; %bb.87:
	ds_read2_b64 v[26:29], v23 offset1:1
	ds_read2_b64 v[30:33], v23 offset0:2 offset1:3
	ds_read2_b64 v[34:37], v23 offset0:4 offset1:5
	s_waitcnt lgkmcnt(2)
	v_pk_add_f32 v[26:27], v[52:53], v[26:27]
	s_nop 0
	v_pk_add_f32 v[38:39], v[26:27], v[28:29]
	ds_read2_b64 v[26:29], v23 offset0:6 offset1:7
	s_waitcnt lgkmcnt(2)
	v_pk_add_f32 v[30:31], v[38:39], v[30:31]
	s_nop 0
	v_pk_add_f32 v[30:31], v[30:31], v[32:33]
	s_waitcnt lgkmcnt(1)
	v_pk_add_f32 v[30:31], v[30:31], v[34:35]
	s_nop 0
	v_pk_add_f32 v[30:31], v[30:31], v[36:37]
	;; [unrolled: 4-line block ×3, first 2 shown]
.LBB115_88:
	s_or_b64 exec, exec, s[6:7]
	v_pk_mul_f32 v[26:27], v[8:9], v[20:21] op_sel:[1,1] op_sel_hi:[0,1]
	v_pk_fma_f32 v[28:29], v[8:9], v[20:21], v[26:27] neg_lo:[0,0,1] neg_hi:[0,0,1]
	v_pk_fma_f32 v[8:9], v[8:9], v[20:21], v[26:27] op_sel_hi:[1,0,1]
	v_pk_mul_f32 v[20:21], v[10:11], v[4:5] op_sel:[1,1] op_sel_hi:[0,1]
	v_mov_b32_e32 v29, v9
	v_pk_fma_f32 v[26:27], v[10:11], v[4:5], v[20:21] neg_lo:[0,0,1] neg_hi:[0,0,1]
	v_pk_fma_f32 v[4:5], v[10:11], v[4:5], v[20:21] op_sel_hi:[1,0,1]
	v_pk_add_f32 v[8:9], v[28:29], 0 op_sel_hi:[1,0]
	v_mov_b32_e32 v27, v5
	v_pk_add_f32 v[4:5], v[8:9], v[26:27]
	v_pk_mul_f32 v[8:9], v[0:1], v[6:7] op_sel:[1,1] op_sel_hi:[0,1]
	v_pk_fma_f32 v[10:11], v[0:1], v[6:7], v[8:9] neg_lo:[0,0,1] neg_hi:[0,0,1]
	v_pk_fma_f32 v[0:1], v[0:1], v[6:7], v[8:9] op_sel_hi:[1,0,1]
	s_nop 0
	v_mov_b32_e32 v11, v1
	v_pk_add_f32 v[0:1], v[4:5], v[10:11]
	v_pk_mul_f32 v[4:5], v[2:3], v[18:19] op_sel:[1,1] op_sel_hi:[0,1]
	v_pk_fma_f32 v[6:7], v[2:3], v[18:19], v[4:5] neg_lo:[0,0,1] neg_hi:[0,0,1]
	v_pk_fma_f32 v[2:3], v[2:3], v[18:19], v[4:5] op_sel_hi:[1,0,1]
	s_barrier
	v_mov_b32_e32 v7, v3
	v_pk_add_f32 v[0:1], v[0:1], v[6:7]
	ds_write_b64 v24, v[0:1]
	s_waitcnt lgkmcnt(0)
	s_barrier
	s_and_saveexec_b64 s[4:5], s[0:1]
	s_cbranch_execz .LBB115_90
; %bb.89:
	ds_read2_b64 v[0:3], v23 offset1:1
	ds_read2_b64 v[4:7], v23 offset0:2 offset1:3
	ds_read2_b64 v[8:11], v23 offset0:4 offset1:5
	s_waitcnt lgkmcnt(2)
	v_pk_add_f32 v[0:1], v[52:53], v[0:1]
	s_nop 0
	v_pk_add_f32 v[18:19], v[0:1], v[2:3]
	ds_read2_b64 v[0:3], v23 offset0:6 offset1:7
	s_waitcnt lgkmcnt(2)
	v_pk_add_f32 v[4:5], v[18:19], v[4:5]
	s_nop 0
	v_pk_add_f32 v[4:5], v[4:5], v[6:7]
	s_waitcnt lgkmcnt(1)
	v_pk_add_f32 v[4:5], v[4:5], v[8:9]
	s_nop 0
	v_pk_add_f32 v[4:5], v[4:5], v[10:11]
	;; [unrolled: 4-line block ×3, first 2 shown]
.LBB115_90:
	s_or_b64 exec, exec, s[4:5]
	s_mul_hi_u32 s0, s36, s3
	s_mul_i32 s37, s37, s3
	s_add_i32 s0, s0, s37
	s_mul_i32 s3, s36, s3
	s_mul_i32 s0, s0, s33
	s_mul_hi_u32 s1, s3, s33
	s_add_i32 s1, s1, s0
	s_mul_i32 s0, s3, s33
	s_lshl_b64 s[0:1], s[0:1], 3
	s_add_u32 s3, s18, s0
	s_addc_u32 s4, s19, s1
	s_mul_hi_i32 s1, s36, s2
	s_mul_i32 s0, s36, s2
	s_lshl_b64 s[0:1], s[0:1], 3
	s_add_u32 s6, s3, s0
	s_addc_u32 s7, s4, s1
	s_add_i32 s8, s2, 1
	s_cmp_ge_u32 s8, s33
	v_lshlrev_b32_e32 v51, 3, v50
	s_barrier
	s_cbranch_scc1 .LBB115_148
; %bb.91:
	s_mul_i32 s0, s35, s24
	s_ashr_i32 s1, s0, 31
	s_lshl_b32 s4, s22, 4
	s_lshl_b64 s[0:1], s[0:1], 3
	v_lshrrev_b32_e32 v2, 4, v22
	s_lshl_b32 s17, s35, 6
	v_mov_b32_e32 v3, 0x2180
	s_ashr_i32 s5, s4, 31
	s_ashr_i32 s23, s22, 31
	s_lshl_b32 s18, s22, 1
	s_mul_i32 s24, s22, 3
	s_mul_i32 s35, s35, s8
	v_lshlrev_b32_e32 v132, 2, v49
	v_mov_b32_e32 v0, s1
	v_subrev_co_u32_e32 v54, vcc, s0, v12
	v_and_b32_e32 v6, 15, v50
	s_add_i32 s3, s33, -2
	v_lshl_add_u32 v134, v49, 5, v3
	v_lshlrev_b32_e32 v3, 5, v2
	s_movk_i32 s9, 0x218
	s_ashr_i32 s19, s18, 31
	s_ashr_i32 s25, s24, 31
	s_lshl_b64 s[14:15], s[22:23], 3
	s_lshl_b32 s8, s35, 6
	s_lshl_b64 s[28:29], s[26:27], 3
	s_lshl_b64 s[10:11], s[4:5], 5
	;; [unrolled: 1-line block ×3, first 2 shown]
	v_subb_co_u32_e32 v55, vcc, v13, v0, vcc
	v_mad_u64_u32 v[0:1], s[0:1], s22, v132, v[50:51]
	v_mad_u32_u24 v137, v6, s9, v3
	v_mul_i32_i24_e32 v7, 0xffffffe8, v2
	v_lshlrev_b64 v[2:3], 3, v[14:15]
	s_add_u32 s36, s30, s28
	v_ashrrev_i32_e32 v1, 31, v0
	v_sub_co_u32_e32 v56, vcc, 0, v2
	s_addc_u32 s37, s31, s29
	s_nop 0
	v_subb_co_u32_e32 v57, vcc, 0, v3, vcc
	v_lshlrev_b64 v[2:3], 3, v[0:1]
	s_add_u32 s38, s14, s28
	v_lshl_add_u64 v[4:5], s[28:29], 0, v[2:3]
	s_addc_u32 s39, s15, s29
	s_lshl_b64 s[18:19], s[18:19], 3
	v_lshl_add_u64 v[58:59], v[16:17], 0, v[4:5]
	v_lshl_add_u64 v[4:5], s[36:37], 0, v[2:3]
	s_add_u32 s40, s28, s18
	v_lshl_add_u64 v[60:61], v[16:17], 0, v[4:5]
	v_lshl_add_u64 v[4:5], s[38:39], 0, v[2:3]
	s_addc_u32 s41, s29, s19
	s_lshl_b64 s[24:25], s[24:25], 3
	v_lshl_add_u64 v[62:63], v[16:17], 0, v[4:5]
	v_lshl_add_u64 v[4:5], s[40:41], 0, v[2:3]
	s_add_u32 s40, s28, s24
	s_addc_u32 s41, s29, s25
	v_lshl_add_u64 v[64:65], v[16:17], 0, v[4:5]
	v_lshl_add_u64 v[4:5], s[40:41], 0, v[2:3]
	s_lshl_b64 s[40:41], s[4:5], 3
	s_add_u32 s42, s28, s40
	s_addc_u32 s43, s29, s41
	s_add_u32 s38, s38, s40
	v_lshl_add_u64 v[66:67], v[16:17], 0, v[4:5]
	v_lshl_add_u64 v[4:5], s[42:43], 0, v[2:3]
	s_addc_u32 s39, s39, s41
	v_lshl_add_u64 v[68:69], v[16:17], 0, v[4:5]
	v_lshl_add_u64 v[4:5], s[38:39], 0, v[2:3]
	s_add_u32 s38, s42, s18
	s_addc_u32 s39, s43, s19
	v_lshl_add_u64 v[70:71], v[16:17], 0, v[4:5]
	v_lshl_add_u64 v[4:5], s[38:39], 0, v[2:3]
	s_add_u32 s38, s36, s40
	;; [unrolled: 4-line block ×3, first 2 shown]
	s_addc_u32 s39, s43, s25
	v_lshl_add_u64 v[74:75], v[16:17], 0, v[4:5]
	v_lshl_add_u64 v[4:5], s[38:39], 0, v[2:3]
	s_lshl_b64 s[38:39], s[4:5], 4
	s_add_u32 s28, s38, s28
	s_addc_u32 s29, s39, s29
	s_add_u32 s40, s28, s14
	v_lshl_add_u64 v[76:77], v[16:17], 0, v[4:5]
	v_lshl_add_u64 v[4:5], s[28:29], 0, v[2:3]
	s_addc_u32 s41, s29, s15
	v_lshl_add_u64 v[78:79], v[16:17], 0, v[4:5]
	v_lshl_add_u64 v[4:5], s[40:41], 0, v[2:3]
	s_add_u32 s40, s28, s18
	s_addc_u32 s41, s29, s19
	s_add_u32 s36, s36, s38
	s_addc_u32 s37, s37, s39
	s_add_u32 s28, s28, s24
	v_lshl_add_u64 v[80:81], v[16:17], 0, v[4:5]
	v_lshl_add_u64 v[4:5], s[40:41], 0, v[2:3]
	s_addc_u32 s29, s29, s25
	v_lshl_add_u64 v[0:1], s[26:27], 0, v[0:1]
	v_lshl_add_u64 v[82:83], v[16:17], 0, v[4:5]
	;; [unrolled: 1-line block ×4, first 2 shown]
	v_lshlrev_b64 v[0:1], 3, v[0:1]
	v_lshl_add_u64 v[86:87], v[16:17], 0, v[2:3]
	s_mulk_i32 s22, 0x180
	s_mul_hi_i32 s23, s4, 24
	v_mad_i64_i32 v[2:3], s[4:5], s4, 24, v[0:1]
	s_add_u32 s4, s22, s30
	s_addc_u32 s5, s23, s31
	v_lshl_add_u64 v[0:1], s[4:5], 0, v[0:1]
	v_lshl_add_u64 v[94:95], v[16:17], 0, v[0:1]
	;; [unrolled: 1-line block ×4, first 2 shown]
	v_and_b32_e32 v0, 48, v50
	v_lshl_add_u64 v[84:85], v[16:17], 0, v[4:5]
	v_lshl_add_u64 v[4:5], v[2:3], 0, s[14:15]
	v_lshlrev_b32_e32 v0, 3, v0
	s_movk_i32 s0, 0x860
	v_lshl_add_u64 v[90:91], v[16:17], 0, v[4:5]
	v_lshl_add_u64 v[4:5], v[2:3], 0, s[18:19]
	v_mad_u32_u24 v138, v6, s9, v0
	v_or_b32_e32 v0, 0x78, v51
	v_mov_b32_e32 v156, 0
	v_add_u32_e32 v133, 0x2180, v51
	v_add_u32_e32 v135, 0x2380, v51
	v_mad_u32_u24 v136, v49, s0, v51
	v_cmp_gt_u32_e64 s[0:1], 64, v22
	v_lshl_add_u64 v[88:89], v[16:17], 0, v[2:3]
	v_lshl_add_u64 v[92:93], v[16:17], 0, v[4:5]
	v_mad_u32_u24 v139, v6, s9, v0
	v_or_b32_e32 v140, 1, v132
	v_add_u32_e32 v141, v137, v7
	v_mov_b32_e32 v157, v156
	v_or_b32_e32 v142, 2, v132
	v_or_b32_e32 v143, 3, v132
	v_add_u32_e32 v144, 16, v132
	v_add_u32_e32 v145, 17, v132
	;; [unrolled: 1-line block ×13, first 2 shown]
	s_branch .LBB115_93
.LBB115_92:                             ;   in Loop: Header=BB115_93 Depth=1
	s_or_b64 exec, exec, s[4:5]
	v_mul_f32_e32 v99, v5, v103
	v_fma_f32 v99, v4, v102, -v99
	v_add_f32_e32 v52, v52, v99
	v_mul_f32_e32 v99, v7, v101
	v_mul_f32_e32 v5, v5, v102
	v_fma_f32 v99, v6, v100, -v99
	v_mul_f32_e32 v7, v7, v100
	v_add_f32_e32 v52, v52, v99
	v_mul_f32_e32 v99, v1, v105
	v_fmac_f32_e32 v5, v4, v103
	v_fma_f32 v99, v0, v104, -v99
	v_mul_f32_e32 v1, v1, v104
	v_add_f32_e32 v4, v53, v5
	v_fmac_f32_e32 v7, v6, v101
	v_add_f32_e32 v52, v52, v99
	v_mul_f32_e32 v99, v3, v107
	v_mul_f32_e32 v3, v3, v106
	v_add_f32_e32 v4, v4, v7
	v_fmac_f32_e32 v1, v0, v105
	v_add_f32_e32 v0, v4, v1
	v_fmac_f32_e32 v3, v2, v107
	v_fma_f32 v99, v2, v106, -v99
	v_add_f32_e32 v1, v0, v3
	v_mul_f32_e32 v0, v13, v111
	v_add_f32_e32 v52, v52, v99
	v_fma_f32 v0, v12, v110, -v0
	v_mul_f32_e32 v6, v13, v110
	v_mul_f32_e32 v2, v15, v109
	v_add_f32_e32 v0, v52, v0
	v_fma_f32 v2, v14, v108, -v2
	v_mul_f32_e32 v7, v15, v108
	v_fmac_f32_e32 v6, v12, v111
	v_add_f32_e32 v0, v0, v2
	v_mul_f32_e32 v2, v9, v113
	v_mul_f32_e32 v3, v9, v112
	v_add_f32_e32 v1, v1, v6
	v_fmac_f32_e32 v7, v14, v109
	v_mov_b32_e32 v16, v119
	v_mov_b32_e32 v17, v119
	v_fma_f32 v2, v8, v112, -v2
	v_mul_f32_e32 v4, v11, v115
	v_mul_f32_e32 v5, v11, v114
	v_add_f32_e32 v1, v1, v7
	v_fmac_f32_e32 v3, v8, v113
	v_mov_b32_e32 v119, v118
	v_fma_f32 v4, v10, v114, -v4
	v_pk_add_f32 v[0:1], v[0:1], v[2:3]
	v_fmac_f32_e32 v5, v10, v115
	v_pk_mul_f32 v[2:3], v[28:29], v[16:17]
	v_mov_b32_e32 v18, v117
	v_mov_b32_e32 v19, v117
	v_pk_add_f32 v[0:1], v[0:1], v[4:5]
	v_pk_fma_f32 v[4:5], v[28:29], v[118:119], v[2:3] op_sel:[0,0,1] op_sel_hi:[1,1,0] neg_lo:[0,0,1] neg_hi:[0,0,1]
	v_pk_fma_f32 v[2:3], v[28:29], v[118:119], v[2:3] op_sel:[0,0,1] op_sel_hi:[1,1,0]
	v_mov_b32_e32 v117, v116
	v_mov_b32_e32 v5, v3
	v_pk_mul_f32 v[2:3], v[30:31], v[18:19]
	v_mov_b32_e32 v20, v121
	v_mov_b32_e32 v21, v121
	v_pk_add_f32 v[0:1], v[0:1], v[4:5]
	v_pk_fma_f32 v[4:5], v[30:31], v[116:117], v[2:3] op_sel:[0,0,1] op_sel_hi:[1,1,0] neg_lo:[0,0,1] neg_hi:[0,0,1]
	v_pk_fma_f32 v[2:3], v[30:31], v[116:117], v[2:3] op_sel:[0,0,1] op_sel_hi:[1,1,0]
	v_mov_b32_e32 v121, v120
	v_mov_b32_e32 v5, v3
	;; [unrolled: 8-line block ×5, first 2 shown]
	v_pk_mul_f32 v[2:3], v[38:39], v[42:43]
	v_mov_b32_e32 v44, v129
	v_mov_b32_e32 v45, v129
	v_pk_fma_f32 v[6:7], v[38:39], v[124:125], v[2:3] op_sel:[0,0,1] op_sel_hi:[1,1,0] neg_lo:[0,0,1] neg_hi:[0,0,1]
	v_pk_fma_f32 v[2:3], v[38:39], v[124:125], v[2:3] op_sel:[0,0,1] op_sel_hi:[1,1,0]
	v_mov_b32_e32 v129, v128
	v_mov_b32_e32 v7, v3
	v_pk_mul_f32 v[2:3], v[32:33], v[44:45]
	v_mov_b32_e32 v46, v131
	v_mov_b32_e32 v47, v131
	v_pk_fma_f32 v[8:9], v[32:33], v[128:129], v[2:3] op_sel:[0,0,1] op_sel_hi:[1,1,0] neg_lo:[0,0,1] neg_hi:[0,0,1]
	v_pk_fma_f32 v[2:3], v[32:33], v[128:129], v[2:3] op_sel:[0,0,1] op_sel_hi:[1,1,0]
	v_mov_b32_e32 v131, v130
	v_mov_b32_e32 v9, v3
	v_pk_mul_f32 v[2:3], v[34:35], v[46:47]
	v_pk_add_f32 v[0:1], v[0:1], v[4:5]
	v_pk_fma_f32 v[10:11], v[34:35], v[130:131], v[2:3] op_sel:[0,0,1] op_sel_hi:[1,1,0] neg_lo:[0,0,1] neg_hi:[0,0,1]
	v_pk_fma_f32 v[2:3], v[34:35], v[130:131], v[2:3] op_sel:[0,0,1] op_sel_hi:[1,1,0]
	v_pk_add_f32 v[0:1], v[0:1], v[6:7]
	v_mov_b32_e32 v11, v3
	v_pk_add_f32 v[0:1], v[0:1], v[8:9]
	s_add_i32 s4, s2, 1
	s_add_i32 s8, s8, s17
	;; [unrolled: 1-line block ×3, first 2 shown]
	v_pk_add_f32 v[52:53], v[0:1], v[10:11]
	v_add_u32_e32 v98, 64, v98
	v_lshl_add_u64 v[58:59], v[58:59], 0, s[10:11]
	v_lshl_add_u64 v[60:61], v[60:61], 0, s[10:11]
	;; [unrolled: 1-line block ×20, first 2 shown]
	s_cmp_ge_u32 s2, s33
	s_mov_b32 s2, s4
	s_barrier
	s_cbranch_scc1 .LBB115_148
.LBB115_93:                             ; =>This Inner Loop Header: Depth=1
	s_cmp_eq_u32 s3, s2
	s_cselect_b32 s24, s34, 0
	s_and_saveexec_b64 s[4:5], s[12:13]
	s_cbranch_execz .LBB115_98
; %bb.94:                               ;   in Loop: Header=BB115_93 Depth=1
	s_cmp_lg_u32 s24, 0
	s_cselect_b64 s[14:15], -1, 0
	v_cmp_le_i32_e32 vcc, s24, v50
	s_and_b64 s[14:15], s[14:15], vcc
	s_and_saveexec_b64 s[18:19], s[14:15]
	s_xor_b64 s[14:15], exec, s[18:19]
; %bb.95:                               ;   in Loop: Header=BB115_93 Depth=1
	ds_write_b64 v133, v[156:157]
; %bb.96:                               ;   in Loop: Header=BB115_93 Depth=1
	s_andn2_saveexec_b64 s[14:15], s[14:15]
	s_cbranch_execz .LBB115_98
; %bb.97:                               ;   in Loop: Header=BB115_93 Depth=1
	s_ashr_i32 s9, s8, 31
	v_lshl_add_u64 v[0:1], s[8:9], 3, v[54:55]
	global_load_dwordx2 v[0:1], v[0:1], off
	s_waitcnt vmcnt(0)
	ds_write_b64 v133, v[0:1]
.LBB115_98:                             ;   in Loop: Header=BB115_93 Depth=1
	s_or_b64 exec, exec, s[4:5]
	s_cmp_eq_u32 s24, 0
	s_cselect_b64 s[14:15], -1, 0
	s_cmp_lg_u32 s24, 0
	s_cselect_b64 s[18:19], -1, 0
	v_lshl_add_u64 v[0:1], v[58:59], 0, v[56:57]
	s_and_b64 vcc, exec, s[18:19]
	s_waitcnt lgkmcnt(0)
	s_barrier
	s_cbranch_vccz .LBB115_106
; %bb.99:                               ;   in Loop: Header=BB115_93 Depth=1
	v_cmp_gt_i32_e32 vcc, s24, v132
	v_mov_b64_e32 v[100:101], 0
	v_mov_b64_e32 v[102:103], 0
	s_and_saveexec_b64 s[4:5], vcc
	s_cbranch_execz .LBB115_101
; %bb.100:                              ;   in Loop: Header=BB115_93 Depth=1
	global_load_dwordx2 v[102:103], v[0:1], off
.LBB115_101:                            ;   in Loop: Header=BB115_93 Depth=1
	s_or_b64 exec, exec, s[4:5]
	v_cmp_gt_i32_e32 vcc, s24, v140
	s_and_saveexec_b64 s[4:5], vcc
	s_cbranch_execz .LBB115_103
; %bb.102:                              ;   in Loop: Header=BB115_93 Depth=1
	v_lshl_add_u64 v[2:3], v[62:63], 0, v[56:57]
	global_load_dwordx2 v[100:101], v[2:3], off
.LBB115_103:                            ;   in Loop: Header=BB115_93 Depth=1
	s_or_b64 exec, exec, s[4:5]
	v_cmp_gt_i32_e32 vcc, s24, v142
	v_mov_b64_e32 v[104:105], 0
	s_and_saveexec_b64 s[4:5], vcc
	s_cbranch_execz .LBB115_105
; %bb.104:                              ;   in Loop: Header=BB115_93 Depth=1
	v_lshl_add_u64 v[2:3], v[64:65], 0, v[56:57]
	global_load_dwordx2 v[104:105], v[2:3], off
.LBB115_105:                            ;   in Loop: Header=BB115_93 Depth=1
	s_or_b64 exec, exec, s[4:5]
	v_cmp_gt_i32_e64 s[4:5], s24, v143
	s_branch .LBB115_108
.LBB115_106:                            ;   in Loop: Header=BB115_93 Depth=1
	s_mov_b64 s[4:5], 0
                                        ; implicit-def: $vgpr104_vgpr105
                                        ; implicit-def: $vgpr100_vgpr101
                                        ; implicit-def: $vgpr102_vgpr103
	s_cbranch_execz .LBB115_108
; %bb.107:                              ;   in Loop: Header=BB115_93 Depth=1
	global_load_dwordx2 v[102:103], v[0:1], off
	v_lshl_add_u64 v[0:1], v[62:63], 0, v[56:57]
	global_load_dwordx2 v[100:101], v[0:1], off
	v_lshl_add_u64 v[0:1], v[60:61], 0, v[56:57]
	global_load_dwordx2 v[104:105], v[0:1], off
	s_or_b64 s[4:5], s[4:5], exec
.LBB115_108:                            ;   in Loop: Header=BB115_93 Depth=1
	v_mov_b64_e32 v[106:107], 0
	s_and_saveexec_b64 s[22:23], s[4:5]
	s_cbranch_execz .LBB115_110
; %bb.109:                              ;   in Loop: Header=BB115_93 Depth=1
	v_lshl_add_u64 v[0:1], v[66:67], 0, v[56:57]
	global_load_dwordx2 v[106:107], v[0:1], off
.LBB115_110:                            ;   in Loop: Header=BB115_93 Depth=1
	s_or_b64 exec, exec, s[22:23]
	ds_read_b64 v[8:9], v135
	ds_read_b128 v[4:7], v134
	ds_read_b128 v[0:3], v134 offset:16
	s_andn2_b64 vcc, exec, s[18:19]
	s_waitcnt vmcnt(0) lgkmcnt(2)
	v_pk_mul_f32 v[10:11], v[8:9], v[102:103] op_sel:[1,1] op_sel_hi:[0,1]
	v_pk_mul_f32 v[12:13], v[8:9], v[100:101] op_sel:[1,1] op_sel_hi:[0,1]
	v_pk_fma_f32 v[14:15], v[8:9], v[102:103], v[10:11] neg_lo:[0,0,1] neg_hi:[0,0,1]
	v_pk_fma_f32 v[10:11], v[8:9], v[102:103], v[10:11] op_sel_hi:[1,0,1]
	s_nop 0
	v_mov_b32_e32 v15, v11
	v_pk_fma_f32 v[10:11], v[8:9], v[100:101], v[12:13] neg_lo:[0,0,1] neg_hi:[0,0,1]
	v_pk_fma_f32 v[12:13], v[8:9], v[100:101], v[12:13] op_sel_hi:[1,0,1]
	s_nop 0
	v_mov_b32_e32 v11, v13
	ds_write2_b64 v136, v[14:15], v[10:11] offset1:67
	v_pk_mul_f32 v[10:11], v[8:9], v[104:105] op_sel:[1,1] op_sel_hi:[0,1]
	v_pk_fma_f32 v[12:13], v[8:9], v[104:105], v[10:11] neg_lo:[0,0,1] neg_hi:[0,0,1]
	v_pk_fma_f32 v[10:11], v[8:9], v[104:105], v[10:11] op_sel_hi:[1,0,1]
	s_nop 0
	v_mov_b32_e32 v13, v11
	v_pk_mul_f32 v[10:11], v[8:9], v[106:107] op_sel:[1,1] op_sel_hi:[0,1]
	v_pk_fma_f32 v[14:15], v[8:9], v[106:107], v[10:11] neg_lo:[0,0,1] neg_hi:[0,0,1]
	v_pk_fma_f32 v[8:9], v[8:9], v[106:107], v[10:11] op_sel_hi:[1,0,1]
	s_nop 0
	v_mov_b32_e32 v15, v9
	ds_write2_b64 v136, v[12:13], v[14:15] offset0:134 offset1:201
	s_waitcnt lgkmcnt(0)
	s_barrier
	ds_read2_b64 v[20:23], v137 offset1:1
	ds_read2_b64 v[16:19], v137 offset0:2 offset1:3
	v_cndmask_b32_e64 v8, 0, 1, s[18:19]
	v_cmp_ne_u32_e64 s[4:5], 1, v8
	v_lshl_add_u64 v[8:9], v[68:69], 0, v[56:57]
	s_waitcnt lgkmcnt(0)
	s_barrier
	s_cbranch_vccnz .LBB115_118
; %bb.111:                              ;   in Loop: Header=BB115_93 Depth=1
	v_cmp_gt_i32_e32 vcc, s24, v144
	v_mov_b64_e32 v[108:109], 0
	v_mov_b64_e32 v[110:111], 0
	s_and_saveexec_b64 s[18:19], vcc
	s_cbranch_execz .LBB115_113
; %bb.112:                              ;   in Loop: Header=BB115_93 Depth=1
	global_load_dwordx2 v[110:111], v[8:9], off
.LBB115_113:                            ;   in Loop: Header=BB115_93 Depth=1
	s_or_b64 exec, exec, s[18:19]
	v_cmp_gt_i32_e32 vcc, s24, v145
	s_and_saveexec_b64 s[18:19], vcc
	s_cbranch_execz .LBB115_115
; %bb.114:                              ;   in Loop: Header=BB115_93 Depth=1
	v_lshl_add_u64 v[10:11], v[70:71], 0, v[56:57]
	global_load_dwordx2 v[108:109], v[10:11], off
.LBB115_115:                            ;   in Loop: Header=BB115_93 Depth=1
	s_or_b64 exec, exec, s[18:19]
	v_cmp_gt_i32_e32 vcc, s24, v146
	v_mov_b64_e32 v[112:113], 0
	s_and_saveexec_b64 s[18:19], vcc
	s_cbranch_execz .LBB115_117
; %bb.116:                              ;   in Loop: Header=BB115_93 Depth=1
	v_lshl_add_u64 v[10:11], v[72:73], 0, v[56:57]
	global_load_dwordx2 v[112:113], v[10:11], off
.LBB115_117:                            ;   in Loop: Header=BB115_93 Depth=1
	s_or_b64 exec, exec, s[18:19]
	v_cmp_gt_i32_e64 s[18:19], s24, v147
	s_branch .LBB115_120
.LBB115_118:                            ;   in Loop: Header=BB115_93 Depth=1
	s_mov_b64 s[18:19], 0
                                        ; implicit-def: $vgpr112_vgpr113
                                        ; implicit-def: $vgpr108_vgpr109
                                        ; implicit-def: $vgpr110_vgpr111
	s_cbranch_execz .LBB115_120
; %bb.119:                              ;   in Loop: Header=BB115_93 Depth=1
	global_load_dwordx2 v[110:111], v[8:9], off
	v_lshl_add_u64 v[8:9], v[70:71], 0, v[56:57]
	global_load_dwordx2 v[108:109], v[8:9], off
	v_lshl_add_u64 v[8:9], v[74:75], 0, v[56:57]
	global_load_dwordx2 v[112:113], v[8:9], off
	s_or_b64 s[18:19], s[18:19], exec
.LBB115_120:                            ;   in Loop: Header=BB115_93 Depth=1
	v_mov_b64_e32 v[114:115], 0
	s_and_saveexec_b64 s[22:23], s[18:19]
	s_cbranch_execz .LBB115_122
; %bb.121:                              ;   in Loop: Header=BB115_93 Depth=1
	v_lshl_add_u64 v[8:9], v[76:77], 0, v[56:57]
	global_load_dwordx2 v[114:115], v[8:9], off
.LBB115_122:                            ;   in Loop: Header=BB115_93 Depth=1
	s_or_b64 exec, exec, s[22:23]
	ds_read_b64 v[24:25], v135
	ds_read_b128 v[12:15], v134 offset:128
	ds_read_b128 v[8:11], v134 offset:144
	s_and_b64 vcc, exec, s[4:5]
	s_waitcnt vmcnt(0) lgkmcnt(2)
	v_pk_mul_f32 v[26:27], v[24:25], v[110:111] op_sel:[1,1] op_sel_hi:[0,1]
	v_pk_mul_f32 v[28:29], v[24:25], v[108:109] op_sel:[1,1] op_sel_hi:[0,1]
	v_pk_fma_f32 v[30:31], v[24:25], v[110:111], v[26:27] neg_lo:[0,0,1] neg_hi:[0,0,1]
	v_pk_fma_f32 v[26:27], v[24:25], v[110:111], v[26:27] op_sel_hi:[1,0,1]
	s_nop 0
	v_mov_b32_e32 v31, v27
	v_pk_fma_f32 v[26:27], v[24:25], v[108:109], v[28:29] neg_lo:[0,0,1] neg_hi:[0,0,1]
	v_pk_fma_f32 v[28:29], v[24:25], v[108:109], v[28:29] op_sel_hi:[1,0,1]
	s_nop 0
	v_mov_b32_e32 v27, v29
	ds_write2_b64 v136, v[30:31], v[26:27] offset1:67
	v_pk_mul_f32 v[26:27], v[24:25], v[112:113] op_sel:[1,1] op_sel_hi:[0,1]
	v_pk_fma_f32 v[28:29], v[24:25], v[112:113], v[26:27] neg_lo:[0,0,1] neg_hi:[0,0,1]
	v_pk_fma_f32 v[26:27], v[24:25], v[112:113], v[26:27] op_sel_hi:[1,0,1]
	s_nop 0
	v_mov_b32_e32 v29, v27
	v_pk_mul_f32 v[26:27], v[24:25], v[114:115] op_sel:[1,1] op_sel_hi:[0,1]
	v_pk_fma_f32 v[30:31], v[24:25], v[114:115], v[26:27] neg_lo:[0,0,1] neg_hi:[0,0,1]
	v_pk_fma_f32 v[24:25], v[24:25], v[114:115], v[26:27] op_sel_hi:[1,0,1]
	s_nop 0
	v_mov_b32_e32 v31, v25
	ds_write2_b64 v136, v[28:29], v[30:31] offset0:134 offset1:201
	s_waitcnt lgkmcnt(0)
	s_barrier
	ds_read2_b64 v[36:39], v137 offset1:1
	ds_read2_b64 v[32:35], v137 offset0:2 offset1:3
	v_lshl_add_u64 v[24:25], v[78:79], 0, v[56:57]
	s_waitcnt lgkmcnt(0)
	s_barrier
	s_cbranch_vccnz .LBB115_130
; %bb.123:                              ;   in Loop: Header=BB115_93 Depth=1
	v_cmp_gt_i32_e32 vcc, s24, v148
	v_mov_b64_e32 v[116:117], 0
	v_mov_b64_e32 v[118:119], 0
	s_and_saveexec_b64 s[18:19], vcc
	s_cbranch_execz .LBB115_125
; %bb.124:                              ;   in Loop: Header=BB115_93 Depth=1
	global_load_dwordx2 v[118:119], v[24:25], off
.LBB115_125:                            ;   in Loop: Header=BB115_93 Depth=1
	s_or_b64 exec, exec, s[18:19]
	v_cmp_gt_i32_e32 vcc, s24, v149
	s_and_saveexec_b64 s[18:19], vcc
	s_cbranch_execz .LBB115_127
; %bb.126:                              ;   in Loop: Header=BB115_93 Depth=1
	v_lshl_add_u64 v[26:27], v[80:81], 0, v[56:57]
	global_load_dwordx2 v[116:117], v[26:27], off
.LBB115_127:                            ;   in Loop: Header=BB115_93 Depth=1
	s_or_b64 exec, exec, s[18:19]
	v_cmp_gt_i32_e32 vcc, s24, v150
	v_mov_b64_e32 v[120:121], 0
	s_and_saveexec_b64 s[18:19], vcc
	s_cbranch_execz .LBB115_129
; %bb.128:                              ;   in Loop: Header=BB115_93 Depth=1
	v_lshl_add_u64 v[26:27], v[82:83], 0, v[56:57]
	global_load_dwordx2 v[120:121], v[26:27], off
.LBB115_129:                            ;   in Loop: Header=BB115_93 Depth=1
	s_or_b64 exec, exec, s[18:19]
	v_cmp_gt_i32_e64 s[18:19], s24, v151
	s_branch .LBB115_132
.LBB115_130:                            ;   in Loop: Header=BB115_93 Depth=1
	s_mov_b64 s[18:19], 0
                                        ; implicit-def: $vgpr120_vgpr121
                                        ; implicit-def: $vgpr116_vgpr117
                                        ; implicit-def: $vgpr118_vgpr119
	s_cbranch_execz .LBB115_132
; %bb.131:                              ;   in Loop: Header=BB115_93 Depth=1
	global_load_dwordx2 v[118:119], v[24:25], off
	v_lshl_add_u64 v[24:25], v[80:81], 0, v[56:57]
	global_load_dwordx2 v[116:117], v[24:25], off
	v_lshl_add_u64 v[24:25], v[84:85], 0, v[56:57]
	global_load_dwordx2 v[120:121], v[24:25], off
	s_or_b64 s[18:19], s[18:19], exec
.LBB115_132:                            ;   in Loop: Header=BB115_93 Depth=1
	v_mov_b64_e32 v[122:123], 0
	s_and_saveexec_b64 s[22:23], s[18:19]
	s_cbranch_execz .LBB115_134
; %bb.133:                              ;   in Loop: Header=BB115_93 Depth=1
	v_lshl_add_u64 v[24:25], v[86:87], 0, v[56:57]
	global_load_dwordx2 v[122:123], v[24:25], off
.LBB115_134:                            ;   in Loop: Header=BB115_93 Depth=1
	s_or_b64 exec, exec, s[22:23]
	ds_read_b64 v[24:25], v135
	s_and_b64 vcc, exec, s[4:5]
	v_lshl_add_u64 v[130:131], v[88:89], 0, v[56:57]
	s_waitcnt vmcnt(0) lgkmcnt(0)
	v_pk_mul_f32 v[26:27], v[24:25], v[118:119] op_sel:[0,1]
	v_pk_mul_f32 v[28:29], v[24:25], v[116:117] op_sel:[0,1]
	v_pk_fma_f32 v[30:31], v[24:25], v[118:119], v[26:27] op_sel:[0,0,1] op_sel_hi:[1,1,0] neg_lo:[0,0,1] neg_hi:[0,0,1]
	v_pk_fma_f32 v[26:27], v[24:25], v[118:119], v[26:27] op_sel:[0,0,1] op_sel_hi:[1,0,0]
	v_pk_fma_f32 v[40:41], v[24:25], v[116:117], v[28:29] op_sel:[0,0,1] op_sel_hi:[1,1,0] neg_lo:[0,0,1] neg_hi:[0,0,1]
	v_pk_fma_f32 v[28:29], v[24:25], v[116:117], v[28:29] op_sel:[0,0,1] op_sel_hi:[1,0,0]
	v_mov_b32_e32 v31, v27
	v_pk_mul_f32 v[26:27], v[24:25], v[120:121] op_sel:[0,1]
	v_mov_b32_e32 v41, v29
	v_pk_fma_f32 v[28:29], v[24:25], v[120:121], v[26:27] op_sel:[0,0,1] op_sel_hi:[1,1,0] neg_lo:[0,0,1] neg_hi:[0,0,1]
	v_pk_fma_f32 v[26:27], v[24:25], v[120:121], v[26:27] op_sel:[0,0,1] op_sel_hi:[1,0,0]
	ds_write2_b64 v136, v[30:31], v[40:41] offset1:67
	v_mov_b32_e32 v29, v27
	v_pk_mul_f32 v[26:27], v[24:25], v[122:123] op_sel:[0,1]
	s_nop 0
	v_pk_fma_f32 v[30:31], v[24:25], v[122:123], v[26:27] op_sel:[0,0,1] op_sel_hi:[1,1,0] neg_lo:[0,0,1] neg_hi:[0,0,1]
	v_pk_fma_f32 v[24:25], v[24:25], v[122:123], v[26:27] op_sel:[0,0,1] op_sel_hi:[1,0,0]
	s_nop 0
	v_mov_b32_e32 v31, v25
	ds_write2_b64 v136, v[28:29], v[30:31] offset0:134 offset1:201
	ds_read_b128 v[28:31], v134 offset:256
	ds_read_b128 v[24:27], v134 offset:272
	s_waitcnt lgkmcnt(0)
	s_barrier
	ds_read2_b64 v[44:47], v137 offset1:1
	ds_read2_b64 v[40:43], v137 offset0:2 offset1:3
	s_waitcnt lgkmcnt(0)
	s_barrier
	s_cbranch_vccnz .LBB115_142
; %bb.135:                              ;   in Loop: Header=BB115_93 Depth=1
	v_cmp_gt_i32_e32 vcc, s24, v152
	v_mov_b64_e32 v[124:125], 0
	v_mov_b64_e32 v[126:127], 0
	s_and_saveexec_b64 s[4:5], vcc
	s_cbranch_execz .LBB115_137
; %bb.136:                              ;   in Loop: Header=BB115_93 Depth=1
	global_load_dwordx2 v[126:127], v[130:131], off
.LBB115_137:                            ;   in Loop: Header=BB115_93 Depth=1
	s_or_b64 exec, exec, s[4:5]
	v_cmp_gt_i32_e32 vcc, s24, v153
	s_and_saveexec_b64 s[4:5], vcc
	s_cbranch_execz .LBB115_139
; %bb.138:                              ;   in Loop: Header=BB115_93 Depth=1
	v_lshl_add_u64 v[124:125], v[90:91], 0, v[56:57]
	global_load_dwordx2 v[124:125], v[124:125], off
.LBB115_139:                            ;   in Loop: Header=BB115_93 Depth=1
	s_or_b64 exec, exec, s[4:5]
	v_cmp_gt_i32_e32 vcc, s24, v154
	v_mov_b64_e32 v[128:129], 0
	s_and_saveexec_b64 s[4:5], vcc
	s_cbranch_execz .LBB115_141
; %bb.140:                              ;   in Loop: Header=BB115_93 Depth=1
	v_lshl_add_u64 v[128:129], v[92:93], 0, v[56:57]
	global_load_dwordx2 v[128:129], v[128:129], off
.LBB115_141:                            ;   in Loop: Header=BB115_93 Depth=1
	s_or_b64 exec, exec, s[4:5]
	v_cmp_gt_i32_e64 s[4:5], s24, v155
	s_branch .LBB115_144
.LBB115_142:                            ;   in Loop: Header=BB115_93 Depth=1
	s_mov_b64 s[4:5], 0
                                        ; implicit-def: $vgpr128_vgpr129
                                        ; implicit-def: $vgpr124_vgpr125
                                        ; implicit-def: $vgpr126_vgpr127
	s_cbranch_execz .LBB115_144
; %bb.143:                              ;   in Loop: Header=BB115_93 Depth=1
	s_waitcnt vmcnt(0)
	v_lshl_add_u64 v[124:125], v[90:91], 0, v[56:57]
	v_lshl_add_u64 v[128:129], v[94:95], 0, v[56:57]
	global_load_dwordx2 v[126:127], v[130:131], off
	s_or_b64 s[4:5], s[4:5], exec
	global_load_dwordx2 v[124:125], v[124:125], off
	s_nop 0
	global_load_dwordx2 v[128:129], v[128:129], off
.LBB115_144:                            ;   in Loop: Header=BB115_93 Depth=1
	v_mov_b64_e32 v[130:131], 0
	s_and_saveexec_b64 s[18:19], s[4:5]
	s_cbranch_execz .LBB115_146
; %bb.145:                              ;   in Loop: Header=BB115_93 Depth=1
	v_lshl_add_u64 v[130:131], v[96:97], 0, v[56:57]
	global_load_dwordx2 v[130:131], v[130:131], off
.LBB115_146:                            ;   in Loop: Header=BB115_93 Depth=1
	s_or_b64 exec, exec, s[18:19]
	v_pk_add_f32 v[44:45], v[44:45], 0 op_sel_hi:[1,0]
	v_pk_add_f32 v[36:37], v[36:37], 0 op_sel_hi:[1,0]
	v_pk_add_f32 v[44:45], v[44:45], v[46:47]
	v_pk_add_f32 v[36:37], v[36:37], v[38:39]
	;; [unrolled: 1-line block ×5, first 2 shown]
	ds_read_b64 v[40:41], v135
	v_pk_add_f32 v[46:47], v[32:33], v[34:35]
	v_pk_add_f32 v[20:21], v[20:21], 0 op_sel_hi:[1,0]
	v_cmp_gt_i32_e32 vcc, s24, v50
	v_pk_add_f32 v[158:159], v[20:21], v[22:23]
	s_waitcnt vmcnt(0) lgkmcnt(0)
	v_pk_mul_f32 v[32:33], v[40:41], v[126:127] op_sel:[0,1]
	v_pk_add_f32 v[16:17], v[158:159], v[16:17]
	v_pk_fma_f32 v[34:35], v[40:41], v[126:127], v[32:33] op_sel:[0,0,1] op_sel_hi:[1,1,0] neg_lo:[0,0,1] neg_hi:[0,0,1]
	v_pk_fma_f32 v[32:33], v[40:41], v[126:127], v[32:33] op_sel:[0,0,1] op_sel_hi:[1,0,0]
	v_pk_add_f32 v[16:17], v[16:17], v[18:19]
	v_mov_b32_e32 v35, v33
	v_pk_mul_f32 v[32:33], v[40:41], v[124:125] op_sel:[0,1]
	s_or_b64 s[4:5], s[14:15], vcc
	v_pk_fma_f32 v[36:37], v[40:41], v[124:125], v[32:33] op_sel:[0,0,1] op_sel_hi:[1,1,0] neg_lo:[0,0,1] neg_hi:[0,0,1]
	v_pk_fma_f32 v[32:33], v[40:41], v[124:125], v[32:33] op_sel:[0,0,1] op_sel_hi:[1,0,0]
	s_and_b64 s[14:15], s[0:1], s[4:5]
	v_mov_b32_e32 v37, v33
	v_pk_mul_f32 v[32:33], v[40:41], v[128:129] op_sel:[0,1]
	ds_write2_b64 v136, v[34:35], v[36:37] offset1:67
	v_pk_fma_f32 v[34:35], v[40:41], v[128:129], v[32:33] op_sel:[0,0,1] op_sel_hi:[1,1,0] neg_lo:[0,0,1] neg_hi:[0,0,1]
	v_pk_fma_f32 v[32:33], v[40:41], v[128:129], v[32:33] op_sel:[0,0,1] op_sel_hi:[1,0,0]
	s_nop 0
	v_mov_b32_e32 v35, v33
	v_pk_mul_f32 v[32:33], v[40:41], v[130:131] op_sel:[0,1]
	s_nop 0
	v_pk_fma_f32 v[36:37], v[40:41], v[130:131], v[32:33] op_sel:[0,0,1] op_sel_hi:[1,1,0] neg_lo:[0,0,1] neg_hi:[0,0,1]
	v_pk_fma_f32 v[32:33], v[40:41], v[130:131], v[32:33] op_sel:[0,0,1] op_sel_hi:[1,0,0]
	s_nop 0
	v_mov_b32_e32 v37, v33
	ds_write2_b64 v136, v[34:35], v[36:37] offset0:134 offset1:201
	ds_read_b128 v[36:39], v134 offset:384
	ds_read_b128 v[32:35], v134 offset:400
	s_waitcnt lgkmcnt(0)
	s_barrier
	ds_read2_b64 v[40:43], v137 offset1:1
	ds_read2_b64 v[20:23], v137 offset0:2 offset1:3
	s_waitcnt lgkmcnt(0)
	s_barrier
	v_pk_add_f32 v[18:19], v[40:41], 0 op_sel_hi:[1,0]
	s_nop 0
	v_pk_add_f32 v[18:19], v[18:19], v[42:43]
	s_nop 0
	v_pk_add_f32 v[18:19], v[18:19], v[20:21]
	;; [unrolled: 2-line block ×3, first 2 shown]
	ds_write2_b64 v141, v[16:17], v[46:47] offset1:16
	ds_write2_b64 v141, v[44:45], v[18:19] offset0:32 offset1:48
	s_waitcnt lgkmcnt(0)
	s_barrier
	s_and_saveexec_b64 s[4:5], s[14:15]
	s_cbranch_execz .LBB115_92
; %bb.147:                              ;   in Loop: Header=BB115_93 Depth=1
	ds_read_b64 v[40:41], v138
	ds_read2_b64 v[16:19], v138 offset0:1 offset1:2
	ds_read2_b64 v[20:23], v138 offset0:3 offset1:4
	v_ashrrev_i32_e32 v99, 31, v98
	v_lshl_add_u64 v[44:45], v[98:99], 3, s[6:7]
	s_waitcnt lgkmcnt(1)
	v_add_f32_e32 v16, v16, v40
	v_add_f32_e32 v17, v17, v41
	;; [unrolled: 1-line block ×4, first 2 shown]
	ds_read2_b64 v[16:19], v138 offset0:5 offset1:6
	s_waitcnt lgkmcnt(1)
	v_add_f32_e32 v20, v40, v20
	v_add_f32_e32 v21, v41, v21
	;; [unrolled: 1-line block ×4, first 2 shown]
	ds_read2_b64 v[20:23], v138 offset0:7 offset1:8
	s_waitcnt lgkmcnt(1)
	v_pk_add_f32 v[16:17], v[40:41], v[16:17]
	ds_read2_b64 v[40:43], v138 offset0:9 offset1:10
	v_pk_add_f32 v[16:17], v[16:17], v[18:19]
	s_waitcnt lgkmcnt(1)
	v_pk_add_f32 v[16:17], v[16:17], v[20:21]
	s_nop 0
	v_pk_add_f32 v[20:21], v[16:17], v[22:23]
	ds_read2_b64 v[16:19], v138 offset0:11 offset1:12
	s_waitcnt lgkmcnt(1)
	v_pk_add_f32 v[40:41], v[20:21], v[40:41]
	ds_read2_b64 v[20:23], v138 offset0:13 offset1:14
	v_pk_add_f32 v[40:41], v[40:41], v[42:43]
	ds_read_b64 v[42:43], v139
	s_waitcnt lgkmcnt(2)
	v_pk_add_f32 v[16:17], v[40:41], v[16:17]
	s_nop 0
	v_pk_add_f32 v[16:17], v[16:17], v[18:19]
	s_waitcnt lgkmcnt(1)
	v_pk_add_f32 v[16:17], v[16:17], v[20:21]
	s_nop 0
	v_pk_add_f32 v[16:17], v[16:17], v[22:23]
	s_waitcnt lgkmcnt(0)
	v_pk_add_f32 v[16:17], v[16:17], v[42:43]
	global_store_dwordx2 v[44:45], v[16:17], off
	s_branch .LBB115_92
.LBB115_148:
	s_movk_i32 s0, 0x218
	v_cmp_gt_i32_e32 vcc, s16, v50
	v_mad_u32_u24 v0, v49, s0, v51
	s_or_b64 s[0:1], s[20:21], vcc
	s_and_b64 s[0:1], s[12:13], s[0:1]
	ds_write_b64 v0, v[52:53]
	s_waitcnt lgkmcnt(0)
	s_barrier
	s_and_saveexec_b64 s[2:3], s[0:1]
	s_cbranch_execz .LBB115_150
; %bb.149:
	ds_read2_b64 v[0:3], v51 offset1:67
	ds_read2_b64 v[4:7], v51 offset0:134 offset1:201
	v_ashrrev_i32_e32 v49, 31, v48
	v_lshl_add_u64 v[8:9], v[48:49], 3, s[6:7]
	s_waitcnt lgkmcnt(1)
	v_pk_add_f32 v[0:1], v[2:3], v[0:1]
	s_waitcnt lgkmcnt(0)
	v_pk_add_f32 v[0:1], v[4:5], v[0:1]
	s_nop 0
	v_pk_add_f32 v[0:1], v[0:1], v[6:7]
	global_store_dwordx2 v[8:9], v[0:1], off
.LBB115_150:
	s_endpgm
	.section	.rodata,"a",@progbits
	.p2align	6, 0x0
	.amdhsa_kernel _ZL26rocblas_hemvn_kernel_upperILb0ELi64ELi4ELi33ELi32ELi16EiPK19rocblas_complex_numIfES3_PS1_EviT6_lT7_lT5_lS6_lS7_lS5_lT8_i
		.amdhsa_group_segment_fixed_size 9600
		.amdhsa_private_segment_fixed_size 0
		.amdhsa_kernarg_size 376
		.amdhsa_user_sgpr_count 2
		.amdhsa_user_sgpr_dispatch_ptr 0
		.amdhsa_user_sgpr_queue_ptr 0
		.amdhsa_user_sgpr_kernarg_segment_ptr 1
		.amdhsa_user_sgpr_dispatch_id 0
		.amdhsa_user_sgpr_kernarg_preload_length 0
		.amdhsa_user_sgpr_kernarg_preload_offset 0
		.amdhsa_user_sgpr_private_segment_size 0
		.amdhsa_uses_dynamic_stack 0
		.amdhsa_enable_private_segment 0
		.amdhsa_system_sgpr_workgroup_id_x 1
		.amdhsa_system_sgpr_workgroup_id_y 0
		.amdhsa_system_sgpr_workgroup_id_z 1
		.amdhsa_system_sgpr_workgroup_info 0
		.amdhsa_system_vgpr_workitem_id 1
		.amdhsa_next_free_vgpr 160
		.amdhsa_next_free_sgpr 44
		.amdhsa_accum_offset 160
		.amdhsa_reserve_vcc 1
		.amdhsa_float_round_mode_32 0
		.amdhsa_float_round_mode_16_64 0
		.amdhsa_float_denorm_mode_32 3
		.amdhsa_float_denorm_mode_16_64 3
		.amdhsa_dx10_clamp 1
		.amdhsa_ieee_mode 1
		.amdhsa_fp16_overflow 0
		.amdhsa_tg_split 0
		.amdhsa_exception_fp_ieee_invalid_op 0
		.amdhsa_exception_fp_denorm_src 0
		.amdhsa_exception_fp_ieee_div_zero 0
		.amdhsa_exception_fp_ieee_overflow 0
		.amdhsa_exception_fp_ieee_underflow 0
		.amdhsa_exception_fp_ieee_inexact 0
		.amdhsa_exception_int_div_zero 0
	.end_amdhsa_kernel
	.section	.text._ZL26rocblas_hemvn_kernel_upperILb0ELi64ELi4ELi33ELi32ELi16EiPK19rocblas_complex_numIfES3_PS1_EviT6_lT7_lT5_lS6_lS7_lS5_lT8_i,"axG",@progbits,_ZL26rocblas_hemvn_kernel_upperILb0ELi64ELi4ELi33ELi32ELi16EiPK19rocblas_complex_numIfES3_PS1_EviT6_lT7_lT5_lS6_lS7_lS5_lT8_i,comdat
.Lfunc_end115:
	.size	_ZL26rocblas_hemvn_kernel_upperILb0ELi64ELi4ELi33ELi32ELi16EiPK19rocblas_complex_numIfES3_PS1_EviT6_lT7_lT5_lS6_lS7_lS5_lT8_i, .Lfunc_end115-_ZL26rocblas_hemvn_kernel_upperILb0ELi64ELi4ELi33ELi32ELi16EiPK19rocblas_complex_numIfES3_PS1_EviT6_lT7_lT5_lS6_lS7_lS5_lT8_i
                                        ; -- End function
	.set _ZL26rocblas_hemvn_kernel_upperILb0ELi64ELi4ELi33ELi32ELi16EiPK19rocblas_complex_numIfES3_PS1_EviT6_lT7_lT5_lS6_lS7_lS5_lT8_i.num_vgpr, 160
	.set _ZL26rocblas_hemvn_kernel_upperILb0ELi64ELi4ELi33ELi32ELi16EiPK19rocblas_complex_numIfES3_PS1_EviT6_lT7_lT5_lS6_lS7_lS5_lT8_i.num_agpr, 0
	.set _ZL26rocblas_hemvn_kernel_upperILb0ELi64ELi4ELi33ELi32ELi16EiPK19rocblas_complex_numIfES3_PS1_EviT6_lT7_lT5_lS6_lS7_lS5_lT8_i.numbered_sgpr, 44
	.set _ZL26rocblas_hemvn_kernel_upperILb0ELi64ELi4ELi33ELi32ELi16EiPK19rocblas_complex_numIfES3_PS1_EviT6_lT7_lT5_lS6_lS7_lS5_lT8_i.num_named_barrier, 0
	.set _ZL26rocblas_hemvn_kernel_upperILb0ELi64ELi4ELi33ELi32ELi16EiPK19rocblas_complex_numIfES3_PS1_EviT6_lT7_lT5_lS6_lS7_lS5_lT8_i.private_seg_size, 0
	.set _ZL26rocblas_hemvn_kernel_upperILb0ELi64ELi4ELi33ELi32ELi16EiPK19rocblas_complex_numIfES3_PS1_EviT6_lT7_lT5_lS6_lS7_lS5_lT8_i.uses_vcc, 1
	.set _ZL26rocblas_hemvn_kernel_upperILb0ELi64ELi4ELi33ELi32ELi16EiPK19rocblas_complex_numIfES3_PS1_EviT6_lT7_lT5_lS6_lS7_lS5_lT8_i.uses_flat_scratch, 0
	.set _ZL26rocblas_hemvn_kernel_upperILb0ELi64ELi4ELi33ELi32ELi16EiPK19rocblas_complex_numIfES3_PS1_EviT6_lT7_lT5_lS6_lS7_lS5_lT8_i.has_dyn_sized_stack, 0
	.set _ZL26rocblas_hemvn_kernel_upperILb0ELi64ELi4ELi33ELi32ELi16EiPK19rocblas_complex_numIfES3_PS1_EviT6_lT7_lT5_lS6_lS7_lS5_lT8_i.has_recursion, 0
	.set _ZL26rocblas_hemvn_kernel_upperILb0ELi64ELi4ELi33ELi32ELi16EiPK19rocblas_complex_numIfES3_PS1_EviT6_lT7_lT5_lS6_lS7_lS5_lT8_i.has_indirect_call, 0
	.section	.AMDGPU.csdata,"",@progbits
; Kernel info:
; codeLenInByte = 8540
; TotalNumSgprs: 50
; NumVgprs: 160
; NumAgprs: 0
; TotalNumVgprs: 160
; ScratchSize: 0
; MemoryBound: 1
; FloatMode: 240
; IeeeMode: 1
; LDSByteSize: 9600 bytes/workgroup (compile time only)
; SGPRBlocks: 6
; VGPRBlocks: 19
; NumSGPRsForWavesPerEU: 50
; NumVGPRsForWavesPerEU: 160
; AccumOffset: 160
; Occupancy: 3
; WaveLimiterHint : 1
; COMPUTE_PGM_RSRC2:SCRATCH_EN: 0
; COMPUTE_PGM_RSRC2:USER_SGPR: 2
; COMPUTE_PGM_RSRC2:TRAP_HANDLER: 0
; COMPUTE_PGM_RSRC2:TGID_X_EN: 1
; COMPUTE_PGM_RSRC2:TGID_Y_EN: 0
; COMPUTE_PGM_RSRC2:TGID_Z_EN: 1
; COMPUTE_PGM_RSRC2:TIDIG_COMP_CNT: 1
; COMPUTE_PGM_RSRC3_GFX90A:ACCUM_OFFSET: 39
; COMPUTE_PGM_RSRC3_GFX90A:TG_SPLIT: 0
	.section	.text._ZL26rocblas_hemvn_kernel_upperILb0ELi64ELi4ELi33ELi32ELi16El19rocblas_complex_numIfEPKS1_PS1_EviT6_lT7_lT5_lS6_lS7_lS5_lT8_i,"axG",@progbits,_ZL26rocblas_hemvn_kernel_upperILb0ELi64ELi4ELi33ELi32ELi16El19rocblas_complex_numIfEPKS1_PS1_EviT6_lT7_lT5_lS6_lS7_lS5_lT8_i,comdat
	.globl	_ZL26rocblas_hemvn_kernel_upperILb0ELi64ELi4ELi33ELi32ELi16El19rocblas_complex_numIfEPKS1_PS1_EviT6_lT7_lT5_lS6_lS7_lS5_lT8_i ; -- Begin function _ZL26rocblas_hemvn_kernel_upperILb0ELi64ELi4ELi33ELi32ELi16El19rocblas_complex_numIfEPKS1_PS1_EviT6_lT7_lT5_lS6_lS7_lS5_lT8_i
	.p2align	8
	.type	_ZL26rocblas_hemvn_kernel_upperILb0ELi64ELi4ELi33ELi32ELi16El19rocblas_complex_numIfEPKS1_PS1_EviT6_lT7_lT5_lS6_lS7_lS5_lT8_i,@function
_ZL26rocblas_hemvn_kernel_upperILb0ELi64ELi4ELi33ELi32ELi16El19rocblas_complex_numIfEPKS1_PS1_EviT6_lT7_lT5_lS6_lS7_lS5_lT8_i: ; @_ZL26rocblas_hemvn_kernel_upperILb0ELi64ELi4ELi33ELi32ELi16El19rocblas_complex_numIfEPKS1_PS1_EviT6_lT7_lT5_lS6_lS7_lS5_lT8_i
; %bb.0:
	s_load_dwordx2 s[6:7], s[0:1], 0x84
	s_add_u32 s4, s0, 0x78
	s_addc_u32 s5, s1, 0
	s_waitcnt lgkmcnt(0)
	s_lshr_b32 s8, s6, 16
	s_and_b32 s6, s6, 0xffff
	s_and_b32 s7, s7, 0xffff
	s_mul_i32 s6, s8, s6
	s_mul_i32 s6, s6, s7
	s_cmpk_lg_i32 s6, 0x100
	s_cbranch_scc1 .LBB116_150
; %bb.1:
	s_load_dwordx2 s[6:7], s[0:1], 0x4
	s_mov_b64 s[8:9], -1
	s_waitcnt lgkmcnt(0)
	s_or_b32 s6, s6, s7
	s_bitset0_b32 s6, 31
	s_cmp_lg_u32 s6, 0
	s_cselect_b64 s[6:7], -1, 0
	s_and_b64 vcc, exec, s[6:7]
	s_cbranch_vccnz .LBB116_3
; %bb.2:
	s_load_dwordx2 s[8:9], s[0:1], 0x58
	s_waitcnt lgkmcnt(0)
	v_cmp_neq_f32_e64 s[10:11], s8, 1.0
	v_cmp_neq_f32_e64 s[8:9], s9, 0
	s_or_b64 s[8:9], s[10:11], s[8:9]
.LBB116_3:
	s_andn2_b64 vcc, exec, s[8:9]
	s_cbranch_vccnz .LBB116_150
; %bb.4:
	s_andn2_b64 vcc, exec, s[6:7]
	s_cbranch_vccnz .LBB116_150
; %bb.5:
	s_load_dwordx16 s[16:31], s[0:1], 0x18
	s_load_dword s33, s[4:5], 0x0
	s_load_dword s35, s[0:1], 0x0
	v_and_b32_e32 v120, 0x3ff, v0
	v_bfe_u32 v121, v0, 10, 10
	s_waitcnt lgkmcnt(0)
	s_mul_i32 s5, s31, s3
	s_mul_hi_u32 s6, s30, s3
	s_mul_i32 s4, s30, s3
	s_add_i32 s5, s6, s5
	s_lshl_b64 s[4:5], s[4:5], 3
	s_add_u32 s6, s24, s4
	s_addc_u32 s7, s25, s5
	s_lshl_b64 s[4:5], s[26:27], 3
	s_add_u32 s4, s6, s4
	s_addc_u32 s5, s7, s5
	s_ashr_i32 s36, s35, 31
	s_lshr_b32 s7, s36, 26
	s_lshl_b32 s26, s2, 6
	s_add_i32 s7, s35, s7
	s_andn2_b32 s7, s7, 63
	v_add_u32_e32 v48, s26, v120
	s_add_i32 s6, s33, -1
	s_sub_i32 s34, s35, s7
	v_ashrrev_i32_e32 v49, 31, v48
	s_cmp_eq_u32 s2, s6
	v_mul_lo_u32 v2, s28, v49
	v_mul_lo_u32 v3, s29, v48
	v_mad_u64_u32 v[0:1], s[6:7], s28, v48, 0
	v_add3_u32 v1, v1, v2, v3
	s_cselect_b32 s24, s34, 0
	v_lshl_add_u64 v[12:13], v[0:1], 3, s[4:5]
	v_cmp_eq_u32_e64 s[14:15], 0, v121
	s_and_saveexec_b64 s[4:5], s[14:15]
	s_cbranch_execz .LBB116_10
; %bb.6:
	s_cmp_lg_u32 s24, 0
	s_cselect_b64 s[6:7], -1, 0
	v_cmp_le_i32_e32 vcc, s24, v120
	v_mov_b32_e32 v0, 0x2380
	s_and_b64 s[6:7], s[6:7], vcc
	v_lshl_add_u32 v0, v120, 3, v0
	s_and_saveexec_b64 s[8:9], s[6:7]
	s_xor_b64 s[6:7], exec, s[8:9]
; %bb.7:
	v_mov_b32_e32 v2, 0
	v_mov_b32_e32 v3, v2
	ds_write_b64 v0, v[2:3]
                                        ; implicit-def: $vgpr0
; %bb.8:
	s_andn2_saveexec_b64 s[6:7], s[6:7]
	s_cbranch_execz .LBB116_10
; %bb.9:
	global_load_dwordx2 v[2:3], v[12:13], off
	s_waitcnt vmcnt(0)
	ds_write_b64 v0, v[2:3]
.LBB116_10:
	s_or_b64 exec, exec, s[4:5]
	s_mul_i32 s4, s23, s3
	s_mul_hi_u32 s5, s22, s3
	s_add_i32 s5, s5, s4
	s_mul_i32 s4, s22, s3
	s_lshl_b64 s[4:5], s[4:5], 3
	s_add_u32 s6, s16, s4
	s_addc_u32 s7, s17, s5
	s_lshl_b64 s[4:5], s[18:19], 3
	s_add_u32 s6, s6, s4
	s_addc_u32 s7, s7, s5
	s_ashr_i32 s27, s26, 31
	v_lshl_add_u32 v22, v121, 6, v120
	s_lshl_b64 s[4:5], s[26:27], 3
	v_and_b32_e32 v2, 31, v120
	v_lshrrev_b32_e32 v10, 5, v22
	s_add_u32 s4, s6, s4
	v_mov_b32_e32 v3, 0
	s_addc_u32 s5, s7, s5
	v_mad_u64_u32 v[14:15], s[6:7], s20, v10, v[2:3]
	v_mov_b32_e32 v0, v15
	v_mad_u64_u32 v[0:1], s[6:7], s21, v10, v[0:1]
	v_mov_b32_e32 v15, v0
	v_lshl_add_u64 v[0:1], v[14:15], 3, s[4:5]
	s_mul_hi_u32 s4, s20, s26
	s_mul_i32 s5, s20, s27
	s_add_i32 s4, s4, s5
	s_mul_i32 s5, s21, s26
	s_add_i32 s5, s4, s5
	s_cmp_eq_u32 s24, 0
	s_cselect_b64 s[18:19], -1, 0
	s_cmp_lg_u32 s24, 0
	s_mul_i32 s4, s20, s26
	s_cselect_b64 s[22:23], -1, 0
	v_lshl_add_u64 v[6:7], s[4:5], 3, v[0:1]
	s_and_b64 vcc, exec, s[22:23]
	v_cmp_gt_i32_e64 s[4:5], s24, v2
	v_lshlrev_b32_e32 v0, 3, v2
	s_cbranch_vccz .LBB116_26
; %bb.11:
	v_sub_co_u32_e32 v4, vcc, v6, v0
	s_ashr_i32 s25, s24, 31
	s_nop 0
	v_subbrev_co_u32_e32 v5, vcc, 0, v7, vcc
	v_lshl_add_u64 v[4:5], s[24:25], 3, v[4:5]
	v_lshl_add_u64 v[4:5], v[4:5], 0, -8
	v_cndmask_b32_e64 v5, v5, v7, s[4:5]
	v_cndmask_b32_e64 v4, v4, v6, s[4:5]
	v_cmp_gt_i32_e32 vcc, s24, v10
	v_mov_b32_e32 v9, 0
	s_and_saveexec_b64 s[6:7], vcc
	s_cbranch_execz .LBB116_13
; %bb.12:
	global_load_dwordx2 v[8:9], v[4:5], off
	s_waitcnt vmcnt(0)
	v_mov_b32_e32 v3, v8
.LBB116_13:
	s_or_b64 exec, exec, s[6:7]
	v_lshlrev_b32_e32 v1, 3, v2
	s_movk_i32 s6, 0x108
	v_mov_b32_e32 v8, v3
	v_mad_u32_u24 v3, v10, s6, v1
	v_mul_u32_u24_e32 v11, 0x108, v10
	ds_write_b64 v3, v[8:9]
	v_add_u32_e32 v3, 8, v10
	v_cmp_le_i32_e32 vcc, s24, v3
	v_add_u32_e32 v1, v11, v1
	s_and_saveexec_b64 s[6:7], vcc
	s_xor_b64 s[6:7], exec, s[6:7]
; %bb.14:
	v_mov_b32_e32 v8, 0
	v_mov_b32_e32 v9, v8
	ds_write_b64 v1, v[8:9] offset:2112
; %bb.15:
	s_andn2_saveexec_b64 s[6:7], s[6:7]
	s_cbranch_execz .LBB116_17
; %bb.16:
	s_lshl_b64 s[8:9], s[20:21], 6
	v_lshl_add_u64 v[8:9], v[4:5], 0, s[8:9]
	global_load_dwordx2 v[8:9], v[8:9], off
	s_waitcnt vmcnt(0)
	ds_write_b64 v1, v[8:9] offset:2112
.LBB116_17:
	s_or_b64 exec, exec, s[6:7]
	v_add_u32_e32 v3, 16, v10
	v_cmp_le_i32_e32 vcc, s24, v3
	s_and_saveexec_b64 s[6:7], vcc
	s_xor_b64 s[6:7], exec, s[6:7]
; %bb.18:
	v_mov_b32_e32 v8, 0
	v_mov_b32_e32 v9, v8
	ds_write_b64 v1, v[8:9] offset:4224
; %bb.19:
	s_andn2_saveexec_b64 s[6:7], s[6:7]
	s_cbranch_execz .LBB116_21
; %bb.20:
	s_lshl_b64 s[8:9], s[20:21], 7
	v_lshl_add_u64 v[8:9], v[4:5], 0, s[8:9]
	global_load_dwordx2 v[8:9], v[8:9], off
	s_waitcnt vmcnt(0)
	ds_write_b64 v1, v[8:9] offset:4224
.LBB116_21:
	s_or_b64 exec, exec, s[6:7]
	v_add_u32_e32 v3, 24, v10
	v_cmp_le_i32_e32 vcc, s24, v3
	s_and_saveexec_b64 s[6:7], vcc
	s_xor_b64 s[6:7], exec, s[6:7]
; %bb.22:
	v_mov_b32_e32 v8, 0
	v_mov_b32_e32 v9, v8
	ds_write_b64 v1, v[8:9] offset:6336
                                        ; implicit-def: $vgpr1
; %bb.23:
	s_andn2_saveexec_b64 s[6:7], s[6:7]
	s_cbranch_execz .LBB116_25
; %bb.24:
	v_mov_b32_e32 v3, 0xc0
	v_mad_u64_u32 v[8:9], s[8:9], s20, v3, v[4:5]
	s_mul_i32 s8, s21, 0xc0
	s_nop 0
	v_add_u32_e32 v9, s8, v9
	global_load_dwordx2 v[8:9], v[8:9], off
	s_waitcnt vmcnt(0)
	ds_write_b64 v1, v[8:9] offset:6336
.LBB116_25:
	s_or_b64 exec, exec, s[6:7]
	v_mov_b32_e32 v1, 0
	v_lshl_add_u64 v[4:5], v[4:5], 0, v[0:1]
	s_lshl_b64 s[6:7], s[24:25], 3
	v_mov_b32_e32 v1, s7
	v_subrev_co_u32_e32 v4, vcc, s6, v4
	s_nop 1
	v_subb_co_u32_e32 v5, vcc, v5, v1, vcc
	v_lshl_add_u64 v[4:5], v[4:5], 0, 8
	v_cndmask_b32_e64 v5, v5, v7, s[4:5]
	v_cndmask_b32_e64 v4, v4, v6, s[4:5]
	s_branch .LBB116_28
.LBB116_26:
                                        ; implicit-def: $vgpr4_vgpr5
	s_cbranch_execz .LBB116_28
; %bb.27:
	s_lshl_b64 s[4:5], s[20:21], 6
	v_lshl_add_u64 v[4:5], v[6:7], 0, s[4:5]
	v_lshl_add_u64 v[8:9], v[4:5], 0, s[4:5]
	;; [unrolled: 1-line block ×3, first 2 shown]
	global_load_dwordx2 v[18:19], v[6:7], off
	global_load_dwordx2 v[20:21], v[4:5], off
	;; [unrolled: 1-line block ×4, first 2 shown]
	v_mul_u32_u24_e32 v1, 0x108, v10
	v_lshl_add_u32 v1, v2, 3, v1
	v_mov_b64_e32 v[4:5], v[6:7]
	s_waitcnt vmcnt(3)
	ds_write_b64 v1, v[18:19]
	s_waitcnt vmcnt(2)
	ds_write_b64 v1, v[20:21] offset:2112
	s_waitcnt vmcnt(1)
	ds_write_b64 v1, v[24:25] offset:4224
	;; [unrolled: 2-line block ×3, first 2 shown]
.LBB116_28:
	v_lshlrev_b32_e32 v11, 3, v2
	v_lshlrev_b32_e32 v3, 2, v10
	v_lshl_or_b32 v1, v2, 8, v11
	v_cmp_gt_u32_e64 s[6:7], v3, v2
	v_lshl_add_u32 v1, v3, 3, v1
	s_waitcnt lgkmcnt(0)
	s_barrier
	s_and_saveexec_b64 s[4:5], s[6:7]
	s_cbranch_execz .LBB116_30
; %bb.29:
	s_movk_i32 s8, 0x420
	v_mad_u32_u24 v6, v10, s8, v11
	ds_read_b64 v[6:7], v6
	s_waitcnt lgkmcnt(0)
	ds_write_b64 v1, v[6:7]
.LBB116_30:
	s_or_b64 exec, exec, s[4:5]
	v_or_b32_e32 v16, 1, v3
	v_cmp_ge_u32_e64 s[8:9], v3, v2
	s_and_saveexec_b64 s[4:5], s[8:9]
	s_cbranch_execz .LBB116_32
; %bb.31:
	s_movk_i32 s10, 0x108
	v_mad_u32_u24 v6, v16, s10, v11
	ds_read_b64 v[6:7], v6
	s_waitcnt lgkmcnt(0)
	ds_write_b64 v1, v[6:7] offset:8
.LBB116_32:
	s_or_b64 exec, exec, s[4:5]
	v_or_b32_e32 v6, 2, v3
	v_cmp_gt_u32_e64 s[10:11], v6, v2
	s_and_saveexec_b64 s[4:5], s[10:11]
	s_cbranch_execz .LBB116_34
; %bb.33:
	s_movk_i32 s12, 0x108
	v_mad_u32_u24 v6, v6, s12, v11
	ds_read_b64 v[6:7], v6
	s_waitcnt lgkmcnt(0)
	ds_write_b64 v1, v[6:7] offset:16
.LBB116_34:
	s_or_b64 exec, exec, s[4:5]
	v_or_b32_e32 v7, 3, v3
	v_cmp_gt_u32_e64 s[12:13], v7, v2
	v_cmp_le_u32_e32 vcc, v7, v2
                                        ; implicit-def: $vgpr6
	s_and_saveexec_b64 s[4:5], vcc
	s_xor_b64 s[4:5], exec, s[4:5]
; %bb.35:
	v_mul_u32_u24_e32 v6, 0x108, v7
                                        ; implicit-def: $vgpr7
                                        ; implicit-def: $vgpr1
; %bb.36:
	s_andn2_saveexec_b64 s[4:5], s[4:5]
	s_cbranch_execz .LBB116_38
; %bb.37:
	s_movk_i32 s16, 0x108
	v_mad_u32_u24 v6, v7, s16, v11
	ds_read_b64 v[8:9], v6
	v_mul_u32_u24_e32 v6, 0x108, v7
	s_waitcnt lgkmcnt(0)
	ds_write_b64 v1, v[8:9] offset:24
.LBB116_38:
	s_or_b64 exec, exec, s[4:5]
	s_movk_i32 s4, 0x420
	v_mad_u32_u24 v1, v10, s4, v11
	s_movk_i32 s4, 0x108
	v_mad_u32_u24 v7, v16, s4, v11
	s_waitcnt lgkmcnt(0)
	s_barrier
	v_lshlrev_b32_e32 v17, 3, v3
	ds_read2_b64 v[26:29], v7 offset1:33
	v_add_u32_e32 v18, v11, v6
	ds_read_b64 v[20:21], v1
	ds_read_b128 v[6:9], v17 offset:9088
	ds_read_b64 v[34:35], v18
	ds_read_b128 v[30:33], v17 offset:9104
	v_mul_u32_u24_e32 v19, 33, v2
	v_lshlrev_b32_e32 v23, 3, v19
	v_mov_b32_e32 v50, 0
	s_waitcnt lgkmcnt(2)
	v_pk_mul_f32 v[36:37], v[6:7], v[20:21] op_sel:[1,1] op_sel_hi:[0,1]
	v_pk_fma_f32 v[38:39], v[6:7], v[20:21], v[36:37] neg_lo:[0,0,1] neg_hi:[0,0,1]
	v_pk_fma_f32 v[6:7], v[6:7], v[20:21], v[36:37] op_sel_hi:[1,0,1]
	v_pk_mul_f32 v[20:21], v[8:9], v[26:27] op_sel:[1,1] op_sel_hi:[0,1]
	v_pk_fma_f32 v[36:37], v[8:9], v[26:27], v[20:21] neg_lo:[0,0,1] neg_hi:[0,0,1]
	v_pk_fma_f32 v[8:9], v[8:9], v[26:27], v[20:21] op_sel_hi:[1,0,1]
	v_mov_b32_e32 v39, v7
	v_mov_b32_e32 v37, v9
	s_waitcnt lgkmcnt(0)
	v_pk_mul_f32 v[8:9], v[30:31], v[28:29] op_sel:[1,1] op_sel_hi:[0,1]
	v_pk_add_f32 v[6:7], v[38:39], 0 op_sel_hi:[1,0]
	v_pk_fma_f32 v[20:21], v[30:31], v[28:29], v[8:9] neg_lo:[0,0,1] neg_hi:[0,0,1]
	v_pk_fma_f32 v[8:9], v[30:31], v[28:29], v[8:9] op_sel_hi:[1,0,1]
	v_pk_add_f32 v[6:7], v[6:7], v[36:37]
	v_mov_b32_e32 v21, v9
	v_pk_mul_f32 v[8:9], v[32:33], v[34:35] op_sel:[1,1] op_sel_hi:[0,1]
	v_pk_add_f32 v[6:7], v[6:7], v[20:21]
	v_pk_fma_f32 v[20:21], v[32:33], v[34:35], v[8:9] neg_lo:[0,0,1] neg_hi:[0,0,1]
	v_pk_fma_f32 v[8:9], v[32:33], v[34:35], v[8:9] op_sel_hi:[1,0,1]
	v_lshl_add_u32 v24, v10, 3, v23
	v_mov_b32_e32 v21, v9
	v_mov_b32_e32 v51, v50
	v_pk_add_f32 v[6:7], v[6:7], v[20:21]
	v_cmp_gt_u32_e64 s[4:5], 32, v22
	s_barrier
	ds_write_b64 v24, v[6:7]
	s_waitcnt lgkmcnt(0)
	s_barrier
	s_and_saveexec_b64 s[16:17], s[4:5]
	s_cbranch_execz .LBB116_40
; %bb.39:
	ds_read2_b64 v[6:9], v23 offset1:7
	ds_read2_b64 v[26:29], v23 offset0:1 offset1:2
	ds_read2_b64 v[30:33], v23 offset0:3 offset1:4
	s_waitcnt lgkmcnt(1)
	v_add_f32_e32 v1, v26, v6
	v_add_f32_e32 v6, v27, v7
	;; [unrolled: 1-line block ×4, first 2 shown]
	ds_read2_b64 v[26:29], v23 offset0:5 offset1:6
	s_waitcnt lgkmcnt(1)
	v_add_f32_e32 v1, v1, v30
	v_add_f32_e32 v6, v6, v31
	;; [unrolled: 1-line block ×4, first 2 shown]
	s_waitcnt lgkmcnt(0)
	v_add_f32_e32 v1, v1, v26
	v_add_f32_e32 v7, v6, v27
	;; [unrolled: 1-line block ×4, first 2 shown]
	v_pk_add_f32 v[50:51], v[6:7], v[8:9]
.LBB116_40:
	s_or_b64 exec, exec, s[16:17]
	s_lshl_b64 s[16:17], s[20:21], 8
	v_lshl_add_u64 v[8:9], v[4:5], 0, s[16:17]
	s_mov_b64 s[16:17], 0x100
	v_lshl_add_u64 v[6:7], v[8:9], 0, s[16:17]
	s_and_b64 vcc, exec, s[22:23]
	s_barrier
	s_cbranch_vccz .LBB116_56
; %bb.41:
	v_sub_co_u32_e32 v4, vcc, v8, v0
	s_ashr_i32 s25, s24, 31
	s_nop 0
	v_subbrev_co_u32_e32 v5, vcc, 0, v9, vcc
	v_or_b32_e32 v1, 32, v2
	v_lshl_add_u64 v[4:5], s[24:25], 3, v[4:5]
	v_mov_b32_e32 v20, 0
	v_lshl_add_u64 v[4:5], v[4:5], 0, -8
	v_cmp_gt_i32_e32 vcc, s24, v1
	s_sub_i32 s37, s24, 32
	v_cmp_gt_i32_e64 s[16:17], s37, v10
	v_cndmask_b32_e32 v5, v5, v7, vcc
	v_cndmask_b32_e32 v4, v4, v6, vcc
	v_mov_b32_e32 v21, v20
	s_and_saveexec_b64 s[30:31], s[16:17]
	s_cbranch_execz .LBB116_43
; %bb.42:
	global_load_dwordx2 v[20:21], v[4:5], off
.LBB116_43:
	s_or_b64 exec, exec, s[30:31]
	s_movk_i32 s16, 0x108
	v_mad_u32_u24 v19, v10, s16, v11
	v_mul_u32_u24_e32 v1, 0x108, v10
	s_waitcnt vmcnt(0)
	ds_write_b64 v19, v[20:21]
	v_add_u32_e32 v19, 8, v10
	v_cmp_le_i32_e64 s[16:17], s37, v19
	v_add_u32_e32 v1, v1, v11
	s_and_saveexec_b64 s[30:31], s[16:17]
	s_xor_b64 s[16:17], exec, s[30:31]
; %bb.44:
	v_mov_b32_e32 v20, 0
	v_mov_b32_e32 v21, v20
	ds_write_b64 v1, v[20:21] offset:2112
; %bb.45:
	s_andn2_saveexec_b64 s[16:17], s[16:17]
	s_cbranch_execz .LBB116_47
; %bb.46:
	s_lshl_b64 s[30:31], s[20:21], 6
	v_lshl_add_u64 v[20:21], v[4:5], 0, s[30:31]
	global_load_dwordx2 v[20:21], v[20:21], off
	s_waitcnt vmcnt(0)
	ds_write_b64 v1, v[20:21] offset:2112
.LBB116_47:
	s_or_b64 exec, exec, s[16:17]
	v_add_u32_e32 v19, 16, v10
	v_cmp_le_i32_e64 s[16:17], s37, v19
	s_and_saveexec_b64 s[30:31], s[16:17]
	s_xor_b64 s[16:17], exec, s[30:31]
; %bb.48:
	v_mov_b32_e32 v20, 0
	v_mov_b32_e32 v21, v20
	ds_write_b64 v1, v[20:21] offset:4224
; %bb.49:
	s_andn2_saveexec_b64 s[16:17], s[16:17]
	s_cbranch_execz .LBB116_51
; %bb.50:
	s_lshl_b64 s[30:31], s[20:21], 7
	v_lshl_add_u64 v[20:21], v[4:5], 0, s[30:31]
	global_load_dwordx2 v[20:21], v[20:21], off
	s_waitcnt vmcnt(0)
	ds_write_b64 v1, v[20:21] offset:4224
.LBB116_51:
	s_or_b64 exec, exec, s[16:17]
	v_add_u32_e32 v19, 24, v10
	v_cmp_le_i32_e64 s[16:17], s37, v19
	s_and_saveexec_b64 s[30:31], s[16:17]
	s_xor_b64 s[16:17], exec, s[30:31]
; %bb.52:
	v_mov_b32_e32 v20, 0
	v_mov_b32_e32 v21, v20
	ds_write_b64 v1, v[20:21] offset:6336
                                        ; implicit-def: $vgpr1
; %bb.53:
	s_andn2_saveexec_b64 s[16:17], s[16:17]
	s_cbranch_execz .LBB116_55
; %bb.54:
	v_mov_b32_e32 v19, 0xc0
	v_mad_u64_u32 v[20:21], s[30:31], s20, v19, v[4:5]
	s_mul_i32 s30, s21, 0xc0
	s_nop 0
	v_add_u32_e32 v21, s30, v21
	global_load_dwordx2 v[20:21], v[20:21], off
	s_waitcnt vmcnt(0)
	ds_write_b64 v1, v[20:21] offset:6336
.LBB116_55:
	s_or_b64 exec, exec, s[16:17]
	v_mov_b32_e32 v1, 0
	v_lshl_add_u64 v[4:5], v[4:5], 0, v[0:1]
	s_lshl_b64 s[16:17], s[24:25], 3
	v_mov_b32_e32 v1, s17
	v_subrev_co_u32_e64 v4, s[16:17], s16, v4
	s_nop 1
	v_subb_co_u32_e64 v5, s[16:17], v5, v1, s[16:17]
	s_mov_b64 s[16:17], 0x108
	s_nop 0
	v_lshl_add_u64 v[4:5], v[4:5], 0, s[16:17]
	v_cndmask_b32_e32 v5, v5, v7, vcc
	v_cndmask_b32_e32 v4, v4, v6, vcc
	v_mul_u32_u24_e32 v1, 0x420, v10
	s_branch .LBB116_58
.LBB116_56:
                                        ; implicit-def: $vgpr4_vgpr5
	v_mul_u32_u24_e32 v1, 0x420, v10
	s_cbranch_execz .LBB116_58
; %bb.57:
	s_lshl_b64 s[16:17], s[20:21], 6
	v_lshl_add_u64 v[4:5], v[8:9], 0, s[16:17]
	v_lshl_add_u64 v[20:21], v[4:5], 0, s[16:17]
	v_lshl_add_u64 v[26:27], v[20:21], 0, s[16:17]
	global_load_dwordx2 v[28:29], v[8:9], off offset:256
	global_load_dwordx2 v[30:31], v[4:5], off offset:256
	;; [unrolled: 1-line block ×4, first 2 shown]
	s_movk_i32 s16, 0x108
	v_mad_u32_u24 v4, v10, s16, v11
	s_waitcnt vmcnt(3)
	ds_write_b64 v4, v[28:29]
	s_waitcnt vmcnt(2)
	ds_write_b64 v4, v[30:31] offset:2112
	s_waitcnt vmcnt(1)
	ds_write_b64 v4, v[32:33] offset:4224
	;; [unrolled: 2-line block ×3, first 2 shown]
	v_mov_b64_e32 v[4:5], v[6:7]
.LBB116_58:
	v_mul_u32_u24_e32 v6, 0x108, v16
	v_add_u32_e32 v8, v11, v1
	v_lshl_add_u32 v1, v3, 3, v23
	s_waitcnt lgkmcnt(0)
	s_barrier
	s_and_saveexec_b64 s[16:17], s[6:7]
	s_cbranch_execnz .LBB116_81
; %bb.59:
	s_or_b64 exec, exec, s[16:17]
	v_add_u32_e32 v9, v11, v6
	s_and_saveexec_b64 s[6:7], s[8:9]
	s_cbranch_execnz .LBB116_82
.LBB116_60:
	s_or_b64 exec, exec, s[6:7]
	s_and_saveexec_b64 s[6:7], s[10:11]
	s_cbranch_execnz .LBB116_83
.LBB116_61:
	s_or_b64 exec, exec, s[6:7]
	v_add_u32_e32 v19, 0x2380, v17
	s_and_saveexec_b64 s[6:7], s[12:13]
	s_cbranch_execz .LBB116_63
.LBB116_62:
	ds_read_b64 v[6:7], v18
	s_waitcnt lgkmcnt(0)
	ds_write_b64 v1, v[6:7] offset:24
.LBB116_63:
	s_or_b64 exec, exec, s[6:7]
	s_waitcnt lgkmcnt(0)
	s_barrier
	ds_read_b64 v[6:7], v8
	ds_read_b128 v[26:29], v19 offset:256
	ds_read2_b64 v[30:33], v9 offset1:33
	ds_read_b64 v[16:17], v18
	ds_read_b128 v[34:37], v19 offset:272
	v_cmp_eq_u32_e64 s[6:7], 1, v10
	s_waitcnt lgkmcnt(3)
	v_pk_mul_f32 v[20:21], v[26:27], v[6:7] op_sel:[1,1] op_sel_hi:[0,1]
	v_pk_fma_f32 v[38:39], v[26:27], v[6:7], v[20:21] neg_lo:[0,0,1] neg_hi:[0,0,1]
	v_pk_fma_f32 v[6:7], v[26:27], v[6:7], v[20:21] op_sel_hi:[1,0,1]
	s_waitcnt lgkmcnt(2)
	v_pk_mul_f32 v[20:21], v[28:29], v[30:31] op_sel:[1,1] op_sel_hi:[0,1]
	v_mov_b32_e32 v39, v7
	v_pk_fma_f32 v[26:27], v[28:29], v[30:31], v[20:21] neg_lo:[0,0,1] neg_hi:[0,0,1]
	v_pk_fma_f32 v[20:21], v[28:29], v[30:31], v[20:21] op_sel_hi:[1,0,1]
	v_pk_add_f32 v[6:7], v[38:39], 0 op_sel_hi:[1,0]
	v_mov_b32_e32 v27, v21
	s_waitcnt lgkmcnt(0)
	v_pk_mul_f32 v[20:21], v[34:35], v[32:33] op_sel:[1,1] op_sel_hi:[0,1]
	v_pk_add_f32 v[6:7], v[6:7], v[26:27]
	v_pk_fma_f32 v[26:27], v[34:35], v[32:33], v[20:21] neg_lo:[0,0,1] neg_hi:[0,0,1]
	v_pk_fma_f32 v[20:21], v[34:35], v[32:33], v[20:21] op_sel_hi:[1,0,1]
	s_nop 0
	v_mov_b32_e32 v27, v21
	v_pk_mul_f32 v[20:21], v[36:37], v[16:17] op_sel:[1,1] op_sel_hi:[0,1]
	v_pk_add_f32 v[6:7], v[6:7], v[26:27]
	v_pk_fma_f32 v[26:27], v[36:37], v[16:17], v[20:21] neg_lo:[0,0,1] neg_hi:[0,0,1]
	v_pk_fma_f32 v[16:17], v[36:37], v[16:17], v[20:21] op_sel_hi:[1,0,1]
	s_barrier
	v_mov_b32_e32 v27, v17
	v_pk_add_f32 v[6:7], v[6:7], v[26:27]
	ds_write_b64 v24, v[6:7]
	s_waitcnt lgkmcnt(0)
	s_barrier
	s_and_saveexec_b64 s[8:9], s[6:7]
	s_cbranch_execz .LBB116_65
; %bb.64:
	ds_read2_b64 v[26:29], v23 offset1:7
	ds_read2_b64 v[30:33], v23 offset0:1 offset1:2
	ds_read2_b64 v[34:37], v23 offset0:3 offset1:4
	s_waitcnt lgkmcnt(1)
	v_add_f32_e32 v1, v30, v26
	v_add_f32_e32 v3, v31, v27
	;; [unrolled: 1-line block ×4, first 2 shown]
	ds_read2_b64 v[30:33], v23 offset0:5 offset1:6
	s_waitcnt lgkmcnt(1)
	v_add_f32_e32 v1, v1, v34
	v_add_f32_e32 v3, v3, v35
	;; [unrolled: 1-line block ×4, first 2 shown]
	s_waitcnt lgkmcnt(0)
	v_add_f32_e32 v6, v1, v30
	v_add_f32_e32 v7, v3, v31
	v_pk_add_f32 v[6:7], v[6:7], v[32:33]
	s_nop 0
	v_pk_add_f32 v[50:51], v[6:7], v[28:29]
.LBB116_65:
	s_or_b64 exec, exec, s[8:9]
	s_movk_i32 s8, 0xff00
	s_mov_b32 s9, -1
	v_lshl_add_u64 v[6:7], v[4:5], 0, s[8:9]
	s_and_b64 vcc, exec, s[22:23]
	s_barrier
	s_cbranch_vccz .LBB116_84
; %bb.66:
	v_sub_co_u32_e32 v20, vcc, v4, v0
	s_ashr_i32 s25, s24, 31
	s_nop 0
	v_subbrev_co_u32_e32 v21, vcc, 0, v5, vcc
	s_movk_i32 s8, 0xfef8
	v_lshl_add_u64 v[20:21], s[24:25], 3, v[20:21]
	s_mov_b32 s9, -1
	v_mov_b32_e32 v16, 0
	v_lshl_add_u64 v[20:21], v[20:21], 0, s[8:9]
	v_cmp_gt_i32_e32 vcc, s24, v2
	s_sub_i32 s12, s24, 32
	v_cmp_gt_i32_e64 s[8:9], s12, v10
	v_cndmask_b32_e32 v3, v21, v7, vcc
	v_cndmask_b32_e32 v2, v20, v6, vcc
	v_mov_b32_e32 v17, v16
	s_and_saveexec_b64 s[10:11], s[8:9]
	s_cbranch_execz .LBB116_68
; %bb.67:
	global_load_dwordx2 v[16:17], v[2:3], off
.LBB116_68:
	s_or_b64 exec, exec, s[10:11]
	s_movk_i32 s8, 0x108
	v_mad_u32_u24 v20, v10, s8, v11
	v_mul_u32_u24_e32 v1, 0x108, v10
	s_waitcnt vmcnt(0)
	ds_write_b64 v20, v[16:17]
	v_add_u32_e32 v20, 8, v10
	v_cmp_le_i32_e64 s[8:9], s12, v20
	v_add_u32_e32 v1, v1, v11
	s_and_saveexec_b64 s[10:11], s[8:9]
	s_xor_b64 s[8:9], exec, s[10:11]
; %bb.69:
	v_mov_b32_e32 v16, 0
	v_mov_b32_e32 v17, v16
	ds_write_b64 v1, v[16:17] offset:2112
; %bb.70:
	s_andn2_saveexec_b64 s[8:9], s[8:9]
	s_cbranch_execz .LBB116_72
; %bb.71:
	s_lshl_b64 s[10:11], s[20:21], 6
	v_lshl_add_u64 v[16:17], v[2:3], 0, s[10:11]
	global_load_dwordx2 v[16:17], v[16:17], off
	s_waitcnt vmcnt(0)
	ds_write_b64 v1, v[16:17] offset:2112
.LBB116_72:
	s_or_b64 exec, exec, s[8:9]
	v_add_u32_e32 v21, 16, v10
	v_cmp_le_i32_e64 s[8:9], s12, v21
	s_and_saveexec_b64 s[10:11], s[8:9]
	s_xor_b64 s[8:9], exec, s[10:11]
; %bb.73:
	v_mov_b32_e32 v16, 0
	v_mov_b32_e32 v17, v16
	ds_write_b64 v1, v[16:17] offset:4224
; %bb.74:
	s_andn2_saveexec_b64 s[8:9], s[8:9]
	s_cbranch_execz .LBB116_76
; %bb.75:
	s_lshl_b64 s[10:11], s[20:21], 7
	v_lshl_add_u64 v[16:17], v[2:3], 0, s[10:11]
	global_load_dwordx2 v[16:17], v[16:17], off
	s_waitcnt vmcnt(0)
	ds_write_b64 v1, v[16:17] offset:4224
.LBB116_76:
	s_or_b64 exec, exec, s[8:9]
	v_add_u32_e32 v25, 24, v10
	v_cmp_le_i32_e64 s[8:9], s12, v25
	s_and_saveexec_b64 s[10:11], s[8:9]
	s_xor_b64 s[8:9], exec, s[10:11]
; %bb.77:
	v_mov_b32_e32 v16, 0
	v_mov_b32_e32 v17, v16
	ds_write_b64 v1, v[16:17] offset:6336
                                        ; implicit-def: $vgpr1
; %bb.78:
	s_andn2_saveexec_b64 s[8:9], s[8:9]
	s_cbranch_execz .LBB116_80
; %bb.79:
	v_mov_b32_e32 v16, 0xc0
	v_mad_u64_u32 v[16:17], s[10:11], s20, v16, v[2:3]
	s_mul_i32 s10, s21, 0xc0
	s_nop 0
	v_add_u32_e32 v17, s10, v17
	global_load_dwordx2 v[16:17], v[16:17], off
	s_waitcnt vmcnt(0)
	ds_write_b64 v1, v[16:17] offset:6336
.LBB116_80:
	s_or_b64 exec, exec, s[8:9]
	v_mov_b32_e32 v1, 0
	v_lshl_add_u64 v[0:1], v[2:3], 0, v[0:1]
	s_lshl_b64 s[8:9], s[24:25], 3
	v_mov_b32_e32 v2, s9
	v_subrev_co_u32_e64 v0, s[8:9], s8, v0
	s_nop 1
	v_subb_co_u32_e64 v1, s[8:9], v1, v2, s[8:9]
	v_lshl_add_u64 v[0:1], v[0:1], 0, 8
	v_cndmask_b32_e32 v17, v1, v7, vcc
	v_cndmask_b32_e32 v16, v0, v6, vcc
	s_branch .LBB116_86
.LBB116_81:
	ds_read_b64 v[20:21], v8
	s_waitcnt lgkmcnt(0)
	ds_write_b64 v1, v[20:21]
	s_or_b64 exec, exec, s[16:17]
	v_add_u32_e32 v9, v11, v6
	s_and_saveexec_b64 s[6:7], s[8:9]
	s_cbranch_execz .LBB116_60
.LBB116_82:
	ds_read_b64 v[6:7], v9
	s_waitcnt lgkmcnt(0)
	ds_write_b64 v1, v[6:7] offset:8
	s_or_b64 exec, exec, s[6:7]
	s_and_saveexec_b64 s[6:7], s[10:11]
	s_cbranch_execz .LBB116_61
.LBB116_83:
	ds_read_b64 v[6:7], v9 offset:264
	s_waitcnt lgkmcnt(0)
	ds_write_b64 v1, v[6:7] offset:16
	s_or_b64 exec, exec, s[6:7]
	v_add_u32_e32 v19, 0x2380, v17
	s_and_saveexec_b64 s[6:7], s[12:13]
	s_cbranch_execnz .LBB116_62
	s_branch .LBB116_63
.LBB116_84:
                                        ; implicit-def: $vgpr16_vgpr17
                                        ; implicit-def: $vgpr20
                                        ; implicit-def: $vgpr21
                                        ; implicit-def: $vgpr25
	s_cbranch_execz .LBB116_86
; %bb.85:
	s_lshl_b64 s[8:9], s[20:21], 6
	v_lshl_add_u64 v[0:1], v[4:5], 0, s[8:9]
	v_lshl_add_u64 v[2:3], v[0:1], 0, s[8:9]
	;; [unrolled: 1-line block ×3, first 2 shown]
	global_load_dwordx2 v[26:27], v[4:5], off offset:-256
	global_load_dwordx2 v[28:29], v[0:1], off offset:-256
	;; [unrolled: 1-line block ×4, first 2 shown]
	s_movk_i32 s8, 0x108
	v_add_u32_e32 v20, 8, v10
	v_add_u32_e32 v21, 16, v10
	;; [unrolled: 1-line block ×3, first 2 shown]
	v_mad_u32_u24 v0, v10, s8, v11
	v_mov_b64_e32 v[16:17], v[6:7]
	s_waitcnt vmcnt(3)
	ds_write_b64 v0, v[26:27]
	s_waitcnt vmcnt(2)
	ds_write_b64 v0, v[28:29] offset:2112
	s_waitcnt vmcnt(1)
	ds_write_b64 v0, v[30:31] offset:4224
	;; [unrolled: 2-line block ×3, first 2 shown]
.LBB116_86:
	v_lshlrev_b32_e32 v32, 3, v10
	v_lshlrev_b32_e32 v30, 3, v20
	;; [unrolled: 1-line block ×4, first 2 shown]
	v_add_u32_e32 v28, v23, v32
	v_add_u32_e32 v34, v23, v30
	v_add_u32_e32 v36, v23, v40
	v_add_u32_e32 v0, v23, v25
	s_waitcnt lgkmcnt(0)
	s_barrier
	ds_read_b64 v[26:27], v0
	ds_read_b64 v[20:21], v8
	ds_read2_b64 v[4:7], v9 offset1:33
	ds_read_b128 v[8:11], v19 offset:256
	ds_read_b128 v[0:3], v19 offset:272
	ds_read_b64 v[28:29], v28
	ds_read_b64 v[18:19], v18
	ds_read_b64 v[30:31], v30 offset:9088
	ds_read_b64 v[32:33], v32 offset:9088
	ds_read_b64 v[34:35], v34
	ds_read_b64 v[36:37], v36
	ds_read_b64 v[38:39], v25 offset:9088
	ds_read_b64 v[40:41], v40 offset:9088
	s_waitcnt lgkmcnt(4)
	v_pk_mul_f32 v[42:43], v[32:33], v[28:29] op_sel:[1,1] op_sel_hi:[0,1]
	v_pk_fma_f32 v[44:45], v[32:33], v[28:29], v[42:43] neg_lo:[0,0,1] neg_hi:[0,0,1]
	v_pk_fma_f32 v[28:29], v[32:33], v[28:29], v[42:43] op_sel_hi:[1,0,1]
	s_waitcnt lgkmcnt(3)
	v_pk_mul_f32 v[32:33], v[30:31], v[34:35] op_sel:[1,1] op_sel_hi:[0,1]
	v_pk_fma_f32 v[42:43], v[30:31], v[34:35], v[32:33] neg_lo:[0,0,1] neg_hi:[0,0,1]
	v_pk_fma_f32 v[30:31], v[30:31], v[34:35], v[32:33] op_sel_hi:[1,0,1]
	v_mov_b32_e32 v45, v29
	v_mov_b32_e32 v43, v31
	s_waitcnt lgkmcnt(0)
	v_pk_mul_f32 v[30:31], v[40:41], v[36:37] op_sel:[1,1] op_sel_hi:[0,1]
	v_pk_add_f32 v[28:29], v[44:45], 0 op_sel_hi:[1,0]
	v_pk_fma_f32 v[32:33], v[40:41], v[36:37], v[30:31] neg_lo:[0,0,1] neg_hi:[0,0,1]
	v_pk_fma_f32 v[30:31], v[40:41], v[36:37], v[30:31] op_sel_hi:[1,0,1]
	v_pk_add_f32 v[28:29], v[28:29], v[42:43]
	v_mov_b32_e32 v33, v31
	v_pk_mul_f32 v[30:31], v[38:39], v[26:27] op_sel:[1,1] op_sel_hi:[0,1]
	v_pk_add_f32 v[28:29], v[28:29], v[32:33]
	v_pk_fma_f32 v[32:33], v[38:39], v[26:27], v[30:31] neg_lo:[0,0,1] neg_hi:[0,0,1]
	v_pk_fma_f32 v[26:27], v[38:39], v[26:27], v[30:31] op_sel_hi:[1,0,1]
	s_nop 0
	v_mov_b32_e32 v33, v27
	v_pk_add_f32 v[26:27], v[28:29], v[32:33]
	s_barrier
	ds_write_b64 v24, v[26:27]
	s_waitcnt lgkmcnt(0)
	s_barrier
	s_and_saveexec_b64 s[8:9], s[6:7]
	s_cbranch_execz .LBB116_88
; %bb.87:
	ds_read2_b64 v[26:29], v23 offset1:1
	ds_read2_b64 v[30:33], v23 offset0:2 offset1:3
	ds_read2_b64 v[34:37], v23 offset0:4 offset1:5
	s_waitcnt lgkmcnt(2)
	v_pk_add_f32 v[26:27], v[50:51], v[26:27]
	s_nop 0
	v_pk_add_f32 v[38:39], v[26:27], v[28:29]
	ds_read2_b64 v[26:29], v23 offset0:6 offset1:7
	s_waitcnt lgkmcnt(2)
	v_pk_add_f32 v[30:31], v[38:39], v[30:31]
	s_nop 0
	v_pk_add_f32 v[30:31], v[30:31], v[32:33]
	s_waitcnt lgkmcnt(1)
	v_pk_add_f32 v[30:31], v[30:31], v[34:35]
	s_nop 0
	v_pk_add_f32 v[30:31], v[30:31], v[36:37]
	;; [unrolled: 4-line block ×3, first 2 shown]
.LBB116_88:
	s_or_b64 exec, exec, s[8:9]
	v_pk_mul_f32 v[26:27], v[8:9], v[20:21] op_sel:[1,1] op_sel_hi:[0,1]
	v_pk_fma_f32 v[28:29], v[8:9], v[20:21], v[26:27] neg_lo:[0,0,1] neg_hi:[0,0,1]
	v_pk_fma_f32 v[8:9], v[8:9], v[20:21], v[26:27] op_sel_hi:[1,0,1]
	v_pk_mul_f32 v[20:21], v[10:11], v[4:5] op_sel:[1,1] op_sel_hi:[0,1]
	v_mov_b32_e32 v29, v9
	v_pk_fma_f32 v[26:27], v[10:11], v[4:5], v[20:21] neg_lo:[0,0,1] neg_hi:[0,0,1]
	v_pk_fma_f32 v[4:5], v[10:11], v[4:5], v[20:21] op_sel_hi:[1,0,1]
	v_pk_add_f32 v[8:9], v[28:29], 0 op_sel_hi:[1,0]
	v_mov_b32_e32 v27, v5
	v_pk_add_f32 v[4:5], v[8:9], v[26:27]
	v_pk_mul_f32 v[8:9], v[0:1], v[6:7] op_sel:[1,1] op_sel_hi:[0,1]
	v_pk_fma_f32 v[10:11], v[0:1], v[6:7], v[8:9] neg_lo:[0,0,1] neg_hi:[0,0,1]
	v_pk_fma_f32 v[0:1], v[0:1], v[6:7], v[8:9] op_sel_hi:[1,0,1]
	s_nop 0
	v_mov_b32_e32 v11, v1
	v_pk_add_f32 v[0:1], v[4:5], v[10:11]
	v_pk_mul_f32 v[4:5], v[2:3], v[18:19] op_sel:[1,1] op_sel_hi:[0,1]
	v_pk_fma_f32 v[6:7], v[2:3], v[18:19], v[4:5] neg_lo:[0,0,1] neg_hi:[0,0,1]
	v_pk_fma_f32 v[2:3], v[2:3], v[18:19], v[4:5] op_sel_hi:[1,0,1]
	s_barrier
	v_mov_b32_e32 v7, v3
	v_pk_add_f32 v[0:1], v[0:1], v[6:7]
	ds_write_b64 v24, v[0:1]
	s_waitcnt lgkmcnt(0)
	s_barrier
	s_and_saveexec_b64 s[6:7], s[4:5]
	s_cbranch_execz .LBB116_90
; %bb.89:
	ds_read2_b64 v[0:3], v23 offset1:1
	ds_read2_b64 v[4:7], v23 offset0:2 offset1:3
	ds_read2_b64 v[8:11], v23 offset0:4 offset1:5
	s_waitcnt lgkmcnt(2)
	v_pk_add_f32 v[0:1], v[50:51], v[0:1]
	s_nop 0
	v_pk_add_f32 v[18:19], v[0:1], v[2:3]
	ds_read2_b64 v[0:3], v23 offset0:6 offset1:7
	s_waitcnt lgkmcnt(2)
	v_pk_add_f32 v[4:5], v[18:19], v[4:5]
	s_nop 0
	v_pk_add_f32 v[4:5], v[4:5], v[6:7]
	s_waitcnt lgkmcnt(1)
	v_pk_add_f32 v[4:5], v[4:5], v[8:9]
	s_nop 0
	v_pk_add_f32 v[4:5], v[4:5], v[10:11]
	;; [unrolled: 4-line block ×3, first 2 shown]
.LBB116_90:
	s_or_b64 exec, exec, s[6:7]
	s_load_dwordx2 s[0:1], s[0:1], 0x68
	s_mul_hi_u32 s4, s35, s3
	s_mul_i32 s36, s36, s3
	s_add_i32 s4, s4, s36
	s_mul_i32 s3, s35, s3
	s_mul_i32 s4, s4, s33
	s_mul_hi_u32 s5, s3, s33
	s_add_i32 s5, s5, s4
	s_mul_i32 s4, s3, s33
	s_lshl_b64 s[4:5], s[4:5], 3
	s_waitcnt lgkmcnt(0)
	s_add_u32 s3, s0, s4
	s_addc_u32 s4, s1, s5
	s_mul_hi_i32 s1, s35, s2
	s_mul_i32 s0, s35, s2
	s_lshl_b64 s[0:1], s[0:1], 3
	s_add_u32 s6, s3, s0
	s_addc_u32 s7, s4, s1
	s_add_i32 s0, s2, 1
	s_cmp_ge_u32 s0, s33
	v_lshlrev_b32_e32 v52, 3, v120
	s_barrier
	s_cbranch_scc1 .LBB116_148
; %bb.91:
	s_mul_i32 s0, s28, s27
	s_mul_hi_u32 s1, s28, s26
	s_add_i32 s0, s1, s0
	s_mul_i32 s1, s29, s26
	s_add_i32 s1, s0, s1
	s_mul_i32 s0, s28, s26
	s_lshl_b64 s[0:1], s[0:1], 3
	v_mov_b32_e32 v0, s1
	v_subrev_co_u32_e32 v54, vcc, s0, v12
	v_and_b32_e32 v1, 15, v120
	s_nop 0
	v_subb_co_u32_e32 v55, vcc, v13, v0, vcc
	v_lshrrev_b32_e32 v0, 4, v22
	v_lshlrev_b32_e32 v2, 5, v0
	v_mul_i32_i24_e32 v38, 0xffffffe8, v0
	v_and_b32_e32 v0, 48, v120
	v_lshlrev_b32_e32 v36, 5, v121
	s_movk_i32 s4, 0x218
	v_lshlrev_b32_e32 v0, 3, v0
	v_mad_u32_u24 v128, v1, s4, v0
	v_or_b32_e32 v0, 0x78, v52
	v_add_u32_e32 v3, 0x100, v36
	v_mad_u32_u24 v127, v1, s4, v2
	v_mad_u32_u24 v129, v1, s4, v0
	v_mad_u64_u32 v[0:1], s[4:5], s20, v3, 0
	v_mov_b32_e32 v2, v1
	v_lshlrev_b64 v[4:5], 3, v[14:15]
	v_mad_u64_u32 v[2:3], s[4:5], s21, v3, v[2:3]
	v_sub_co_u32_e32 v0, vcc, v0, v4
	v_add_u32_e32 v7, 0x110, v36
	s_nop 0
	v_subb_co_u32_e32 v1, vcc, v2, v5, vcc
	v_mad_u64_u32 v[2:3], s[4:5], s20, v7, 0
	v_mov_b32_e32 v6, v3
	v_mad_u64_u32 v[6:7], s[4:5], s21, v7, v[6:7]
	v_sub_co_u32_e32 v2, vcc, v2, v4
	v_add_u32_e32 v9, 0x108, v36
	s_nop 0
	v_subb_co_u32_e32 v3, vcc, v6, v5, vcc
	v_mad_u64_u32 v[6:7], s[4:5], s20, v9, 0
	v_mov_b32_e32 v8, v7
	v_mad_u64_u32 v[8:9], s[4:5], s21, v9, v[8:9]
	v_sub_co_u32_e32 v6, vcc, v6, v4
	v_add_u32_e32 v11, 0x118, v36
	s_nop 0
	v_subb_co_u32_e32 v7, vcc, v8, v5, vcc
	v_mad_u64_u32 v[8:9], s[4:5], s20, v11, 0
	v_mov_b32_e32 v10, v9
	v_mad_u64_u32 v[10:11], s[4:5], s21, v11, v[10:11]
	v_sub_co_u32_e32 v8, vcc, v8, v4
	v_add_u32_e32 v13, 0x180, v36
	s_nop 0
	v_subb_co_u32_e32 v9, vcc, v10, v5, vcc
	v_mad_u64_u32 v[10:11], s[4:5], s20, v13, 0
	v_mov_b32_e32 v12, v11
	v_mad_u64_u32 v[12:13], s[4:5], s21, v13, v[12:13]
	v_sub_co_u32_e32 v10, vcc, v10, v4
	v_add_u32_e32 v15, 0x188, v36
	s_nop 0
	v_subb_co_u32_e32 v11, vcc, v12, v5, vcc
	v_mad_u64_u32 v[12:13], s[4:5], s20, v15, 0
	v_mov_b32_e32 v14, v13
	v_mad_u64_u32 v[14:15], s[4:5], s21, v15, v[14:15]
	v_sub_co_u32_e32 v12, vcc, v12, v4
	v_add_u32_e32 v19, 0x190, v36
	s_nop 0
	v_subb_co_u32_e32 v13, vcc, v14, v5, vcc
	v_mad_u64_u32 v[14:15], s[4:5], s20, v19, 0
	v_mov_b32_e32 v18, v15
	v_mad_u64_u32 v[18:19], s[4:5], s21, v19, v[18:19]
	v_sub_co_u32_e32 v14, vcc, v14, v4
	v_add_u32_e32 v21, 0x198, v36
	s_nop 0
	v_subb_co_u32_e32 v15, vcc, v18, v5, vcc
	v_mad_u64_u32 v[18:19], s[4:5], s20, v21, 0
	v_mov_b32_e32 v20, v19
	v_mad_u64_u32 v[20:21], s[4:5], s21, v21, v[20:21]
	v_sub_co_u32_e32 v18, vcc, v18, v4
	v_add_u32_e32 v23, 0x200, v36
	s_movk_i32 s0, 0x860
	v_subb_co_u32_e32 v19, vcc, v20, v5, vcc
	v_mad_u64_u32 v[20:21], s[4:5], s20, v23, 0
	v_mad_u32_u24 v126, v121, s0, v52
	v_cmp_gt_u32_e64 s[0:1], 64, v22
	v_mov_b32_e32 v22, v21
	v_mad_u64_u32 v[22:23], s[4:5], s21, v23, v[22:23]
	v_sub_co_u32_e32 v20, vcc, v20, v4
	v_add_u32_e32 v25, 0x208, v36
	s_nop 0
	v_subb_co_u32_e32 v21, vcc, v22, v5, vcc
	v_mad_u64_u32 v[22:23], s[4:5], s20, v25, 0
	v_mov_b32_e32 v24, v23
	v_mad_u64_u32 v[24:25], s[4:5], s21, v25, v[24:25]
	v_sub_co_u32_e32 v22, vcc, v22, v4
	v_add_u32_e32 v27, 0x210, v36
	s_nop 0
	v_subb_co_u32_e32 v23, vcc, v24, v5, vcc
	v_mad_u64_u32 v[24:25], s[4:5], s20, v27, 0
	;; [unrolled: 7-line block ×7, first 2 shown]
	v_add_u32_e32 v124, 0x2180, v36
	v_mov_b32_e32 v36, v35
	v_mad_u64_u32 v[36:37], s[4:5], s21, v37, v[36:37]
	v_sub_co_u32_e32 v4, vcc, v34, v4
	v_lshlrev_b32_e32 v122, 2, v121
	s_nop 0
	v_subb_co_u32_e32 v5, vcc, v36, v5, vcc
	v_mov_b32_e32 v53, 0
	s_add_i32 s3, s33, -2
	v_add_u32_e32 v123, 0x2180, v52
	v_add_u32_e32 v125, 0x2380, v52
	v_or_b32_e32 v130, 1, v122
	v_or_b32_e32 v131, 2, v122
	;; [unrolled: 1-line block ×3, first 2 shown]
	v_add_u32_e32 v133, 16, v122
	v_add_u32_e32 v134, 17, v122
	;; [unrolled: 1-line block ×8, first 2 shown]
	v_lshl_add_u64 v[56:57], v[16:17], 0, v[0:1]
	v_lshl_add_u64 v[58:59], v[16:17], 0, v[2:3]
	;; [unrolled: 1-line block ×16, first 2 shown]
	v_add_u32_e32 v141, 48, v122
	v_add_u32_e32 v142, 49, v122
	s_add_i32 s22, s26, 64
	s_lshl_b64 s[8:9], s[20:21], 9
	v_add_u32_e32 v143, v127, v38
	v_mov_b32_e32 v146, v53
	v_mov_b32_e32 v147, v53
	v_add_u32_e32 v144, 50, v122
	v_add_u32_e32 v145, 51, v122
	s_branch .LBB116_93
.LBB116_92:                             ;   in Loop: Header=BB116_93 Depth=1
	s_or_b64 exec, exec, s[4:5]
	v_mul_f32_e32 v148, v5, v91
	v_fma_f32 v148, v4, v90, -v148
	v_mul_f32_e32 v5, v5, v90
	v_mul_f32_e32 v90, v7, v89
	v_add_f32_e32 v50, v50, v148
	v_fma_f32 v90, v6, v88, -v90
	v_mul_f32_e32 v7, v7, v88
	v_mul_f32_e32 v88, v1, v93
	v_fmac_f32_e32 v5, v4, v91
	v_add_f32_e32 v50, v50, v90
	v_fma_f32 v88, v0, v92, -v88
	v_mul_f32_e32 v1, v1, v92
	v_add_f32_e32 v4, v51, v5
	v_fmac_f32_e32 v7, v6, v89
	v_add_f32_e32 v50, v50, v88
	v_mul_f32_e32 v88, v3, v95
	v_mul_f32_e32 v3, v3, v94
	v_add_f32_e32 v4, v4, v7
	v_fmac_f32_e32 v1, v0, v93
	v_add_f32_e32 v0, v4, v1
	v_fmac_f32_e32 v3, v2, v95
	v_fma_f32 v88, v2, v94, -v88
	v_add_f32_e32 v1, v0, v3
	v_mul_f32_e32 v0, v13, v99
	v_add_f32_e32 v50, v50, v88
	v_fma_f32 v0, v12, v98, -v0
	v_mul_f32_e32 v6, v13, v98
	v_mul_f32_e32 v2, v15, v97
	v_add_f32_e32 v0, v50, v0
	v_fma_f32 v2, v14, v96, -v2
	v_mul_f32_e32 v7, v15, v96
	v_fmac_f32_e32 v6, v12, v99
	v_add_f32_e32 v0, v0, v2
	v_mul_f32_e32 v2, v9, v101
	v_mul_f32_e32 v3, v9, v100
	v_add_f32_e32 v1, v1, v6
	v_fmac_f32_e32 v7, v14, v97
	v_mov_b32_e32 v16, v107
	v_mov_b32_e32 v17, v107
	v_fma_f32 v2, v8, v100, -v2
	v_mul_f32_e32 v4, v11, v103
	v_mul_f32_e32 v5, v11, v102
	v_add_f32_e32 v1, v1, v7
	v_fmac_f32_e32 v3, v8, v101
	v_mov_b32_e32 v107, v106
	v_fma_f32 v4, v10, v102, -v4
	v_pk_add_f32 v[0:1], v[0:1], v[2:3]
	v_fmac_f32_e32 v5, v10, v103
	v_pk_mul_f32 v[2:3], v[28:29], v[16:17]
	v_mov_b32_e32 v18, v105
	v_mov_b32_e32 v19, v105
	v_pk_add_f32 v[0:1], v[0:1], v[4:5]
	v_pk_fma_f32 v[4:5], v[28:29], v[106:107], v[2:3] op_sel:[0,0,1] op_sel_hi:[1,1,0] neg_lo:[0,0,1] neg_hi:[0,0,1]
	v_pk_fma_f32 v[2:3], v[28:29], v[106:107], v[2:3] op_sel:[0,0,1] op_sel_hi:[1,1,0]
	v_mov_b32_e32 v105, v104
	v_mov_b32_e32 v5, v3
	v_pk_mul_f32 v[2:3], v[30:31], v[18:19]
	v_mov_b32_e32 v20, v109
	v_mov_b32_e32 v21, v109
	v_pk_add_f32 v[0:1], v[0:1], v[4:5]
	v_pk_fma_f32 v[4:5], v[30:31], v[104:105], v[2:3] op_sel:[0,0,1] op_sel_hi:[1,1,0] neg_lo:[0,0,1] neg_hi:[0,0,1]
	v_pk_fma_f32 v[2:3], v[30:31], v[104:105], v[2:3] op_sel:[0,0,1] op_sel_hi:[1,1,0]
	v_mov_b32_e32 v109, v108
	v_mov_b32_e32 v5, v3
	;; [unrolled: 8-line block ×5, first 2 shown]
	v_pk_mul_f32 v[2:3], v[38:39], v[42:43]
	v_mov_b32_e32 v44, v117
	v_mov_b32_e32 v45, v117
	v_pk_fma_f32 v[6:7], v[38:39], v[112:113], v[2:3] op_sel:[0,0,1] op_sel_hi:[1,1,0] neg_lo:[0,0,1] neg_hi:[0,0,1]
	v_pk_fma_f32 v[2:3], v[38:39], v[112:113], v[2:3] op_sel:[0,0,1] op_sel_hi:[1,1,0]
	v_mov_b32_e32 v117, v116
	v_mov_b32_e32 v7, v3
	v_pk_mul_f32 v[2:3], v[32:33], v[44:45]
	v_mov_b32_e32 v46, v119
	v_mov_b32_e32 v47, v119
	v_pk_fma_f32 v[8:9], v[32:33], v[116:117], v[2:3] op_sel:[0,0,1] op_sel_hi:[1,1,0] neg_lo:[0,0,1] neg_hi:[0,0,1]
	v_pk_fma_f32 v[2:3], v[32:33], v[116:117], v[2:3] op_sel:[0,0,1] op_sel_hi:[1,1,0]
	v_mov_b32_e32 v119, v118
	v_mov_b32_e32 v9, v3
	v_pk_mul_f32 v[2:3], v[34:35], v[46:47]
	v_pk_add_f32 v[0:1], v[0:1], v[4:5]
	v_pk_fma_f32 v[10:11], v[34:35], v[118:119], v[2:3] op_sel:[0,0,1] op_sel_hi:[1,1,0] neg_lo:[0,0,1] neg_hi:[0,0,1]
	v_pk_fma_f32 v[2:3], v[34:35], v[118:119], v[2:3] op_sel:[0,0,1] op_sel_hi:[1,1,0]
	v_pk_add_f32 v[0:1], v[0:1], v[6:7]
	v_mov_b32_e32 v11, v3
	v_pk_add_f32 v[0:1], v[0:1], v[8:9]
	s_add_i32 s4, s2, 1
	s_add_i32 s22, s22, 64
	;; [unrolled: 1-line block ×3, first 2 shown]
	v_pk_add_f32 v[50:51], v[0:1], v[10:11]
	v_lshl_add_u64 v[56:57], v[56:57], 0, s[8:9]
	v_lshl_add_u64 v[58:59], v[58:59], 0, s[8:9]
	;; [unrolled: 1-line block ×16, first 2 shown]
	s_cmp_ge_u32 s2, s33
	s_mov_b32 s2, s4
	s_barrier
	s_cbranch_scc1 .LBB116_148
.LBB116_93:                             ; =>This Inner Loop Header: Depth=1
	s_cmp_eq_u32 s3, s2
	s_cselect_b32 s20, s34, 0
	s_and_saveexec_b64 s[4:5], s[14:15]
	s_cbranch_execz .LBB116_98
; %bb.94:                               ;   in Loop: Header=BB116_93 Depth=1
	s_cmp_lg_u32 s20, 0
	s_cselect_b64 s[10:11], -1, 0
	v_cmp_le_i32_e32 vcc, s20, v120
	s_and_b64 s[10:11], s[10:11], vcc
	s_and_saveexec_b64 s[12:13], s[10:11]
	s_xor_b64 s[10:11], exec, s[12:13]
; %bb.95:                               ;   in Loop: Header=BB116_93 Depth=1
	ds_write_b64 v123, v[146:147]
; %bb.96:                               ;   in Loop: Header=BB116_93 Depth=1
	s_andn2_saveexec_b64 s[10:11], s[10:11]
	s_cbranch_execz .LBB116_98
; %bb.97:                               ;   in Loop: Header=BB116_93 Depth=1
	s_ashr_i32 s10, s22, 31
	s_mul_hi_u32 s11, s28, s22
	s_mul_i32 s10, s28, s10
	s_add_i32 s10, s11, s10
	s_mul_i32 s11, s29, s22
	s_add_i32 s11, s10, s11
	s_mul_i32 s10, s28, s22
	v_lshl_add_u64 v[0:1], s[10:11], 3, v[54:55]
	global_load_dwordx2 v[0:1], v[0:1], off
	s_waitcnt vmcnt(0)
	ds_write_b64 v123, v[0:1]
.LBB116_98:                             ;   in Loop: Header=BB116_93 Depth=1
	s_or_b64 exec, exec, s[4:5]
	s_cmp_eq_u32 s20, 0
	s_cselect_b64 s[10:11], -1, 0
	s_cmp_lg_u32 s20, 0
	s_cselect_b64 s[12:13], -1, 0
	v_lshl_add_u64 v[0:1], v[56:57], 0, v[52:53]
	s_and_b64 vcc, exec, s[12:13]
	s_waitcnt lgkmcnt(0)
	s_barrier
	s_cbranch_vccz .LBB116_106
; %bb.99:                               ;   in Loop: Header=BB116_93 Depth=1
	v_cmp_gt_i32_e32 vcc, s20, v122
	v_mov_b64_e32 v[88:89], 0
	v_mov_b64_e32 v[90:91], 0
	s_and_saveexec_b64 s[4:5], vcc
	s_cbranch_execz .LBB116_101
; %bb.100:                              ;   in Loop: Header=BB116_93 Depth=1
	global_load_dwordx2 v[90:91], v[0:1], off
.LBB116_101:                            ;   in Loop: Header=BB116_93 Depth=1
	s_or_b64 exec, exec, s[4:5]
	v_cmp_gt_i32_e32 vcc, s20, v130
	s_and_saveexec_b64 s[4:5], vcc
	s_cbranch_execz .LBB116_103
; %bb.102:                              ;   in Loop: Header=BB116_93 Depth=1
	v_lshl_add_u64 v[2:3], v[60:61], 0, v[52:53]
	global_load_dwordx2 v[88:89], v[2:3], off
.LBB116_103:                            ;   in Loop: Header=BB116_93 Depth=1
	s_or_b64 exec, exec, s[4:5]
	v_cmp_gt_i32_e32 vcc, s20, v131
	v_mov_b64_e32 v[92:93], 0
	s_and_saveexec_b64 s[4:5], vcc
	s_cbranch_execz .LBB116_105
; %bb.104:                              ;   in Loop: Header=BB116_93 Depth=1
	v_lshl_add_u64 v[2:3], v[58:59], 0, v[52:53]
	global_load_dwordx2 v[92:93], v[2:3], off
.LBB116_105:                            ;   in Loop: Header=BB116_93 Depth=1
	s_or_b64 exec, exec, s[4:5]
	v_cmp_gt_i32_e64 s[4:5], s20, v132
	s_branch .LBB116_108
.LBB116_106:                            ;   in Loop: Header=BB116_93 Depth=1
	s_mov_b64 s[4:5], 0
                                        ; implicit-def: $vgpr92_vgpr93
                                        ; implicit-def: $vgpr88_vgpr89
                                        ; implicit-def: $vgpr90_vgpr91
	s_cbranch_execz .LBB116_108
; %bb.107:                              ;   in Loop: Header=BB116_93 Depth=1
	global_load_dwordx2 v[90:91], v[0:1], off
	v_lshl_add_u64 v[0:1], v[60:61], 0, v[52:53]
	global_load_dwordx2 v[88:89], v[0:1], off
	v_lshl_add_u64 v[0:1], v[58:59], 0, v[52:53]
	global_load_dwordx2 v[92:93], v[0:1], off
	s_or_b64 s[4:5], s[4:5], exec
.LBB116_108:                            ;   in Loop: Header=BB116_93 Depth=1
	v_mov_b64_e32 v[94:95], 0
	s_and_saveexec_b64 s[16:17], s[4:5]
	s_cbranch_execz .LBB116_110
; %bb.109:                              ;   in Loop: Header=BB116_93 Depth=1
	v_lshl_add_u64 v[0:1], v[62:63], 0, v[52:53]
	global_load_dwordx2 v[94:95], v[0:1], off
.LBB116_110:                            ;   in Loop: Header=BB116_93 Depth=1
	s_or_b64 exec, exec, s[16:17]
	ds_read_b64 v[8:9], v125
	ds_read_b128 v[4:7], v124
	ds_read_b128 v[0:3], v124 offset:16
	s_andn2_b64 vcc, exec, s[12:13]
	s_waitcnt vmcnt(0) lgkmcnt(2)
	v_pk_mul_f32 v[10:11], v[8:9], v[90:91] op_sel:[1,1] op_sel_hi:[0,1]
	v_pk_mul_f32 v[12:13], v[8:9], v[88:89] op_sel:[1,1] op_sel_hi:[0,1]
	v_pk_fma_f32 v[14:15], v[8:9], v[90:91], v[10:11] neg_lo:[0,0,1] neg_hi:[0,0,1]
	v_pk_fma_f32 v[10:11], v[8:9], v[90:91], v[10:11] op_sel_hi:[1,0,1]
	s_nop 0
	v_mov_b32_e32 v15, v11
	v_pk_fma_f32 v[10:11], v[8:9], v[88:89], v[12:13] neg_lo:[0,0,1] neg_hi:[0,0,1]
	v_pk_fma_f32 v[12:13], v[8:9], v[88:89], v[12:13] op_sel_hi:[1,0,1]
	s_nop 0
	v_mov_b32_e32 v11, v13
	ds_write2_b64 v126, v[14:15], v[10:11] offset1:67
	v_pk_mul_f32 v[10:11], v[8:9], v[92:93] op_sel:[1,1] op_sel_hi:[0,1]
	v_pk_fma_f32 v[12:13], v[8:9], v[92:93], v[10:11] neg_lo:[0,0,1] neg_hi:[0,0,1]
	v_pk_fma_f32 v[10:11], v[8:9], v[92:93], v[10:11] op_sel_hi:[1,0,1]
	s_nop 0
	v_mov_b32_e32 v13, v11
	v_pk_mul_f32 v[10:11], v[8:9], v[94:95] op_sel:[1,1] op_sel_hi:[0,1]
	v_pk_fma_f32 v[14:15], v[8:9], v[94:95], v[10:11] neg_lo:[0,0,1] neg_hi:[0,0,1]
	v_pk_fma_f32 v[8:9], v[8:9], v[94:95], v[10:11] op_sel_hi:[1,0,1]
	s_nop 0
	v_mov_b32_e32 v15, v9
	ds_write2_b64 v126, v[12:13], v[14:15] offset0:134 offset1:201
	s_waitcnt lgkmcnt(0)
	s_barrier
	ds_read2_b64 v[20:23], v127 offset1:1
	ds_read2_b64 v[16:19], v127 offset0:2 offset1:3
	v_cndmask_b32_e64 v8, 0, 1, s[12:13]
	v_cmp_ne_u32_e64 s[4:5], 1, v8
	v_lshl_add_u64 v[8:9], v[64:65], 0, v[52:53]
	s_waitcnt lgkmcnt(0)
	s_barrier
	s_cbranch_vccnz .LBB116_118
; %bb.111:                              ;   in Loop: Header=BB116_93 Depth=1
	v_cmp_gt_i32_e32 vcc, s20, v133
	v_mov_b64_e32 v[96:97], 0
	v_mov_b64_e32 v[98:99], 0
	s_and_saveexec_b64 s[12:13], vcc
	s_cbranch_execz .LBB116_113
; %bb.112:                              ;   in Loop: Header=BB116_93 Depth=1
	global_load_dwordx2 v[98:99], v[8:9], off
.LBB116_113:                            ;   in Loop: Header=BB116_93 Depth=1
	s_or_b64 exec, exec, s[12:13]
	v_cmp_gt_i32_e32 vcc, s20, v134
	s_and_saveexec_b64 s[12:13], vcc
	s_cbranch_execz .LBB116_115
; %bb.114:                              ;   in Loop: Header=BB116_93 Depth=1
	v_lshl_add_u64 v[10:11], v[66:67], 0, v[52:53]
	global_load_dwordx2 v[96:97], v[10:11], off
.LBB116_115:                            ;   in Loop: Header=BB116_93 Depth=1
	s_or_b64 exec, exec, s[12:13]
	v_cmp_gt_i32_e32 vcc, s20, v135
	v_mov_b64_e32 v[100:101], 0
	s_and_saveexec_b64 s[12:13], vcc
	s_cbranch_execz .LBB116_117
; %bb.116:                              ;   in Loop: Header=BB116_93 Depth=1
	v_lshl_add_u64 v[10:11], v[68:69], 0, v[52:53]
	global_load_dwordx2 v[100:101], v[10:11], off
.LBB116_117:                            ;   in Loop: Header=BB116_93 Depth=1
	s_or_b64 exec, exec, s[12:13]
	v_cmp_gt_i32_e64 s[12:13], s20, v136
	s_branch .LBB116_120
.LBB116_118:                            ;   in Loop: Header=BB116_93 Depth=1
	s_mov_b64 s[12:13], 0
                                        ; implicit-def: $vgpr100_vgpr101
                                        ; implicit-def: $vgpr96_vgpr97
                                        ; implicit-def: $vgpr98_vgpr99
	s_cbranch_execz .LBB116_120
; %bb.119:                              ;   in Loop: Header=BB116_93 Depth=1
	global_load_dwordx2 v[98:99], v[8:9], off
	v_lshl_add_u64 v[8:9], v[66:67], 0, v[52:53]
	global_load_dwordx2 v[96:97], v[8:9], off
	v_lshl_add_u64 v[8:9], v[68:69], 0, v[52:53]
	global_load_dwordx2 v[100:101], v[8:9], off
	s_or_b64 s[12:13], s[12:13], exec
.LBB116_120:                            ;   in Loop: Header=BB116_93 Depth=1
	v_mov_b64_e32 v[102:103], 0
	s_and_saveexec_b64 s[16:17], s[12:13]
	s_cbranch_execz .LBB116_122
; %bb.121:                              ;   in Loop: Header=BB116_93 Depth=1
	v_lshl_add_u64 v[8:9], v[70:71], 0, v[52:53]
	global_load_dwordx2 v[102:103], v[8:9], off
.LBB116_122:                            ;   in Loop: Header=BB116_93 Depth=1
	s_or_b64 exec, exec, s[16:17]
	ds_read_b64 v[24:25], v125
	ds_read_b128 v[12:15], v124 offset:128
	ds_read_b128 v[8:11], v124 offset:144
	s_and_b64 vcc, exec, s[4:5]
	s_waitcnt vmcnt(0) lgkmcnt(2)
	v_pk_mul_f32 v[26:27], v[24:25], v[98:99] op_sel:[1,1] op_sel_hi:[0,1]
	v_pk_mul_f32 v[28:29], v[24:25], v[96:97] op_sel:[1,1] op_sel_hi:[0,1]
	v_pk_fma_f32 v[30:31], v[24:25], v[98:99], v[26:27] neg_lo:[0,0,1] neg_hi:[0,0,1]
	v_pk_fma_f32 v[26:27], v[24:25], v[98:99], v[26:27] op_sel_hi:[1,0,1]
	s_nop 0
	v_mov_b32_e32 v31, v27
	v_pk_fma_f32 v[26:27], v[24:25], v[96:97], v[28:29] neg_lo:[0,0,1] neg_hi:[0,0,1]
	v_pk_fma_f32 v[28:29], v[24:25], v[96:97], v[28:29] op_sel_hi:[1,0,1]
	s_nop 0
	v_mov_b32_e32 v27, v29
	ds_write2_b64 v126, v[30:31], v[26:27] offset1:67
	v_pk_mul_f32 v[26:27], v[24:25], v[100:101] op_sel:[1,1] op_sel_hi:[0,1]
	v_pk_fma_f32 v[28:29], v[24:25], v[100:101], v[26:27] neg_lo:[0,0,1] neg_hi:[0,0,1]
	v_pk_fma_f32 v[26:27], v[24:25], v[100:101], v[26:27] op_sel_hi:[1,0,1]
	s_nop 0
	v_mov_b32_e32 v29, v27
	v_pk_mul_f32 v[26:27], v[24:25], v[102:103] op_sel:[1,1] op_sel_hi:[0,1]
	v_pk_fma_f32 v[30:31], v[24:25], v[102:103], v[26:27] neg_lo:[0,0,1] neg_hi:[0,0,1]
	v_pk_fma_f32 v[24:25], v[24:25], v[102:103], v[26:27] op_sel_hi:[1,0,1]
	s_nop 0
	v_mov_b32_e32 v31, v25
	ds_write2_b64 v126, v[28:29], v[30:31] offset0:134 offset1:201
	s_waitcnt lgkmcnt(0)
	s_barrier
	ds_read2_b64 v[36:39], v127 offset1:1
	ds_read2_b64 v[32:35], v127 offset0:2 offset1:3
	v_lshl_add_u64 v[24:25], v[72:73], 0, v[52:53]
	s_waitcnt lgkmcnt(0)
	s_barrier
	s_cbranch_vccnz .LBB116_130
; %bb.123:                              ;   in Loop: Header=BB116_93 Depth=1
	v_cmp_gt_i32_e32 vcc, s20, v137
	v_mov_b64_e32 v[104:105], 0
	v_mov_b64_e32 v[106:107], 0
	s_and_saveexec_b64 s[12:13], vcc
	s_cbranch_execz .LBB116_125
; %bb.124:                              ;   in Loop: Header=BB116_93 Depth=1
	global_load_dwordx2 v[106:107], v[24:25], off
.LBB116_125:                            ;   in Loop: Header=BB116_93 Depth=1
	s_or_b64 exec, exec, s[12:13]
	v_cmp_gt_i32_e32 vcc, s20, v138
	s_and_saveexec_b64 s[12:13], vcc
	s_cbranch_execz .LBB116_127
; %bb.126:                              ;   in Loop: Header=BB116_93 Depth=1
	v_lshl_add_u64 v[26:27], v[74:75], 0, v[52:53]
	global_load_dwordx2 v[104:105], v[26:27], off
.LBB116_127:                            ;   in Loop: Header=BB116_93 Depth=1
	s_or_b64 exec, exec, s[12:13]
	v_cmp_gt_i32_e32 vcc, s20, v139
	v_mov_b64_e32 v[108:109], 0
	s_and_saveexec_b64 s[12:13], vcc
	s_cbranch_execz .LBB116_129
; %bb.128:                              ;   in Loop: Header=BB116_93 Depth=1
	v_lshl_add_u64 v[26:27], v[76:77], 0, v[52:53]
	global_load_dwordx2 v[108:109], v[26:27], off
.LBB116_129:                            ;   in Loop: Header=BB116_93 Depth=1
	s_or_b64 exec, exec, s[12:13]
	v_cmp_gt_i32_e64 s[12:13], s20, v140
	s_branch .LBB116_132
.LBB116_130:                            ;   in Loop: Header=BB116_93 Depth=1
	s_mov_b64 s[12:13], 0
                                        ; implicit-def: $vgpr108_vgpr109
                                        ; implicit-def: $vgpr104_vgpr105
                                        ; implicit-def: $vgpr106_vgpr107
	s_cbranch_execz .LBB116_132
; %bb.131:                              ;   in Loop: Header=BB116_93 Depth=1
	global_load_dwordx2 v[106:107], v[24:25], off
	v_lshl_add_u64 v[24:25], v[74:75], 0, v[52:53]
	global_load_dwordx2 v[104:105], v[24:25], off
	v_lshl_add_u64 v[24:25], v[76:77], 0, v[52:53]
	global_load_dwordx2 v[108:109], v[24:25], off
	s_or_b64 s[12:13], s[12:13], exec
.LBB116_132:                            ;   in Loop: Header=BB116_93 Depth=1
	v_mov_b64_e32 v[110:111], 0
	s_and_saveexec_b64 s[16:17], s[12:13]
	s_cbranch_execz .LBB116_134
; %bb.133:                              ;   in Loop: Header=BB116_93 Depth=1
	v_lshl_add_u64 v[24:25], v[78:79], 0, v[52:53]
	global_load_dwordx2 v[110:111], v[24:25], off
.LBB116_134:                            ;   in Loop: Header=BB116_93 Depth=1
	s_or_b64 exec, exec, s[16:17]
	ds_read_b64 v[24:25], v125
	s_and_b64 vcc, exec, s[4:5]
	v_lshl_add_u64 v[118:119], v[80:81], 0, v[52:53]
	s_waitcnt vmcnt(0) lgkmcnt(0)
	v_pk_mul_f32 v[26:27], v[24:25], v[106:107] op_sel:[0,1]
	v_pk_mul_f32 v[28:29], v[24:25], v[104:105] op_sel:[0,1]
	v_pk_fma_f32 v[30:31], v[24:25], v[106:107], v[26:27] op_sel:[0,0,1] op_sel_hi:[1,1,0] neg_lo:[0,0,1] neg_hi:[0,0,1]
	v_pk_fma_f32 v[26:27], v[24:25], v[106:107], v[26:27] op_sel:[0,0,1] op_sel_hi:[1,0,0]
	v_pk_fma_f32 v[40:41], v[24:25], v[104:105], v[28:29] op_sel:[0,0,1] op_sel_hi:[1,1,0] neg_lo:[0,0,1] neg_hi:[0,0,1]
	v_pk_fma_f32 v[28:29], v[24:25], v[104:105], v[28:29] op_sel:[0,0,1] op_sel_hi:[1,0,0]
	v_mov_b32_e32 v31, v27
	v_pk_mul_f32 v[26:27], v[24:25], v[108:109] op_sel:[0,1]
	v_mov_b32_e32 v41, v29
	v_pk_fma_f32 v[28:29], v[24:25], v[108:109], v[26:27] op_sel:[0,0,1] op_sel_hi:[1,1,0] neg_lo:[0,0,1] neg_hi:[0,0,1]
	v_pk_fma_f32 v[26:27], v[24:25], v[108:109], v[26:27] op_sel:[0,0,1] op_sel_hi:[1,0,0]
	ds_write2_b64 v126, v[30:31], v[40:41] offset1:67
	v_mov_b32_e32 v29, v27
	v_pk_mul_f32 v[26:27], v[24:25], v[110:111] op_sel:[0,1]
	s_nop 0
	v_pk_fma_f32 v[30:31], v[24:25], v[110:111], v[26:27] op_sel:[0,0,1] op_sel_hi:[1,1,0] neg_lo:[0,0,1] neg_hi:[0,0,1]
	v_pk_fma_f32 v[24:25], v[24:25], v[110:111], v[26:27] op_sel:[0,0,1] op_sel_hi:[1,0,0]
	s_nop 0
	v_mov_b32_e32 v31, v25
	ds_write2_b64 v126, v[28:29], v[30:31] offset0:134 offset1:201
	ds_read_b128 v[28:31], v124 offset:256
	ds_read_b128 v[24:27], v124 offset:272
	s_waitcnt lgkmcnt(0)
	s_barrier
	ds_read2_b64 v[44:47], v127 offset1:1
	ds_read2_b64 v[40:43], v127 offset0:2 offset1:3
	s_waitcnt lgkmcnt(0)
	s_barrier
	s_cbranch_vccnz .LBB116_142
; %bb.135:                              ;   in Loop: Header=BB116_93 Depth=1
	v_cmp_gt_i32_e32 vcc, s20, v141
	v_mov_b64_e32 v[112:113], 0
	v_mov_b64_e32 v[114:115], 0
	s_and_saveexec_b64 s[4:5], vcc
	s_cbranch_execz .LBB116_137
; %bb.136:                              ;   in Loop: Header=BB116_93 Depth=1
	global_load_dwordx2 v[114:115], v[118:119], off
.LBB116_137:                            ;   in Loop: Header=BB116_93 Depth=1
	s_or_b64 exec, exec, s[4:5]
	v_cmp_gt_i32_e32 vcc, s20, v142
	s_and_saveexec_b64 s[4:5], vcc
	s_cbranch_execz .LBB116_139
; %bb.138:                              ;   in Loop: Header=BB116_93 Depth=1
	v_lshl_add_u64 v[112:113], v[82:83], 0, v[52:53]
	global_load_dwordx2 v[112:113], v[112:113], off
.LBB116_139:                            ;   in Loop: Header=BB116_93 Depth=1
	s_or_b64 exec, exec, s[4:5]
	v_cmp_gt_i32_e32 vcc, s20, v144
	v_mov_b64_e32 v[116:117], 0
	s_and_saveexec_b64 s[4:5], vcc
	s_cbranch_execz .LBB116_141
; %bb.140:                              ;   in Loop: Header=BB116_93 Depth=1
	v_lshl_add_u64 v[116:117], v[84:85], 0, v[52:53]
	global_load_dwordx2 v[116:117], v[116:117], off
.LBB116_141:                            ;   in Loop: Header=BB116_93 Depth=1
	s_or_b64 exec, exec, s[4:5]
	v_cmp_gt_i32_e64 s[4:5], s20, v145
	s_branch .LBB116_144
.LBB116_142:                            ;   in Loop: Header=BB116_93 Depth=1
	s_mov_b64 s[4:5], 0
                                        ; implicit-def: $vgpr116_vgpr117
                                        ; implicit-def: $vgpr112_vgpr113
                                        ; implicit-def: $vgpr114_vgpr115
	s_cbranch_execz .LBB116_144
; %bb.143:                              ;   in Loop: Header=BB116_93 Depth=1
	s_waitcnt vmcnt(0)
	v_lshl_add_u64 v[112:113], v[82:83], 0, v[52:53]
	v_lshl_add_u64 v[116:117], v[84:85], 0, v[52:53]
	global_load_dwordx2 v[114:115], v[118:119], off
	s_or_b64 s[4:5], s[4:5], exec
	global_load_dwordx2 v[112:113], v[112:113], off
	s_nop 0
	global_load_dwordx2 v[116:117], v[116:117], off
.LBB116_144:                            ;   in Loop: Header=BB116_93 Depth=1
	v_mov_b64_e32 v[118:119], 0
	s_and_saveexec_b64 s[12:13], s[4:5]
	s_cbranch_execz .LBB116_146
; %bb.145:                              ;   in Loop: Header=BB116_93 Depth=1
	v_lshl_add_u64 v[118:119], v[86:87], 0, v[52:53]
	global_load_dwordx2 v[118:119], v[118:119], off
.LBB116_146:                            ;   in Loop: Header=BB116_93 Depth=1
	s_or_b64 exec, exec, s[12:13]
	v_pk_add_f32 v[44:45], v[44:45], 0 op_sel_hi:[1,0]
	v_pk_add_f32 v[36:37], v[36:37], 0 op_sel_hi:[1,0]
	v_pk_add_f32 v[44:45], v[44:45], v[46:47]
	v_pk_add_f32 v[36:37], v[36:37], v[38:39]
	;; [unrolled: 1-line block ×5, first 2 shown]
	ds_read_b64 v[40:41], v125
	v_pk_add_f32 v[46:47], v[32:33], v[34:35]
	v_pk_add_f32 v[20:21], v[20:21], 0 op_sel_hi:[1,0]
	v_cmp_gt_i32_e32 vcc, s20, v120
	v_pk_add_f32 v[148:149], v[20:21], v[22:23]
	s_waitcnt vmcnt(0) lgkmcnt(0)
	v_pk_mul_f32 v[32:33], v[40:41], v[114:115] op_sel:[0,1]
	v_pk_add_f32 v[16:17], v[148:149], v[16:17]
	v_pk_fma_f32 v[34:35], v[40:41], v[114:115], v[32:33] op_sel:[0,0,1] op_sel_hi:[1,1,0] neg_lo:[0,0,1] neg_hi:[0,0,1]
	v_pk_fma_f32 v[32:33], v[40:41], v[114:115], v[32:33] op_sel:[0,0,1] op_sel_hi:[1,0,0]
	v_pk_add_f32 v[16:17], v[16:17], v[18:19]
	v_mov_b32_e32 v35, v33
	v_pk_mul_f32 v[32:33], v[40:41], v[112:113] op_sel:[0,1]
	s_or_b64 s[4:5], s[10:11], vcc
	v_pk_fma_f32 v[36:37], v[40:41], v[112:113], v[32:33] op_sel:[0,0,1] op_sel_hi:[1,1,0] neg_lo:[0,0,1] neg_hi:[0,0,1]
	v_pk_fma_f32 v[32:33], v[40:41], v[112:113], v[32:33] op_sel:[0,0,1] op_sel_hi:[1,0,0]
	s_and_b64 s[10:11], s[0:1], s[4:5]
	v_mov_b32_e32 v37, v33
	v_pk_mul_f32 v[32:33], v[40:41], v[116:117] op_sel:[0,1]
	ds_write2_b64 v126, v[34:35], v[36:37] offset1:67
	v_pk_fma_f32 v[34:35], v[40:41], v[116:117], v[32:33] op_sel:[0,0,1] op_sel_hi:[1,1,0] neg_lo:[0,0,1] neg_hi:[0,0,1]
	v_pk_fma_f32 v[32:33], v[40:41], v[116:117], v[32:33] op_sel:[0,0,1] op_sel_hi:[1,0,0]
	s_nop 0
	v_mov_b32_e32 v35, v33
	v_pk_mul_f32 v[32:33], v[40:41], v[118:119] op_sel:[0,1]
	s_nop 0
	v_pk_fma_f32 v[36:37], v[40:41], v[118:119], v[32:33] op_sel:[0,0,1] op_sel_hi:[1,1,0] neg_lo:[0,0,1] neg_hi:[0,0,1]
	v_pk_fma_f32 v[32:33], v[40:41], v[118:119], v[32:33] op_sel:[0,0,1] op_sel_hi:[1,0,0]
	s_nop 0
	v_mov_b32_e32 v37, v33
	ds_write2_b64 v126, v[34:35], v[36:37] offset0:134 offset1:201
	ds_read_b128 v[36:39], v124 offset:384
	ds_read_b128 v[32:35], v124 offset:400
	s_waitcnt lgkmcnt(0)
	s_barrier
	ds_read2_b64 v[40:43], v127 offset1:1
	ds_read2_b64 v[20:23], v127 offset0:2 offset1:3
	s_waitcnt lgkmcnt(0)
	s_barrier
	v_pk_add_f32 v[18:19], v[40:41], 0 op_sel_hi:[1,0]
	s_nop 0
	v_pk_add_f32 v[18:19], v[18:19], v[42:43]
	s_nop 0
	v_pk_add_f32 v[18:19], v[18:19], v[20:21]
	;; [unrolled: 2-line block ×3, first 2 shown]
	ds_write2_b64 v143, v[16:17], v[46:47] offset1:16
	ds_write2_b64 v143, v[44:45], v[18:19] offset0:32 offset1:48
	s_waitcnt lgkmcnt(0)
	s_barrier
	s_and_saveexec_b64 s[4:5], s[10:11]
	s_cbranch_execz .LBB116_92
; %bb.147:                              ;   in Loop: Header=BB116_93 Depth=1
	ds_read_b64 v[40:41], v128
	ds_read2_b64 v[16:19], v128 offset0:1 offset1:2
	ds_read2_b64 v[20:23], v128 offset0:3 offset1:4
	v_add_u32_e32 v42, s22, v120
	v_ashrrev_i32_e32 v43, 31, v42
	v_lshl_add_u64 v[44:45], v[42:43], 3, s[6:7]
	s_waitcnt lgkmcnt(1)
	v_add_f32_e32 v16, v16, v40
	v_add_f32_e32 v17, v17, v41
	;; [unrolled: 1-line block ×4, first 2 shown]
	ds_read2_b64 v[16:19], v128 offset0:5 offset1:6
	s_waitcnt lgkmcnt(1)
	v_add_f32_e32 v20, v40, v20
	v_add_f32_e32 v21, v41, v21
	;; [unrolled: 1-line block ×4, first 2 shown]
	ds_read2_b64 v[20:23], v128 offset0:7 offset1:8
	s_waitcnt lgkmcnt(1)
	v_pk_add_f32 v[16:17], v[40:41], v[16:17]
	ds_read2_b64 v[40:43], v128 offset0:9 offset1:10
	v_pk_add_f32 v[16:17], v[16:17], v[18:19]
	s_waitcnt lgkmcnt(1)
	v_pk_add_f32 v[16:17], v[16:17], v[20:21]
	s_nop 0
	v_pk_add_f32 v[20:21], v[16:17], v[22:23]
	ds_read2_b64 v[16:19], v128 offset0:11 offset1:12
	s_waitcnt lgkmcnt(1)
	v_pk_add_f32 v[40:41], v[20:21], v[40:41]
	ds_read2_b64 v[20:23], v128 offset0:13 offset1:14
	v_pk_add_f32 v[40:41], v[40:41], v[42:43]
	ds_read_b64 v[42:43], v129
	s_waitcnt lgkmcnt(2)
	v_pk_add_f32 v[16:17], v[40:41], v[16:17]
	s_nop 0
	v_pk_add_f32 v[16:17], v[16:17], v[18:19]
	s_waitcnt lgkmcnt(1)
	v_pk_add_f32 v[16:17], v[16:17], v[20:21]
	s_nop 0
	v_pk_add_f32 v[16:17], v[16:17], v[22:23]
	s_waitcnt lgkmcnt(0)
	v_pk_add_f32 v[16:17], v[16:17], v[42:43]
	global_store_dwordx2 v[44:45], v[16:17], off
	s_branch .LBB116_92
.LBB116_148:
	s_movk_i32 s0, 0x218
	v_cmp_gt_i32_e32 vcc, s24, v120
	v_mad_u32_u24 v0, v121, s0, v52
	s_or_b64 s[0:1], s[18:19], vcc
	s_and_b64 s[0:1], s[14:15], s[0:1]
	ds_write_b64 v0, v[50:51]
	s_waitcnt lgkmcnt(0)
	s_barrier
	s_and_saveexec_b64 s[2:3], s[0:1]
	s_cbranch_execz .LBB116_150
; %bb.149:
	ds_read2_b64 v[0:3], v52 offset1:67
	ds_read2_b64 v[4:7], v52 offset0:134 offset1:201
	v_lshl_add_u64 v[8:9], v[48:49], 3, s[6:7]
	s_waitcnt lgkmcnt(1)
	v_pk_add_f32 v[0:1], v[2:3], v[0:1]
	s_waitcnt lgkmcnt(0)
	v_pk_add_f32 v[0:1], v[4:5], v[0:1]
	s_nop 0
	v_pk_add_f32 v[0:1], v[0:1], v[6:7]
	global_store_dwordx2 v[8:9], v[0:1], off
.LBB116_150:
	s_endpgm
	.section	.rodata,"a",@progbits
	.p2align	6, 0x0
	.amdhsa_kernel _ZL26rocblas_hemvn_kernel_upperILb0ELi64ELi4ELi33ELi32ELi16El19rocblas_complex_numIfEPKS1_PS1_EviT6_lT7_lT5_lS6_lS7_lS5_lT8_i
		.amdhsa_group_segment_fixed_size 9600
		.amdhsa_private_segment_fixed_size 0
		.amdhsa_kernarg_size 376
		.amdhsa_user_sgpr_count 2
		.amdhsa_user_sgpr_dispatch_ptr 0
		.amdhsa_user_sgpr_queue_ptr 0
		.amdhsa_user_sgpr_kernarg_segment_ptr 1
		.amdhsa_user_sgpr_dispatch_id 0
		.amdhsa_user_sgpr_kernarg_preload_length 0
		.amdhsa_user_sgpr_kernarg_preload_offset 0
		.amdhsa_user_sgpr_private_segment_size 0
		.amdhsa_uses_dynamic_stack 0
		.amdhsa_enable_private_segment 0
		.amdhsa_system_sgpr_workgroup_id_x 1
		.amdhsa_system_sgpr_workgroup_id_y 0
		.amdhsa_system_sgpr_workgroup_id_z 1
		.amdhsa_system_sgpr_workgroup_info 0
		.amdhsa_system_vgpr_workitem_id 1
		.amdhsa_next_free_vgpr 150
		.amdhsa_next_free_sgpr 38
		.amdhsa_accum_offset 152
		.amdhsa_reserve_vcc 1
		.amdhsa_float_round_mode_32 0
		.amdhsa_float_round_mode_16_64 0
		.amdhsa_float_denorm_mode_32 3
		.amdhsa_float_denorm_mode_16_64 3
		.amdhsa_dx10_clamp 1
		.amdhsa_ieee_mode 1
		.amdhsa_fp16_overflow 0
		.amdhsa_tg_split 0
		.amdhsa_exception_fp_ieee_invalid_op 0
		.amdhsa_exception_fp_denorm_src 0
		.amdhsa_exception_fp_ieee_div_zero 0
		.amdhsa_exception_fp_ieee_overflow 0
		.amdhsa_exception_fp_ieee_underflow 0
		.amdhsa_exception_fp_ieee_inexact 0
		.amdhsa_exception_int_div_zero 0
	.end_amdhsa_kernel
	.section	.text._ZL26rocblas_hemvn_kernel_upperILb0ELi64ELi4ELi33ELi32ELi16El19rocblas_complex_numIfEPKS1_PS1_EviT6_lT7_lT5_lS6_lS7_lS5_lT8_i,"axG",@progbits,_ZL26rocblas_hemvn_kernel_upperILb0ELi64ELi4ELi33ELi32ELi16El19rocblas_complex_numIfEPKS1_PS1_EviT6_lT7_lT5_lS6_lS7_lS5_lT8_i,comdat
.Lfunc_end116:
	.size	_ZL26rocblas_hemvn_kernel_upperILb0ELi64ELi4ELi33ELi32ELi16El19rocblas_complex_numIfEPKS1_PS1_EviT6_lT7_lT5_lS6_lS7_lS5_lT8_i, .Lfunc_end116-_ZL26rocblas_hemvn_kernel_upperILb0ELi64ELi4ELi33ELi32ELi16El19rocblas_complex_numIfEPKS1_PS1_EviT6_lT7_lT5_lS6_lS7_lS5_lT8_i
                                        ; -- End function
	.set _ZL26rocblas_hemvn_kernel_upperILb0ELi64ELi4ELi33ELi32ELi16El19rocblas_complex_numIfEPKS1_PS1_EviT6_lT7_lT5_lS6_lS7_lS5_lT8_i.num_vgpr, 150
	.set _ZL26rocblas_hemvn_kernel_upperILb0ELi64ELi4ELi33ELi32ELi16El19rocblas_complex_numIfEPKS1_PS1_EviT6_lT7_lT5_lS6_lS7_lS5_lT8_i.num_agpr, 0
	.set _ZL26rocblas_hemvn_kernel_upperILb0ELi64ELi4ELi33ELi32ELi16El19rocblas_complex_numIfEPKS1_PS1_EviT6_lT7_lT5_lS6_lS7_lS5_lT8_i.numbered_sgpr, 38
	.set _ZL26rocblas_hemvn_kernel_upperILb0ELi64ELi4ELi33ELi32ELi16El19rocblas_complex_numIfEPKS1_PS1_EviT6_lT7_lT5_lS6_lS7_lS5_lT8_i.num_named_barrier, 0
	.set _ZL26rocblas_hemvn_kernel_upperILb0ELi64ELi4ELi33ELi32ELi16El19rocblas_complex_numIfEPKS1_PS1_EviT6_lT7_lT5_lS6_lS7_lS5_lT8_i.private_seg_size, 0
	.set _ZL26rocblas_hemvn_kernel_upperILb0ELi64ELi4ELi33ELi32ELi16El19rocblas_complex_numIfEPKS1_PS1_EviT6_lT7_lT5_lS6_lS7_lS5_lT8_i.uses_vcc, 1
	.set _ZL26rocblas_hemvn_kernel_upperILb0ELi64ELi4ELi33ELi32ELi16El19rocblas_complex_numIfEPKS1_PS1_EviT6_lT7_lT5_lS6_lS7_lS5_lT8_i.uses_flat_scratch, 0
	.set _ZL26rocblas_hemvn_kernel_upperILb0ELi64ELi4ELi33ELi32ELi16El19rocblas_complex_numIfEPKS1_PS1_EviT6_lT7_lT5_lS6_lS7_lS5_lT8_i.has_dyn_sized_stack, 0
	.set _ZL26rocblas_hemvn_kernel_upperILb0ELi64ELi4ELi33ELi32ELi16El19rocblas_complex_numIfEPKS1_PS1_EviT6_lT7_lT5_lS6_lS7_lS5_lT8_i.has_recursion, 0
	.set _ZL26rocblas_hemvn_kernel_upperILb0ELi64ELi4ELi33ELi32ELi16El19rocblas_complex_numIfEPKS1_PS1_EviT6_lT7_lT5_lS6_lS7_lS5_lT8_i.has_indirect_call, 0
	.section	.AMDGPU.csdata,"",@progbits
; Kernel info:
; codeLenInByte = 8708
; TotalNumSgprs: 44
; NumVgprs: 150
; NumAgprs: 0
; TotalNumVgprs: 150
; ScratchSize: 0
; MemoryBound: 1
; FloatMode: 240
; IeeeMode: 1
; LDSByteSize: 9600 bytes/workgroup (compile time only)
; SGPRBlocks: 5
; VGPRBlocks: 18
; NumSGPRsForWavesPerEU: 44
; NumVGPRsForWavesPerEU: 150
; AccumOffset: 152
; Occupancy: 3
; WaveLimiterHint : 0
; COMPUTE_PGM_RSRC2:SCRATCH_EN: 0
; COMPUTE_PGM_RSRC2:USER_SGPR: 2
; COMPUTE_PGM_RSRC2:TRAP_HANDLER: 0
; COMPUTE_PGM_RSRC2:TGID_X_EN: 1
; COMPUTE_PGM_RSRC2:TGID_Y_EN: 0
; COMPUTE_PGM_RSRC2:TGID_Z_EN: 1
; COMPUTE_PGM_RSRC2:TIDIG_COMP_CNT: 1
; COMPUTE_PGM_RSRC3_GFX90A:ACCUM_OFFSET: 37
; COMPUTE_PGM_RSRC3_GFX90A:TG_SPLIT: 0
	.section	.text._ZL26rocblas_hemvn_kernel_upperILb0ELi64ELi4ELi33ELi32ELi16Ei19rocblas_complex_numIfEPKS1_PS1_EviT6_lT7_lT5_lS6_lS7_lS5_lT8_i,"axG",@progbits,_ZL26rocblas_hemvn_kernel_upperILb0ELi64ELi4ELi33ELi32ELi16Ei19rocblas_complex_numIfEPKS1_PS1_EviT6_lT7_lT5_lS6_lS7_lS5_lT8_i,comdat
	.globl	_ZL26rocblas_hemvn_kernel_upperILb0ELi64ELi4ELi33ELi32ELi16Ei19rocblas_complex_numIfEPKS1_PS1_EviT6_lT7_lT5_lS6_lS7_lS5_lT8_i ; -- Begin function _ZL26rocblas_hemvn_kernel_upperILb0ELi64ELi4ELi33ELi32ELi16Ei19rocblas_complex_numIfEPKS1_PS1_EviT6_lT7_lT5_lS6_lS7_lS5_lT8_i
	.p2align	8
	.type	_ZL26rocblas_hemvn_kernel_upperILb0ELi64ELi4ELi33ELi32ELi16Ei19rocblas_complex_numIfEPKS1_PS1_EviT6_lT7_lT5_lS6_lS7_lS5_lT8_i,@function
_ZL26rocblas_hemvn_kernel_upperILb0ELi64ELi4ELi33ELi32ELi16Ei19rocblas_complex_numIfEPKS1_PS1_EviT6_lT7_lT5_lS6_lS7_lS5_lT8_i: ; @_ZL26rocblas_hemvn_kernel_upperILb0ELi64ELi4ELi33ELi32ELi16Ei19rocblas_complex_numIfEPKS1_PS1_EviT6_lT7_lT5_lS6_lS7_lS5_lT8_i
; %bb.0:
	s_load_dwordx2 s[4:5], s[0:1], 0x84
	s_add_u32 s8, s0, 0x78
	s_addc_u32 s9, s1, 0
	s_waitcnt lgkmcnt(0)
	s_lshr_b32 s6, s4, 16
	s_and_b32 s4, s4, 0xffff
	s_and_b32 s5, s5, 0xffff
	s_mul_i32 s4, s6, s4
	s_mul_i32 s4, s4, s5
	s_cmpk_lg_i32 s4, 0x100
	s_cbranch_scc1 .LBB117_150
; %bb.1:
	s_load_dwordx2 s[4:5], s[0:1], 0x4
	s_mov_b64 s[6:7], -1
	s_waitcnt lgkmcnt(0)
	s_or_b32 s4, s4, s5
	s_bitset0_b32 s4, 31
	s_cmp_lg_u32 s4, 0
	s_cselect_b64 s[4:5], -1, 0
	s_and_b64 vcc, exec, s[4:5]
	s_cbranch_vccnz .LBB117_3
; %bb.2:
	s_load_dwordx2 s[6:7], s[0:1], 0x58
	s_waitcnt lgkmcnt(0)
	v_cmp_neq_f32_e64 s[10:11], s6, 1.0
	v_cmp_neq_f32_e64 s[6:7], s7, 0
	s_or_b64 s[6:7], s[10:11], s[6:7]
.LBB117_3:
	s_andn2_b64 vcc, exec, s[6:7]
	s_cbranch_vccnz .LBB117_150
; %bb.4:
	s_andn2_b64 vcc, exec, s[4:5]
	s_cbranch_vccnz .LBB117_150
; %bb.5:
	s_load_dwordx2 s[10:11], s[0:1], 0x40
	s_load_dwordx2 s[12:13], s[0:1], 0x50
	s_load_dword s35, s[0:1], 0x48
	s_load_dword s33, s[8:9], 0x0
	;; [unrolled: 1-line block ×3, first 2 shown]
	s_load_dwordx4 s[4:7], s[0:1], 0x30
	s_waitcnt lgkmcnt(0)
	s_mul_i32 s8, s13, s3
	s_mul_hi_u32 s9, s12, s3
	s_add_i32 s9, s9, s8
	s_mul_i32 s8, s12, s3
	s_lshl_b64 s[8:9], s[8:9], 3
	s_add_u32 s8, s6, s8
	s_addc_u32 s9, s7, s9
	s_lshl_b64 s[6:7], s[10:11], 3
	s_add_u32 s6, s8, s6
	s_addc_u32 s7, s9, s7
	s_ashr_i32 s37, s36, 31
	s_lshr_b32 s9, s37, 26
	v_and_b32_e32 v50, 0x3ff, v0
	s_lshl_b32 s24, s2, 6
	s_add_i32 s9, s36, s9
	s_andn2_b32 s9, s9, 63
	v_add_u32_e32 v48, s24, v50
	v_bfe_u32 v49, v0, 10, 10
	s_add_i32 s8, s33, -1
	s_sub_i32 s34, s36, s9
	v_mul_lo_u32 v0, s35, v48
	s_cmp_eq_u32 s2, s8
	v_ashrrev_i32_e32 v1, 31, v0
	s_cselect_b32 s18, s34, 0
	v_lshl_add_u64 v[12:13], v[0:1], 3, s[6:7]
	v_cmp_eq_u32_e64 s[14:15], 0, v49
	s_and_saveexec_b64 s[6:7], s[14:15]
	s_cbranch_execz .LBB117_10
; %bb.6:
	s_cmp_lg_u32 s18, 0
	s_cselect_b64 s[8:9], -1, 0
	v_cmp_le_i32_e32 vcc, s18, v50
	v_mov_b32_e32 v0, 0x2380
	s_and_b64 s[8:9], s[8:9], vcc
	v_lshl_add_u32 v0, v50, 3, v0
	s_and_saveexec_b64 s[10:11], s[8:9]
	s_xor_b64 s[8:9], exec, s[10:11]
; %bb.7:
	v_mov_b32_e32 v2, 0
	v_mov_b32_e32 v3, v2
	ds_write_b64 v0, v[2:3]
                                        ; implicit-def: $vgpr0
; %bb.8:
	s_andn2_saveexec_b64 s[8:9], s[8:9]
	s_cbranch_execz .LBB117_10
; %bb.9:
	global_load_dwordx2 v[2:3], v[12:13], off
	s_waitcnt vmcnt(0)
	ds_write_b64 v0, v[2:3]
.LBB117_10:
	s_or_b64 exec, exec, s[6:7]
	s_load_dwordx4 s[8:11], s[0:1], 0x18
	s_load_dword s22, s[0:1], 0x28
	s_mul_i32 s5, s5, s3
	s_mul_hi_u32 s6, s4, s3
	s_add_i32 s5, s6, s5
	s_mul_i32 s4, s4, s3
	s_lshl_b64 s[4:5], s[4:5], 3
	s_waitcnt lgkmcnt(0)
	s_add_u32 s6, s8, s4
	s_addc_u32 s7, s9, s5
	s_lshl_b64 s[4:5], s[10:11], 3
	s_add_u32 s6, s6, s4
	s_addc_u32 s7, s7, s5
	s_ashr_i32 s25, s24, 31
	v_lshl_add_u32 v22, v49, 6, v50
	s_lshl_b64 s[4:5], s[24:25], 3
	v_and_b32_e32 v2, 31, v50
	v_lshrrev_b32_e32 v10, 5, v22
	s_add_u32 s4, s6, s4
	s_addc_u32 s5, s7, s5
	v_mad_u64_u32 v[14:15], s[6:7], s22, v10, v[2:3]
	v_ashrrev_i32_e32 v15, 31, v14
	v_lshl_add_u64 v[0:1], v[14:15], 3, s[4:5]
	s_mul_i32 s4, s22, s24
	s_ashr_i32 s5, s4, 31
	s_cmp_eq_u32 s18, 0
	s_cselect_b64 s[20:21], -1, 0
	s_cmp_lg_u32 s18, 0
	s_cselect_b64 s[28:29], -1, 0
	v_lshl_add_u64 v[6:7], s[4:5], 3, v[0:1]
	s_and_b64 vcc, exec, s[28:29]
	v_cmp_gt_i32_e64 s[4:5], s18, v2
	v_lshlrev_b32_e32 v0, 3, v2
	s_cbranch_vccz .LBB117_26
; %bb.11:
	v_sub_co_u32_e32 v4, vcc, v6, v0
	s_ashr_i32 s19, s18, 31
	s_nop 0
	v_subbrev_co_u32_e32 v5, vcc, 0, v7, vcc
	v_lshl_add_u64 v[4:5], s[18:19], 3, v[4:5]
	v_mov_b32_e32 v8, 0
	v_lshl_add_u64 v[4:5], v[4:5], 0, -8
	v_cndmask_b32_e64 v5, v5, v7, s[4:5]
	v_cndmask_b32_e64 v4, v4, v6, s[4:5]
	v_cmp_gt_i32_e32 vcc, s18, v10
	v_mov_b32_e32 v9, v8
	s_and_saveexec_b64 s[6:7], vcc
	s_cbranch_execz .LBB117_13
; %bb.12:
	global_load_dwordx2 v[8:9], v[4:5], off
.LBB117_13:
	s_or_b64 exec, exec, s[6:7]
	s_movk_i32 s6, 0x108
	v_mad_u32_u24 v3, v10, s6, v0
	v_mul_u32_u24_e32 v1, 0x108, v10
	s_waitcnt vmcnt(0)
	ds_write_b64 v3, v[8:9]
	v_add_u32_e32 v3, 8, v10
	v_cmp_le_i32_e32 vcc, s18, v3
	v_add_u32_e32 v1, v1, v0
	s_and_saveexec_b64 s[6:7], vcc
	s_xor_b64 s[6:7], exec, s[6:7]
; %bb.14:
	v_mov_b32_e32 v8, 0
	v_mov_b32_e32 v9, v8
	ds_write_b64 v1, v[8:9] offset:2112
; %bb.15:
	s_andn2_saveexec_b64 s[6:7], s[6:7]
	s_cbranch_execz .LBB117_17
; %bb.16:
	s_lshl_b32 s8, s22, 3
	s_ashr_i32 s9, s8, 31
	v_lshl_add_u64 v[8:9], s[8:9], 3, v[4:5]
	global_load_dwordx2 v[8:9], v[8:9], off
	s_waitcnt vmcnt(0)
	ds_write_b64 v1, v[8:9] offset:2112
.LBB117_17:
	s_or_b64 exec, exec, s[6:7]
	v_add_u32_e32 v3, 16, v10
	v_cmp_le_i32_e32 vcc, s18, v3
	s_and_saveexec_b64 s[6:7], vcc
	s_xor_b64 s[6:7], exec, s[6:7]
; %bb.18:
	v_mov_b32_e32 v8, 0
	v_mov_b32_e32 v9, v8
	ds_write_b64 v1, v[8:9] offset:4224
; %bb.19:
	s_andn2_saveexec_b64 s[6:7], s[6:7]
	s_cbranch_execz .LBB117_21
; %bb.20:
	s_lshl_b32 s8, s22, 4
	s_ashr_i32 s9, s8, 31
	v_lshl_add_u64 v[8:9], s[8:9], 3, v[4:5]
	global_load_dwordx2 v[8:9], v[8:9], off
	s_waitcnt vmcnt(0)
	ds_write_b64 v1, v[8:9] offset:4224
.LBB117_21:
	s_or_b64 exec, exec, s[6:7]
	v_add_u32_e32 v3, 24, v10
	v_cmp_le_i32_e32 vcc, s18, v3
	s_and_saveexec_b64 s[6:7], vcc
	s_xor_b64 s[6:7], exec, s[6:7]
; %bb.22:
	v_mov_b32_e32 v8, 0
	v_mov_b32_e32 v9, v8
	ds_write_b64 v1, v[8:9] offset:6336
                                        ; implicit-def: $vgpr1
; %bb.23:
	s_andn2_saveexec_b64 s[6:7], s[6:7]
	s_cbranch_execz .LBB117_25
; %bb.24:
	s_mul_i32 s8, s22, 24
	s_ashr_i32 s9, s8, 31
	v_lshl_add_u64 v[8:9], s[8:9], 3, v[4:5]
	global_load_dwordx2 v[8:9], v[8:9], off
	s_waitcnt vmcnt(0)
	ds_write_b64 v1, v[8:9] offset:6336
.LBB117_25:
	s_or_b64 exec, exec, s[6:7]
	v_mov_b32_e32 v1, 0
	v_lshl_add_u64 v[4:5], v[4:5], 0, v[0:1]
	s_lshl_b64 s[6:7], s[18:19], 3
	v_mov_b32_e32 v1, s7
	v_subrev_co_u32_e32 v4, vcc, s6, v4
	s_nop 1
	v_subb_co_u32_e32 v5, vcc, v5, v1, vcc
	v_lshl_add_u64 v[4:5], v[4:5], 0, 8
	v_cndmask_b32_e64 v5, v5, v7, s[4:5]
	v_cndmask_b32_e64 v4, v4, v6, s[4:5]
	s_branch .LBB117_28
.LBB117_26:
                                        ; implicit-def: $vgpr4_vgpr5
	s_cbranch_execz .LBB117_28
; %bb.27:
	s_lshl_b32 s4, s22, 3
	s_ashr_i32 s5, s4, 31
	s_ashr_i32 s23, s22, 31
	v_lshl_add_u64 v[4:5], s[4:5], 3, v[6:7]
	s_lshl_b64 s[4:5], s[22:23], 6
	v_lshl_add_u64 v[8:9], v[4:5], 0, s[4:5]
	v_lshl_add_u64 v[16:17], v[8:9], 0, s[4:5]
	global_load_dwordx2 v[18:19], v[6:7], off
	global_load_dwordx2 v[20:21], v[4:5], off
	;; [unrolled: 1-line block ×4, first 2 shown]
	v_mul_u32_u24_e32 v1, 0x108, v10
	v_lshl_add_u32 v1, v2, 3, v1
	v_mov_b64_e32 v[4:5], v[6:7]
	s_waitcnt vmcnt(3)
	ds_write_b64 v1, v[18:19]
	s_waitcnt vmcnt(2)
	ds_write_b64 v1, v[20:21] offset:2112
	s_waitcnt vmcnt(1)
	ds_write_b64 v1, v[24:25] offset:4224
	s_waitcnt vmcnt(0)
	ds_write_b64 v1, v[26:27] offset:6336
.LBB117_28:
	v_lshlrev_b32_e32 v3, 2, v10
	v_lshl_or_b32 v1, v2, 8, v0
	v_cmp_gt_u32_e64 s[6:7], v3, v2
	v_lshl_add_u32 v1, v3, 3, v1
	s_waitcnt lgkmcnt(0)
	s_barrier
	s_and_saveexec_b64 s[4:5], s[6:7]
	s_cbranch_execz .LBB117_30
; %bb.29:
	s_movk_i32 s8, 0x420
	v_mad_u32_u24 v6, v10, s8, v0
	ds_read_b64 v[6:7], v6
	s_waitcnt lgkmcnt(0)
	ds_write_b64 v1, v[6:7]
.LBB117_30:
	s_or_b64 exec, exec, s[4:5]
	v_or_b32_e32 v11, 1, v3
	v_cmp_ge_u32_e64 s[8:9], v3, v2
	s_and_saveexec_b64 s[4:5], s[8:9]
	s_cbranch_execz .LBB117_32
; %bb.31:
	s_movk_i32 s10, 0x108
	v_mad_u32_u24 v6, v11, s10, v0
	ds_read_b64 v[6:7], v6
	s_waitcnt lgkmcnt(0)
	ds_write_b64 v1, v[6:7] offset:8
.LBB117_32:
	s_or_b64 exec, exec, s[4:5]
	v_or_b32_e32 v6, 2, v3
	v_cmp_gt_u32_e64 s[10:11], v6, v2
	s_and_saveexec_b64 s[4:5], s[10:11]
	s_cbranch_execz .LBB117_34
; %bb.33:
	s_movk_i32 s12, 0x108
	v_mad_u32_u24 v6, v6, s12, v0
	ds_read_b64 v[6:7], v6
	s_waitcnt lgkmcnt(0)
	ds_write_b64 v1, v[6:7] offset:16
.LBB117_34:
	s_or_b64 exec, exec, s[4:5]
	v_or_b32_e32 v7, 3, v3
	v_cmp_gt_u32_e64 s[12:13], v7, v2
	v_cmp_le_u32_e32 vcc, v7, v2
                                        ; implicit-def: $vgpr6
	s_and_saveexec_b64 s[4:5], vcc
	s_xor_b64 s[4:5], exec, s[4:5]
; %bb.35:
	v_mul_u32_u24_e32 v6, 0x108, v7
                                        ; implicit-def: $vgpr7
                                        ; implicit-def: $vgpr1
; %bb.36:
	s_andn2_saveexec_b64 s[4:5], s[4:5]
	s_cbranch_execz .LBB117_38
; %bb.37:
	s_movk_i32 s16, 0x108
	v_mad_u32_u24 v6, v7, s16, v0
	ds_read_b64 v[8:9], v6
	v_mul_u32_u24_e32 v6, 0x108, v7
	s_waitcnt lgkmcnt(0)
	ds_write_b64 v1, v[8:9] offset:24
.LBB117_38:
	s_or_b64 exec, exec, s[4:5]
	s_movk_i32 s4, 0x420
	v_mad_u32_u24 v1, v10, s4, v0
	s_movk_i32 s4, 0x108
	v_mad_u32_u24 v7, v11, s4, v0
	s_waitcnt lgkmcnt(0)
	s_barrier
	v_lshlrev_b32_e32 v16, 3, v3
	ds_read2_b64 v[26:29], v7 offset1:33
	v_add_u32_e32 v18, v0, v6
	ds_read_b64 v[20:21], v1
	ds_read_b128 v[6:9], v16 offset:9088
	ds_read_b64 v[34:35], v18
	ds_read_b128 v[30:33], v16 offset:9104
	v_mul_u32_u24_e32 v17, 33, v2
	v_lshlrev_b32_e32 v23, 3, v17
	v_mov_b32_e32 v52, 0
	s_waitcnt lgkmcnt(2)
	v_pk_mul_f32 v[36:37], v[6:7], v[20:21] op_sel:[1,1] op_sel_hi:[0,1]
	v_pk_fma_f32 v[38:39], v[6:7], v[20:21], v[36:37] neg_lo:[0,0,1] neg_hi:[0,0,1]
	v_pk_fma_f32 v[6:7], v[6:7], v[20:21], v[36:37] op_sel_hi:[1,0,1]
	v_pk_mul_f32 v[20:21], v[8:9], v[26:27] op_sel:[1,1] op_sel_hi:[0,1]
	v_pk_fma_f32 v[36:37], v[8:9], v[26:27], v[20:21] neg_lo:[0,0,1] neg_hi:[0,0,1]
	v_pk_fma_f32 v[8:9], v[8:9], v[26:27], v[20:21] op_sel_hi:[1,0,1]
	v_mov_b32_e32 v39, v7
	v_mov_b32_e32 v37, v9
	s_waitcnt lgkmcnt(0)
	v_pk_mul_f32 v[8:9], v[30:31], v[28:29] op_sel:[1,1] op_sel_hi:[0,1]
	v_pk_add_f32 v[6:7], v[38:39], 0 op_sel_hi:[1,0]
	v_pk_fma_f32 v[20:21], v[30:31], v[28:29], v[8:9] neg_lo:[0,0,1] neg_hi:[0,0,1]
	v_pk_fma_f32 v[8:9], v[30:31], v[28:29], v[8:9] op_sel_hi:[1,0,1]
	v_pk_add_f32 v[6:7], v[6:7], v[36:37]
	v_mov_b32_e32 v21, v9
	v_pk_mul_f32 v[8:9], v[32:33], v[34:35] op_sel:[1,1] op_sel_hi:[0,1]
	v_pk_add_f32 v[6:7], v[6:7], v[20:21]
	v_pk_fma_f32 v[20:21], v[32:33], v[34:35], v[8:9] neg_lo:[0,0,1] neg_hi:[0,0,1]
	v_pk_fma_f32 v[8:9], v[32:33], v[34:35], v[8:9] op_sel_hi:[1,0,1]
	v_lshl_add_u32 v24, v10, 3, v23
	v_mov_b32_e32 v21, v9
	v_mov_b32_e32 v53, v52
	v_pk_add_f32 v[6:7], v[6:7], v[20:21]
	v_cmp_gt_u32_e64 s[4:5], 32, v22
	s_barrier
	ds_write_b64 v24, v[6:7]
	s_waitcnt lgkmcnt(0)
	s_barrier
	s_and_saveexec_b64 s[16:17], s[4:5]
	s_cbranch_execz .LBB117_40
; %bb.39:
	ds_read2_b64 v[6:9], v23 offset1:7
	ds_read2_b64 v[26:29], v23 offset0:1 offset1:2
	ds_read2_b64 v[30:33], v23 offset0:3 offset1:4
	s_waitcnt lgkmcnt(1)
	v_add_f32_e32 v1, v26, v6
	v_add_f32_e32 v6, v27, v7
	;; [unrolled: 1-line block ×4, first 2 shown]
	ds_read2_b64 v[26:29], v23 offset0:5 offset1:6
	s_waitcnt lgkmcnt(1)
	v_add_f32_e32 v1, v1, v30
	v_add_f32_e32 v6, v6, v31
	;; [unrolled: 1-line block ×4, first 2 shown]
	s_waitcnt lgkmcnt(0)
	v_add_f32_e32 v1, v1, v26
	v_add_f32_e32 v7, v6, v27
	;; [unrolled: 1-line block ×4, first 2 shown]
	v_pk_add_f32 v[52:53], v[6:7], v[8:9]
.LBB117_40:
	s_or_b64 exec, exec, s[16:17]
	s_lshl_b32 s26, s22, 5
	s_ashr_i32 s27, s26, 31
	v_lshl_add_u64 v[8:9], s[26:27], 3, v[4:5]
	s_mov_b64 s[16:17], 0x100
	v_lshl_add_u64 v[6:7], v[8:9], 0, s[16:17]
	s_and_b64 vcc, exec, s[28:29]
	s_barrier
	s_cbranch_vccz .LBB117_56
; %bb.41:
	v_sub_co_u32_e32 v4, vcc, v8, v0
	s_ashr_i32 s19, s18, 31
	s_nop 0
	v_subbrev_co_u32_e32 v5, vcc, 0, v9, vcc
	v_or_b32_e32 v1, 32, v2
	v_lshl_add_u64 v[4:5], s[18:19], 3, v[4:5]
	v_mov_b32_e32 v20, 0
	v_lshl_add_u64 v[4:5], v[4:5], 0, -8
	v_cmp_gt_i32_e32 vcc, s18, v1
	s_sub_i32 s23, s18, 32
	v_cmp_gt_i32_e64 s[16:17], s23, v10
	v_cndmask_b32_e32 v5, v5, v7, vcc
	v_cndmask_b32_e32 v4, v4, v6, vcc
	v_mov_b32_e32 v21, v20
	s_and_saveexec_b64 s[30:31], s[16:17]
	s_cbranch_execz .LBB117_43
; %bb.42:
	global_load_dwordx2 v[20:21], v[4:5], off
.LBB117_43:
	s_or_b64 exec, exec, s[30:31]
	s_movk_i32 s16, 0x108
	v_mad_u32_u24 v17, v10, s16, v0
	v_mul_u32_u24_e32 v1, 0x108, v10
	s_waitcnt vmcnt(0)
	ds_write_b64 v17, v[20:21]
	v_add_u32_e32 v17, 8, v10
	v_cmp_le_i32_e64 s[16:17], s23, v17
	v_add_u32_e32 v1, v1, v0
	s_and_saveexec_b64 s[30:31], s[16:17]
	s_xor_b64 s[16:17], exec, s[30:31]
; %bb.44:
	v_mov_b32_e32 v20, 0
	v_mov_b32_e32 v21, v20
	ds_write_b64 v1, v[20:21] offset:2112
; %bb.45:
	s_andn2_saveexec_b64 s[16:17], s[16:17]
	s_cbranch_execz .LBB117_47
; %bb.46:
	s_lshl_b32 s30, s22, 3
	s_ashr_i32 s31, s30, 31
	v_lshl_add_u64 v[20:21], s[30:31], 3, v[4:5]
	global_load_dwordx2 v[20:21], v[20:21], off
	s_waitcnt vmcnt(0)
	ds_write_b64 v1, v[20:21] offset:2112
.LBB117_47:
	s_or_b64 exec, exec, s[16:17]
	v_add_u32_e32 v17, 16, v10
	v_cmp_le_i32_e64 s[16:17], s23, v17
	s_and_saveexec_b64 s[30:31], s[16:17]
	s_xor_b64 s[16:17], exec, s[30:31]
; %bb.48:
	v_mov_b32_e32 v20, 0
	v_mov_b32_e32 v21, v20
	ds_write_b64 v1, v[20:21] offset:4224
; %bb.49:
	s_andn2_saveexec_b64 s[16:17], s[16:17]
	s_cbranch_execz .LBB117_51
; %bb.50:
	s_lshl_b32 s30, s22, 4
	s_ashr_i32 s31, s30, 31
	v_lshl_add_u64 v[20:21], s[30:31], 3, v[4:5]
	global_load_dwordx2 v[20:21], v[20:21], off
	s_waitcnt vmcnt(0)
	ds_write_b64 v1, v[20:21] offset:4224
.LBB117_51:
	s_or_b64 exec, exec, s[16:17]
	v_add_u32_e32 v17, 24, v10
	v_cmp_le_i32_e64 s[16:17], s23, v17
	s_and_saveexec_b64 s[30:31], s[16:17]
	s_xor_b64 s[16:17], exec, s[30:31]
; %bb.52:
	v_mov_b32_e32 v20, 0
	v_mov_b32_e32 v21, v20
	ds_write_b64 v1, v[20:21] offset:6336
                                        ; implicit-def: $vgpr1
; %bb.53:
	s_andn2_saveexec_b64 s[16:17], s[16:17]
	s_cbranch_execz .LBB117_55
; %bb.54:
	s_mul_i32 s30, s22, 24
	s_ashr_i32 s31, s30, 31
	v_lshl_add_u64 v[20:21], s[30:31], 3, v[4:5]
	global_load_dwordx2 v[20:21], v[20:21], off
	s_waitcnt vmcnt(0)
	ds_write_b64 v1, v[20:21] offset:6336
.LBB117_55:
	s_or_b64 exec, exec, s[16:17]
	v_mov_b32_e32 v1, 0
	v_lshl_add_u64 v[4:5], v[4:5], 0, v[0:1]
	s_lshl_b64 s[16:17], s[18:19], 3
	v_mov_b32_e32 v1, s17
	v_subrev_co_u32_e64 v4, s[16:17], s16, v4
	s_nop 1
	v_subb_co_u32_e64 v5, s[16:17], v5, v1, s[16:17]
	s_mov_b64 s[16:17], 0x108
	s_nop 0
	v_lshl_add_u64 v[4:5], v[4:5], 0, s[16:17]
	v_cndmask_b32_e32 v5, v5, v7, vcc
	v_cndmask_b32_e32 v4, v4, v6, vcc
	v_mul_u32_u24_e32 v1, 0x420, v10
	s_branch .LBB117_58
.LBB117_56:
                                        ; implicit-def: $vgpr4_vgpr5
	v_mul_u32_u24_e32 v1, 0x420, v10
	s_cbranch_execz .LBB117_58
; %bb.57:
	s_lshl_b32 s16, s22, 3
	s_ashr_i32 s17, s16, 31
	s_ashr_i32 s23, s22, 31
	v_lshl_add_u64 v[4:5], s[16:17], 3, v[8:9]
	s_lshl_b64 s[16:17], s[22:23], 6
	v_lshl_add_u64 v[20:21], v[4:5], 0, s[16:17]
	v_lshl_add_u64 v[26:27], v[20:21], 0, s[16:17]
	global_load_dwordx2 v[28:29], v[8:9], off offset:256
	global_load_dwordx2 v[30:31], v[4:5], off offset:256
	;; [unrolled: 1-line block ×4, first 2 shown]
	s_movk_i32 s16, 0x108
	v_mad_u32_u24 v4, v10, s16, v0
	s_waitcnt vmcnt(3)
	ds_write_b64 v4, v[28:29]
	s_waitcnt vmcnt(2)
	ds_write_b64 v4, v[30:31] offset:2112
	s_waitcnt vmcnt(1)
	ds_write_b64 v4, v[32:33] offset:4224
	;; [unrolled: 2-line block ×3, first 2 shown]
	v_mov_b64_e32 v[4:5], v[6:7]
.LBB117_58:
	v_mul_u32_u24_e32 v6, 0x108, v11
	v_add_u32_e32 v8, v0, v1
	v_lshl_add_u32 v1, v3, 3, v23
	s_waitcnt lgkmcnt(0)
	s_barrier
	s_and_saveexec_b64 s[16:17], s[6:7]
	s_cbranch_execnz .LBB117_81
; %bb.59:
	s_or_b64 exec, exec, s[16:17]
	v_add_u32_e32 v9, v0, v6
	s_and_saveexec_b64 s[6:7], s[8:9]
	s_cbranch_execnz .LBB117_82
.LBB117_60:
	s_or_b64 exec, exec, s[6:7]
	s_and_saveexec_b64 s[6:7], s[10:11]
	s_cbranch_execnz .LBB117_83
.LBB117_61:
	s_or_b64 exec, exec, s[6:7]
	v_add_u32_e32 v19, 0x2380, v16
	s_and_saveexec_b64 s[6:7], s[12:13]
	s_cbranch_execz .LBB117_63
.LBB117_62:
	ds_read_b64 v[6:7], v18
	s_waitcnt lgkmcnt(0)
	ds_write_b64 v1, v[6:7] offset:24
.LBB117_63:
	s_or_b64 exec, exec, s[6:7]
	s_waitcnt lgkmcnt(0)
	s_barrier
	ds_read_b64 v[6:7], v8
	ds_read_b128 v[26:29], v19 offset:256
	ds_read2_b64 v[30:33], v9 offset1:33
	ds_read_b64 v[16:17], v18
	ds_read_b128 v[34:37], v19 offset:272
	v_cmp_eq_u32_e64 s[6:7], 1, v10
	s_waitcnt lgkmcnt(3)
	v_pk_mul_f32 v[20:21], v[26:27], v[6:7] op_sel:[1,1] op_sel_hi:[0,1]
	v_pk_fma_f32 v[38:39], v[26:27], v[6:7], v[20:21] neg_lo:[0,0,1] neg_hi:[0,0,1]
	v_pk_fma_f32 v[6:7], v[26:27], v[6:7], v[20:21] op_sel_hi:[1,0,1]
	s_waitcnt lgkmcnt(2)
	v_pk_mul_f32 v[20:21], v[28:29], v[30:31] op_sel:[1,1] op_sel_hi:[0,1]
	v_mov_b32_e32 v39, v7
	v_pk_fma_f32 v[26:27], v[28:29], v[30:31], v[20:21] neg_lo:[0,0,1] neg_hi:[0,0,1]
	v_pk_fma_f32 v[20:21], v[28:29], v[30:31], v[20:21] op_sel_hi:[1,0,1]
	v_pk_add_f32 v[6:7], v[38:39], 0 op_sel_hi:[1,0]
	v_mov_b32_e32 v27, v21
	s_waitcnt lgkmcnt(0)
	v_pk_mul_f32 v[20:21], v[34:35], v[32:33] op_sel:[1,1] op_sel_hi:[0,1]
	v_pk_add_f32 v[6:7], v[6:7], v[26:27]
	v_pk_fma_f32 v[26:27], v[34:35], v[32:33], v[20:21] neg_lo:[0,0,1] neg_hi:[0,0,1]
	v_pk_fma_f32 v[20:21], v[34:35], v[32:33], v[20:21] op_sel_hi:[1,0,1]
	s_nop 0
	v_mov_b32_e32 v27, v21
	v_pk_mul_f32 v[20:21], v[36:37], v[16:17] op_sel:[1,1] op_sel_hi:[0,1]
	v_pk_add_f32 v[6:7], v[6:7], v[26:27]
	v_pk_fma_f32 v[26:27], v[36:37], v[16:17], v[20:21] neg_lo:[0,0,1] neg_hi:[0,0,1]
	v_pk_fma_f32 v[16:17], v[36:37], v[16:17], v[20:21] op_sel_hi:[1,0,1]
	s_barrier
	v_mov_b32_e32 v27, v17
	v_pk_add_f32 v[6:7], v[6:7], v[26:27]
	ds_write_b64 v24, v[6:7]
	s_waitcnt lgkmcnt(0)
	s_barrier
	s_and_saveexec_b64 s[8:9], s[6:7]
	s_cbranch_execz .LBB117_65
; %bb.64:
	ds_read2_b64 v[26:29], v23 offset1:7
	ds_read2_b64 v[30:33], v23 offset0:1 offset1:2
	ds_read2_b64 v[34:37], v23 offset0:3 offset1:4
	s_waitcnt lgkmcnt(1)
	v_add_f32_e32 v1, v30, v26
	v_add_f32_e32 v3, v31, v27
	;; [unrolled: 1-line block ×4, first 2 shown]
	ds_read2_b64 v[30:33], v23 offset0:5 offset1:6
	s_waitcnt lgkmcnt(1)
	v_add_f32_e32 v1, v1, v34
	v_add_f32_e32 v3, v3, v35
	;; [unrolled: 1-line block ×4, first 2 shown]
	s_waitcnt lgkmcnt(0)
	v_add_f32_e32 v6, v1, v30
	v_add_f32_e32 v7, v3, v31
	v_pk_add_f32 v[6:7], v[6:7], v[32:33]
	s_nop 0
	v_pk_add_f32 v[52:53], v[6:7], v[28:29]
.LBB117_65:
	s_or_b64 exec, exec, s[8:9]
	s_movk_i32 s8, 0xff00
	s_mov_b32 s9, -1
	v_lshl_add_u64 v[6:7], v[4:5], 0, s[8:9]
	s_and_b64 vcc, exec, s[28:29]
	s_barrier
	s_cbranch_vccz .LBB117_84
; %bb.66:
	v_sub_co_u32_e32 v20, vcc, v4, v0
	s_ashr_i32 s19, s18, 31
	s_nop 0
	v_subbrev_co_u32_e32 v21, vcc, 0, v5, vcc
	s_movk_i32 s8, 0xfef8
	v_lshl_add_u64 v[20:21], s[18:19], 3, v[20:21]
	s_mov_b32 s9, -1
	v_mov_b32_e32 v16, 0
	v_lshl_add_u64 v[20:21], v[20:21], 0, s[8:9]
	v_cmp_gt_i32_e32 vcc, s18, v2
	s_sub_i32 s12, s18, 32
	v_cmp_gt_i32_e64 s[8:9], s12, v10
	v_cndmask_b32_e32 v3, v21, v7, vcc
	v_cndmask_b32_e32 v2, v20, v6, vcc
	v_mov_b32_e32 v17, v16
	s_and_saveexec_b64 s[10:11], s[8:9]
	s_cbranch_execz .LBB117_68
; %bb.67:
	global_load_dwordx2 v[16:17], v[2:3], off
.LBB117_68:
	s_or_b64 exec, exec, s[10:11]
	s_movk_i32 s8, 0x108
	v_mad_u32_u24 v11, v10, s8, v0
	v_mul_u32_u24_e32 v1, 0x108, v10
	s_waitcnt vmcnt(0)
	ds_write_b64 v11, v[16:17]
	v_add_u32_e32 v11, 8, v10
	v_cmp_le_i32_e64 s[8:9], s12, v11
	v_add_u32_e32 v1, v1, v0
	s_and_saveexec_b64 s[10:11], s[8:9]
	s_xor_b64 s[8:9], exec, s[10:11]
; %bb.69:
	v_mov_b32_e32 v16, 0
	v_mov_b32_e32 v17, v16
	ds_write_b64 v1, v[16:17] offset:2112
; %bb.70:
	s_andn2_saveexec_b64 s[8:9], s[8:9]
	s_cbranch_execz .LBB117_72
; %bb.71:
	s_lshl_b32 s10, s22, 3
	s_ashr_i32 s11, s10, 31
	v_lshl_add_u64 v[16:17], s[10:11], 3, v[2:3]
	global_load_dwordx2 v[16:17], v[16:17], off
	s_waitcnt vmcnt(0)
	ds_write_b64 v1, v[16:17] offset:2112
.LBB117_72:
	s_or_b64 exec, exec, s[8:9]
	v_add_u32_e32 v20, 16, v10
	v_cmp_le_i32_e64 s[8:9], s12, v20
	s_and_saveexec_b64 s[10:11], s[8:9]
	s_xor_b64 s[8:9], exec, s[10:11]
; %bb.73:
	v_mov_b32_e32 v16, 0
	v_mov_b32_e32 v17, v16
	ds_write_b64 v1, v[16:17] offset:4224
; %bb.74:
	s_andn2_saveexec_b64 s[8:9], s[8:9]
	s_cbranch_execz .LBB117_76
; %bb.75:
	s_lshl_b32 s10, s22, 4
	s_ashr_i32 s11, s10, 31
	v_lshl_add_u64 v[16:17], s[10:11], 3, v[2:3]
	global_load_dwordx2 v[16:17], v[16:17], off
	s_waitcnt vmcnt(0)
	ds_write_b64 v1, v[16:17] offset:4224
.LBB117_76:
	s_or_b64 exec, exec, s[8:9]
	v_add_u32_e32 v21, 24, v10
	v_cmp_le_i32_e64 s[8:9], s12, v21
	s_and_saveexec_b64 s[10:11], s[8:9]
	s_xor_b64 s[8:9], exec, s[10:11]
; %bb.77:
	v_mov_b32_e32 v16, 0
	v_mov_b32_e32 v17, v16
	ds_write_b64 v1, v[16:17] offset:6336
                                        ; implicit-def: $vgpr1
; %bb.78:
	s_andn2_saveexec_b64 s[8:9], s[8:9]
	s_cbranch_execz .LBB117_80
; %bb.79:
	s_mul_i32 s10, s22, 24
	s_ashr_i32 s11, s10, 31
	v_lshl_add_u64 v[16:17], s[10:11], 3, v[2:3]
	global_load_dwordx2 v[16:17], v[16:17], off
	s_waitcnt vmcnt(0)
	ds_write_b64 v1, v[16:17] offset:6336
.LBB117_80:
	s_or_b64 exec, exec, s[8:9]
	v_mov_b32_e32 v1, 0
	v_lshl_add_u64 v[2:3], v[2:3], 0, v[0:1]
	s_lshl_b64 s[8:9], s[18:19], 3
	v_mov_b32_e32 v1, s9
	v_subrev_co_u32_e64 v2, s[8:9], s8, v2
	s_nop 1
	v_subb_co_u32_e64 v3, s[8:9], v3, v1, s[8:9]
	v_lshl_add_u64 v[2:3], v[2:3], 0, 8
	v_cndmask_b32_e32 v17, v3, v7, vcc
	v_cndmask_b32_e32 v16, v2, v6, vcc
	s_branch .LBB117_86
.LBB117_81:
	ds_read_b64 v[20:21], v8
	s_waitcnt lgkmcnt(0)
	ds_write_b64 v1, v[20:21]
	s_or_b64 exec, exec, s[16:17]
	v_add_u32_e32 v9, v0, v6
	s_and_saveexec_b64 s[6:7], s[8:9]
	s_cbranch_execz .LBB117_60
.LBB117_82:
	ds_read_b64 v[6:7], v9
	s_waitcnt lgkmcnt(0)
	ds_write_b64 v1, v[6:7] offset:8
	s_or_b64 exec, exec, s[6:7]
	s_and_saveexec_b64 s[6:7], s[10:11]
	s_cbranch_execz .LBB117_61
.LBB117_83:
	ds_read_b64 v[6:7], v9 offset:264
	s_waitcnt lgkmcnt(0)
	ds_write_b64 v1, v[6:7] offset:16
	s_or_b64 exec, exec, s[6:7]
	v_add_u32_e32 v19, 0x2380, v16
	s_and_saveexec_b64 s[6:7], s[12:13]
	s_cbranch_execnz .LBB117_62
	s_branch .LBB117_63
.LBB117_84:
                                        ; implicit-def: $vgpr16_vgpr17
                                        ; implicit-def: $vgpr11
                                        ; implicit-def: $vgpr20
                                        ; implicit-def: $vgpr21
	s_cbranch_execz .LBB117_86
; %bb.85:
	s_lshl_b32 s8, s22, 3
	s_ashr_i32 s9, s8, 31
	s_ashr_i32 s23, s22, 31
	v_lshl_add_u64 v[2:3], s[8:9], 3, v[4:5]
	s_lshl_b64 s[8:9], s[22:23], 6
	v_lshl_add_u64 v[16:17], v[2:3], 0, s[8:9]
	v_lshl_add_u64 v[20:21], v[16:17], 0, s[8:9]
	global_load_dwordx2 v[26:27], v[4:5], off offset:-256
	global_load_dwordx2 v[28:29], v[2:3], off offset:-256
	;; [unrolled: 1-line block ×4, first 2 shown]
	s_movk_i32 s8, 0x108
	v_add_u32_e32 v11, 8, v10
	v_add_u32_e32 v20, 16, v10
	;; [unrolled: 1-line block ×3, first 2 shown]
	v_mad_u32_u24 v0, v10, s8, v0
	v_mov_b64_e32 v[16:17], v[6:7]
	s_waitcnt vmcnt(3)
	ds_write_b64 v0, v[26:27]
	s_waitcnt vmcnt(2)
	ds_write_b64 v0, v[28:29] offset:2112
	s_waitcnt vmcnt(1)
	ds_write_b64 v0, v[30:31] offset:4224
	;; [unrolled: 2-line block ×3, first 2 shown]
.LBB117_86:
	v_lshlrev_b32_e32 v25, 3, v10
	v_lshlrev_b32_e32 v30, 3, v11
	;; [unrolled: 1-line block ×4, first 2 shown]
	v_add_u32_e32 v28, v23, v25
	v_add_u32_e32 v34, v23, v30
	;; [unrolled: 1-line block ×4, first 2 shown]
	s_waitcnt lgkmcnt(0)
	s_barrier
	ds_read_b64 v[26:27], v0
	ds_read_b64 v[20:21], v8
	ds_read2_b64 v[4:7], v9 offset1:33
	ds_read_b128 v[8:11], v19 offset:256
	ds_read_b128 v[0:3], v19 offset:272
	ds_read_b64 v[28:29], v28
	ds_read_b64 v[18:19], v18
	ds_read_b64 v[30:31], v30 offset:9088
	ds_read_b64 v[32:33], v25 offset:9088
	ds_read_b64 v[34:35], v34
	ds_read_b64 v[36:37], v36
	ds_read_b64 v[38:39], v38 offset:9088
	ds_read_b64 v[40:41], v40 offset:9088
	s_waitcnt lgkmcnt(4)
	v_pk_mul_f32 v[42:43], v[32:33], v[28:29] op_sel:[1,1] op_sel_hi:[0,1]
	v_pk_fma_f32 v[44:45], v[32:33], v[28:29], v[42:43] neg_lo:[0,0,1] neg_hi:[0,0,1]
	v_pk_fma_f32 v[28:29], v[32:33], v[28:29], v[42:43] op_sel_hi:[1,0,1]
	s_waitcnt lgkmcnt(3)
	v_pk_mul_f32 v[32:33], v[30:31], v[34:35] op_sel:[1,1] op_sel_hi:[0,1]
	v_pk_fma_f32 v[42:43], v[30:31], v[34:35], v[32:33] neg_lo:[0,0,1] neg_hi:[0,0,1]
	v_pk_fma_f32 v[30:31], v[30:31], v[34:35], v[32:33] op_sel_hi:[1,0,1]
	v_mov_b32_e32 v45, v29
	v_mov_b32_e32 v43, v31
	s_waitcnt lgkmcnt(0)
	v_pk_mul_f32 v[30:31], v[40:41], v[36:37] op_sel:[1,1] op_sel_hi:[0,1]
	v_pk_add_f32 v[28:29], v[44:45], 0 op_sel_hi:[1,0]
	v_pk_fma_f32 v[32:33], v[40:41], v[36:37], v[30:31] neg_lo:[0,0,1] neg_hi:[0,0,1]
	v_pk_fma_f32 v[30:31], v[40:41], v[36:37], v[30:31] op_sel_hi:[1,0,1]
	v_pk_add_f32 v[28:29], v[28:29], v[42:43]
	v_mov_b32_e32 v33, v31
	v_pk_mul_f32 v[30:31], v[38:39], v[26:27] op_sel:[1,1] op_sel_hi:[0,1]
	v_pk_add_f32 v[28:29], v[28:29], v[32:33]
	v_pk_fma_f32 v[32:33], v[38:39], v[26:27], v[30:31] neg_lo:[0,0,1] neg_hi:[0,0,1]
	v_pk_fma_f32 v[26:27], v[38:39], v[26:27], v[30:31] op_sel_hi:[1,0,1]
	s_nop 0
	v_mov_b32_e32 v33, v27
	v_pk_add_f32 v[26:27], v[28:29], v[32:33]
	s_barrier
	ds_write_b64 v24, v[26:27]
	s_waitcnt lgkmcnt(0)
	s_barrier
	s_and_saveexec_b64 s[8:9], s[6:7]
	s_cbranch_execz .LBB117_88
; %bb.87:
	ds_read2_b64 v[26:29], v23 offset1:1
	ds_read2_b64 v[30:33], v23 offset0:2 offset1:3
	ds_read2_b64 v[34:37], v23 offset0:4 offset1:5
	s_waitcnt lgkmcnt(2)
	v_pk_add_f32 v[26:27], v[52:53], v[26:27]
	s_nop 0
	v_pk_add_f32 v[38:39], v[26:27], v[28:29]
	ds_read2_b64 v[26:29], v23 offset0:6 offset1:7
	s_waitcnt lgkmcnt(2)
	v_pk_add_f32 v[30:31], v[38:39], v[30:31]
	s_nop 0
	v_pk_add_f32 v[30:31], v[30:31], v[32:33]
	s_waitcnt lgkmcnt(1)
	v_pk_add_f32 v[30:31], v[30:31], v[34:35]
	s_nop 0
	v_pk_add_f32 v[30:31], v[30:31], v[36:37]
	;; [unrolled: 4-line block ×3, first 2 shown]
.LBB117_88:
	s_or_b64 exec, exec, s[8:9]
	v_pk_mul_f32 v[26:27], v[8:9], v[20:21] op_sel:[1,1] op_sel_hi:[0,1]
	v_pk_fma_f32 v[28:29], v[8:9], v[20:21], v[26:27] neg_lo:[0,0,1] neg_hi:[0,0,1]
	v_pk_fma_f32 v[8:9], v[8:9], v[20:21], v[26:27] op_sel_hi:[1,0,1]
	v_pk_mul_f32 v[20:21], v[10:11], v[4:5] op_sel:[1,1] op_sel_hi:[0,1]
	v_mov_b32_e32 v29, v9
	v_pk_fma_f32 v[26:27], v[10:11], v[4:5], v[20:21] neg_lo:[0,0,1] neg_hi:[0,0,1]
	v_pk_fma_f32 v[4:5], v[10:11], v[4:5], v[20:21] op_sel_hi:[1,0,1]
	v_pk_add_f32 v[8:9], v[28:29], 0 op_sel_hi:[1,0]
	v_mov_b32_e32 v27, v5
	v_pk_add_f32 v[4:5], v[8:9], v[26:27]
	v_pk_mul_f32 v[8:9], v[0:1], v[6:7] op_sel:[1,1] op_sel_hi:[0,1]
	v_pk_fma_f32 v[10:11], v[0:1], v[6:7], v[8:9] neg_lo:[0,0,1] neg_hi:[0,0,1]
	v_pk_fma_f32 v[0:1], v[0:1], v[6:7], v[8:9] op_sel_hi:[1,0,1]
	s_nop 0
	v_mov_b32_e32 v11, v1
	v_pk_add_f32 v[0:1], v[4:5], v[10:11]
	v_pk_mul_f32 v[4:5], v[2:3], v[18:19] op_sel:[1,1] op_sel_hi:[0,1]
	v_pk_fma_f32 v[6:7], v[2:3], v[18:19], v[4:5] neg_lo:[0,0,1] neg_hi:[0,0,1]
	v_pk_fma_f32 v[2:3], v[2:3], v[18:19], v[4:5] op_sel_hi:[1,0,1]
	s_barrier
	v_mov_b32_e32 v7, v3
	v_pk_add_f32 v[0:1], v[0:1], v[6:7]
	ds_write_b64 v24, v[0:1]
	s_waitcnt lgkmcnt(0)
	s_barrier
	s_and_saveexec_b64 s[6:7], s[4:5]
	s_cbranch_execz .LBB117_90
; %bb.89:
	ds_read2_b64 v[0:3], v23 offset1:1
	ds_read2_b64 v[4:7], v23 offset0:2 offset1:3
	ds_read2_b64 v[8:11], v23 offset0:4 offset1:5
	s_waitcnt lgkmcnt(2)
	v_pk_add_f32 v[0:1], v[52:53], v[0:1]
	s_nop 0
	v_pk_add_f32 v[18:19], v[0:1], v[2:3]
	ds_read2_b64 v[0:3], v23 offset0:6 offset1:7
	s_waitcnt lgkmcnt(2)
	v_pk_add_f32 v[4:5], v[18:19], v[4:5]
	s_nop 0
	v_pk_add_f32 v[4:5], v[4:5], v[6:7]
	s_waitcnt lgkmcnt(1)
	v_pk_add_f32 v[4:5], v[4:5], v[8:9]
	s_nop 0
	v_pk_add_f32 v[4:5], v[4:5], v[10:11]
	;; [unrolled: 4-line block ×3, first 2 shown]
.LBB117_90:
	s_or_b64 exec, exec, s[6:7]
	s_load_dwordx2 s[0:1], s[0:1], 0x68
	s_mul_hi_u32 s4, s36, s3
	s_mul_i32 s37, s37, s3
	s_add_i32 s4, s4, s37
	s_mul_i32 s3, s36, s3
	s_mul_i32 s4, s4, s33
	s_mul_hi_u32 s5, s3, s33
	s_add_i32 s5, s5, s4
	s_mul_i32 s4, s3, s33
	s_lshl_b64 s[4:5], s[4:5], 3
	s_waitcnt lgkmcnt(0)
	s_add_u32 s3, s0, s4
	s_addc_u32 s4, s1, s5
	s_mul_hi_i32 s1, s36, s2
	s_mul_i32 s0, s36, s2
	s_lshl_b64 s[0:1], s[0:1], 3
	s_add_u32 s6, s3, s0
	s_addc_u32 s7, s4, s1
	s_add_i32 s8, s2, 1
	s_cmp_ge_u32 s8, s33
	v_lshlrev_b32_e32 v51, 3, v50
	s_barrier
	s_cbranch_scc1 .LBB117_148
; %bb.91:
	s_mul_i32 s0, s35, s24
	s_ashr_i32 s1, s0, 31
	s_lshl_b32 s4, s22, 4
	s_lshl_b64 s[0:1], s[0:1], 3
	v_lshrrev_b32_e32 v2, 4, v22
	s_lshl_b32 s19, s35, 6
	v_mov_b32_e32 v3, 0x2180
	s_ashr_i32 s5, s4, 31
	s_ashr_i32 s23, s22, 31
	s_lshl_b32 s16, s22, 1
	s_mul_i32 s24, s22, 3
	s_mul_i32 s35, s35, s8
	v_lshlrev_b32_e32 v132, 2, v49
	v_mov_b32_e32 v0, s1
	v_subrev_co_u32_e32 v54, vcc, s0, v12
	v_and_b32_e32 v6, 15, v50
	s_add_i32 s3, s33, -2
	v_lshl_add_u32 v134, v49, 5, v3
	v_lshlrev_b32_e32 v3, 5, v2
	s_movk_i32 s9, 0x218
	s_ashr_i32 s17, s16, 31
	s_ashr_i32 s25, s24, 31
	s_lshl_b64 s[12:13], s[22:23], 3
	s_lshl_b32 s8, s35, 6
	s_lshl_b64 s[28:29], s[26:27], 3
	s_lshl_b64 s[10:11], s[4:5], 5
	;; [unrolled: 1-line block ×3, first 2 shown]
	v_subb_co_u32_e32 v55, vcc, v13, v0, vcc
	v_mad_u64_u32 v[0:1], s[0:1], s22, v132, v[50:51]
	v_mad_u32_u24 v137, v6, s9, v3
	v_mul_i32_i24_e32 v7, 0xffffffe8, v2
	v_lshlrev_b64 v[2:3], 3, v[14:15]
	s_add_u32 s36, s30, s28
	v_ashrrev_i32_e32 v1, 31, v0
	v_sub_co_u32_e32 v56, vcc, 0, v2
	s_addc_u32 s37, s31, s29
	s_nop 0
	v_subb_co_u32_e32 v57, vcc, 0, v3, vcc
	v_lshlrev_b64 v[2:3], 3, v[0:1]
	s_add_u32 s38, s12, s28
	v_lshl_add_u64 v[4:5], s[28:29], 0, v[2:3]
	s_addc_u32 s39, s13, s29
	s_lshl_b64 s[16:17], s[16:17], 3
	v_lshl_add_u64 v[58:59], v[16:17], 0, v[4:5]
	v_lshl_add_u64 v[4:5], s[36:37], 0, v[2:3]
	s_add_u32 s40, s28, s16
	v_lshl_add_u64 v[60:61], v[16:17], 0, v[4:5]
	v_lshl_add_u64 v[4:5], s[38:39], 0, v[2:3]
	s_addc_u32 s41, s29, s17
	s_lshl_b64 s[24:25], s[24:25], 3
	v_lshl_add_u64 v[62:63], v[16:17], 0, v[4:5]
	v_lshl_add_u64 v[4:5], s[40:41], 0, v[2:3]
	s_add_u32 s40, s28, s24
	s_addc_u32 s41, s29, s25
	v_lshl_add_u64 v[64:65], v[16:17], 0, v[4:5]
	v_lshl_add_u64 v[4:5], s[40:41], 0, v[2:3]
	s_lshl_b64 s[40:41], s[4:5], 3
	s_add_u32 s42, s28, s40
	s_addc_u32 s43, s29, s41
	s_add_u32 s38, s38, s40
	v_lshl_add_u64 v[66:67], v[16:17], 0, v[4:5]
	v_lshl_add_u64 v[4:5], s[42:43], 0, v[2:3]
	s_addc_u32 s39, s39, s41
	v_lshl_add_u64 v[68:69], v[16:17], 0, v[4:5]
	v_lshl_add_u64 v[4:5], s[38:39], 0, v[2:3]
	s_add_u32 s38, s42, s16
	s_addc_u32 s39, s43, s17
	v_lshl_add_u64 v[70:71], v[16:17], 0, v[4:5]
	v_lshl_add_u64 v[4:5], s[38:39], 0, v[2:3]
	s_add_u32 s38, s36, s40
	;; [unrolled: 4-line block ×3, first 2 shown]
	s_addc_u32 s39, s43, s25
	v_lshl_add_u64 v[74:75], v[16:17], 0, v[4:5]
	v_lshl_add_u64 v[4:5], s[38:39], 0, v[2:3]
	s_lshl_b64 s[38:39], s[4:5], 4
	s_add_u32 s28, s38, s28
	s_addc_u32 s29, s39, s29
	s_add_u32 s40, s28, s12
	v_lshl_add_u64 v[76:77], v[16:17], 0, v[4:5]
	v_lshl_add_u64 v[4:5], s[28:29], 0, v[2:3]
	s_addc_u32 s41, s29, s13
	v_lshl_add_u64 v[78:79], v[16:17], 0, v[4:5]
	v_lshl_add_u64 v[4:5], s[40:41], 0, v[2:3]
	s_add_u32 s40, s28, s16
	s_addc_u32 s41, s29, s17
	s_add_u32 s36, s36, s38
	s_addc_u32 s37, s37, s39
	s_add_u32 s28, s28, s24
	v_lshl_add_u64 v[80:81], v[16:17], 0, v[4:5]
	v_lshl_add_u64 v[4:5], s[40:41], 0, v[2:3]
	s_addc_u32 s29, s29, s25
	v_lshl_add_u64 v[0:1], s[26:27], 0, v[0:1]
	v_lshl_add_u64 v[82:83], v[16:17], 0, v[4:5]
	;; [unrolled: 1-line block ×4, first 2 shown]
	v_lshlrev_b64 v[0:1], 3, v[0:1]
	v_lshl_add_u64 v[86:87], v[16:17], 0, v[2:3]
	s_mulk_i32 s22, 0x180
	s_mul_hi_i32 s23, s4, 24
	v_mad_i64_i32 v[2:3], s[4:5], s4, 24, v[0:1]
	s_add_u32 s4, s22, s30
	s_addc_u32 s5, s23, s31
	v_lshl_add_u64 v[0:1], s[4:5], 0, v[0:1]
	v_lshl_add_u64 v[94:95], v[16:17], 0, v[0:1]
	;; [unrolled: 1-line block ×4, first 2 shown]
	v_and_b32_e32 v0, 48, v50
	v_lshl_add_u64 v[84:85], v[16:17], 0, v[4:5]
	v_lshl_add_u64 v[4:5], v[2:3], 0, s[12:13]
	v_lshlrev_b32_e32 v0, 3, v0
	s_movk_i32 s0, 0x860
	v_lshl_add_u64 v[90:91], v[16:17], 0, v[4:5]
	v_lshl_add_u64 v[4:5], v[2:3], 0, s[16:17]
	v_mad_u32_u24 v138, v6, s9, v0
	v_or_b32_e32 v0, 0x78, v51
	v_mov_b32_e32 v156, 0
	v_add_u32_e32 v133, 0x2180, v51
	v_add_u32_e32 v135, 0x2380, v51
	v_mad_u32_u24 v136, v49, s0, v51
	v_cmp_gt_u32_e64 s[0:1], 64, v22
	v_lshl_add_u64 v[88:89], v[16:17], 0, v[2:3]
	v_lshl_add_u64 v[92:93], v[16:17], 0, v[4:5]
	v_mad_u32_u24 v139, v6, s9, v0
	v_or_b32_e32 v140, 1, v132
	v_add_u32_e32 v141, v137, v7
	v_mov_b32_e32 v157, v156
	v_or_b32_e32 v142, 2, v132
	v_or_b32_e32 v143, 3, v132
	v_add_u32_e32 v144, 16, v132
	v_add_u32_e32 v145, 17, v132
	;; [unrolled: 1-line block ×13, first 2 shown]
	s_branch .LBB117_93
.LBB117_92:                             ;   in Loop: Header=BB117_93 Depth=1
	s_or_b64 exec, exec, s[4:5]
	v_mul_f32_e32 v99, v5, v103
	v_fma_f32 v99, v4, v102, -v99
	v_add_f32_e32 v52, v52, v99
	v_mul_f32_e32 v99, v7, v101
	v_mul_f32_e32 v5, v5, v102
	v_fma_f32 v99, v6, v100, -v99
	v_mul_f32_e32 v7, v7, v100
	v_add_f32_e32 v52, v52, v99
	v_mul_f32_e32 v99, v1, v105
	v_fmac_f32_e32 v5, v4, v103
	v_fma_f32 v99, v0, v104, -v99
	v_mul_f32_e32 v1, v1, v104
	v_add_f32_e32 v4, v53, v5
	v_fmac_f32_e32 v7, v6, v101
	v_add_f32_e32 v52, v52, v99
	v_mul_f32_e32 v99, v3, v107
	v_mul_f32_e32 v3, v3, v106
	v_add_f32_e32 v4, v4, v7
	v_fmac_f32_e32 v1, v0, v105
	v_add_f32_e32 v0, v4, v1
	v_fmac_f32_e32 v3, v2, v107
	v_fma_f32 v99, v2, v106, -v99
	v_add_f32_e32 v1, v0, v3
	v_mul_f32_e32 v0, v13, v111
	v_add_f32_e32 v52, v52, v99
	v_fma_f32 v0, v12, v110, -v0
	v_mul_f32_e32 v6, v13, v110
	v_mul_f32_e32 v2, v15, v109
	v_add_f32_e32 v0, v52, v0
	v_fma_f32 v2, v14, v108, -v2
	v_mul_f32_e32 v7, v15, v108
	v_fmac_f32_e32 v6, v12, v111
	v_add_f32_e32 v0, v0, v2
	v_mul_f32_e32 v2, v9, v113
	v_mul_f32_e32 v3, v9, v112
	v_add_f32_e32 v1, v1, v6
	v_fmac_f32_e32 v7, v14, v109
	v_mov_b32_e32 v16, v119
	v_mov_b32_e32 v17, v119
	v_fma_f32 v2, v8, v112, -v2
	v_mul_f32_e32 v4, v11, v115
	v_mul_f32_e32 v5, v11, v114
	v_add_f32_e32 v1, v1, v7
	v_fmac_f32_e32 v3, v8, v113
	v_mov_b32_e32 v119, v118
	v_fma_f32 v4, v10, v114, -v4
	v_pk_add_f32 v[0:1], v[0:1], v[2:3]
	v_fmac_f32_e32 v5, v10, v115
	v_pk_mul_f32 v[2:3], v[28:29], v[16:17]
	v_mov_b32_e32 v18, v117
	v_mov_b32_e32 v19, v117
	v_pk_add_f32 v[0:1], v[0:1], v[4:5]
	v_pk_fma_f32 v[4:5], v[28:29], v[118:119], v[2:3] op_sel:[0,0,1] op_sel_hi:[1,1,0] neg_lo:[0,0,1] neg_hi:[0,0,1]
	v_pk_fma_f32 v[2:3], v[28:29], v[118:119], v[2:3] op_sel:[0,0,1] op_sel_hi:[1,1,0]
	v_mov_b32_e32 v117, v116
	v_mov_b32_e32 v5, v3
	v_pk_mul_f32 v[2:3], v[30:31], v[18:19]
	v_mov_b32_e32 v20, v121
	v_mov_b32_e32 v21, v121
	v_pk_add_f32 v[0:1], v[0:1], v[4:5]
	v_pk_fma_f32 v[4:5], v[30:31], v[116:117], v[2:3] op_sel:[0,0,1] op_sel_hi:[1,1,0] neg_lo:[0,0,1] neg_hi:[0,0,1]
	v_pk_fma_f32 v[2:3], v[30:31], v[116:117], v[2:3] op_sel:[0,0,1] op_sel_hi:[1,1,0]
	v_mov_b32_e32 v121, v120
	v_mov_b32_e32 v5, v3
	;; [unrolled: 8-line block ×5, first 2 shown]
	v_pk_mul_f32 v[2:3], v[38:39], v[42:43]
	v_mov_b32_e32 v44, v129
	v_mov_b32_e32 v45, v129
	v_pk_fma_f32 v[6:7], v[38:39], v[124:125], v[2:3] op_sel:[0,0,1] op_sel_hi:[1,1,0] neg_lo:[0,0,1] neg_hi:[0,0,1]
	v_pk_fma_f32 v[2:3], v[38:39], v[124:125], v[2:3] op_sel:[0,0,1] op_sel_hi:[1,1,0]
	v_mov_b32_e32 v129, v128
	v_mov_b32_e32 v7, v3
	v_pk_mul_f32 v[2:3], v[32:33], v[44:45]
	v_mov_b32_e32 v46, v131
	v_mov_b32_e32 v47, v131
	v_pk_fma_f32 v[8:9], v[32:33], v[128:129], v[2:3] op_sel:[0,0,1] op_sel_hi:[1,1,0] neg_lo:[0,0,1] neg_hi:[0,0,1]
	v_pk_fma_f32 v[2:3], v[32:33], v[128:129], v[2:3] op_sel:[0,0,1] op_sel_hi:[1,1,0]
	v_mov_b32_e32 v131, v130
	v_mov_b32_e32 v9, v3
	v_pk_mul_f32 v[2:3], v[34:35], v[46:47]
	v_pk_add_f32 v[0:1], v[0:1], v[4:5]
	v_pk_fma_f32 v[10:11], v[34:35], v[130:131], v[2:3] op_sel:[0,0,1] op_sel_hi:[1,1,0] neg_lo:[0,0,1] neg_hi:[0,0,1]
	v_pk_fma_f32 v[2:3], v[34:35], v[130:131], v[2:3] op_sel:[0,0,1] op_sel_hi:[1,1,0]
	v_pk_add_f32 v[0:1], v[0:1], v[6:7]
	v_mov_b32_e32 v11, v3
	v_pk_add_f32 v[0:1], v[0:1], v[8:9]
	s_add_i32 s4, s2, 1
	s_add_i32 s8, s8, s19
	s_add_i32 s2, s2, 2
	v_pk_add_f32 v[52:53], v[0:1], v[10:11]
	v_add_u32_e32 v98, 64, v98
	v_lshl_add_u64 v[58:59], v[58:59], 0, s[10:11]
	v_lshl_add_u64 v[60:61], v[60:61], 0, s[10:11]
	;; [unrolled: 1-line block ×20, first 2 shown]
	s_cmp_ge_u32 s2, s33
	s_mov_b32 s2, s4
	s_barrier
	s_cbranch_scc1 .LBB117_148
.LBB117_93:                             ; =>This Inner Loop Header: Depth=1
	s_cmp_eq_u32 s3, s2
	s_cselect_b32 s24, s34, 0
	s_and_saveexec_b64 s[4:5], s[14:15]
	s_cbranch_execz .LBB117_98
; %bb.94:                               ;   in Loop: Header=BB117_93 Depth=1
	s_cmp_lg_u32 s24, 0
	s_cselect_b64 s[12:13], -1, 0
	v_cmp_le_i32_e32 vcc, s24, v50
	s_and_b64 s[12:13], s[12:13], vcc
	s_and_saveexec_b64 s[16:17], s[12:13]
	s_xor_b64 s[12:13], exec, s[16:17]
; %bb.95:                               ;   in Loop: Header=BB117_93 Depth=1
	ds_write_b64 v133, v[156:157]
; %bb.96:                               ;   in Loop: Header=BB117_93 Depth=1
	s_andn2_saveexec_b64 s[12:13], s[12:13]
	s_cbranch_execz .LBB117_98
; %bb.97:                               ;   in Loop: Header=BB117_93 Depth=1
	s_ashr_i32 s9, s8, 31
	v_lshl_add_u64 v[0:1], s[8:9], 3, v[54:55]
	global_load_dwordx2 v[0:1], v[0:1], off
	s_waitcnt vmcnt(0)
	ds_write_b64 v133, v[0:1]
.LBB117_98:                             ;   in Loop: Header=BB117_93 Depth=1
	s_or_b64 exec, exec, s[4:5]
	s_cmp_eq_u32 s24, 0
	s_cselect_b64 s[12:13], -1, 0
	s_cmp_lg_u32 s24, 0
	s_cselect_b64 s[16:17], -1, 0
	v_lshl_add_u64 v[0:1], v[58:59], 0, v[56:57]
	s_and_b64 vcc, exec, s[16:17]
	s_waitcnt lgkmcnt(0)
	s_barrier
	s_cbranch_vccz .LBB117_106
; %bb.99:                               ;   in Loop: Header=BB117_93 Depth=1
	v_cmp_gt_i32_e32 vcc, s24, v132
	v_mov_b64_e32 v[100:101], 0
	v_mov_b64_e32 v[102:103], 0
	s_and_saveexec_b64 s[4:5], vcc
	s_cbranch_execz .LBB117_101
; %bb.100:                              ;   in Loop: Header=BB117_93 Depth=1
	global_load_dwordx2 v[102:103], v[0:1], off
.LBB117_101:                            ;   in Loop: Header=BB117_93 Depth=1
	s_or_b64 exec, exec, s[4:5]
	v_cmp_gt_i32_e32 vcc, s24, v140
	s_and_saveexec_b64 s[4:5], vcc
	s_cbranch_execz .LBB117_103
; %bb.102:                              ;   in Loop: Header=BB117_93 Depth=1
	v_lshl_add_u64 v[2:3], v[62:63], 0, v[56:57]
	global_load_dwordx2 v[100:101], v[2:3], off
.LBB117_103:                            ;   in Loop: Header=BB117_93 Depth=1
	s_or_b64 exec, exec, s[4:5]
	v_cmp_gt_i32_e32 vcc, s24, v142
	v_mov_b64_e32 v[104:105], 0
	s_and_saveexec_b64 s[4:5], vcc
	s_cbranch_execz .LBB117_105
; %bb.104:                              ;   in Loop: Header=BB117_93 Depth=1
	v_lshl_add_u64 v[2:3], v[64:65], 0, v[56:57]
	global_load_dwordx2 v[104:105], v[2:3], off
.LBB117_105:                            ;   in Loop: Header=BB117_93 Depth=1
	s_or_b64 exec, exec, s[4:5]
	v_cmp_gt_i32_e64 s[4:5], s24, v143
	s_branch .LBB117_108
.LBB117_106:                            ;   in Loop: Header=BB117_93 Depth=1
	s_mov_b64 s[4:5], 0
                                        ; implicit-def: $vgpr104_vgpr105
                                        ; implicit-def: $vgpr100_vgpr101
                                        ; implicit-def: $vgpr102_vgpr103
	s_cbranch_execz .LBB117_108
; %bb.107:                              ;   in Loop: Header=BB117_93 Depth=1
	global_load_dwordx2 v[102:103], v[0:1], off
	v_lshl_add_u64 v[0:1], v[62:63], 0, v[56:57]
	global_load_dwordx2 v[100:101], v[0:1], off
	v_lshl_add_u64 v[0:1], v[60:61], 0, v[56:57]
	global_load_dwordx2 v[104:105], v[0:1], off
	s_or_b64 s[4:5], s[4:5], exec
.LBB117_108:                            ;   in Loop: Header=BB117_93 Depth=1
	v_mov_b64_e32 v[106:107], 0
	s_and_saveexec_b64 s[22:23], s[4:5]
	s_cbranch_execz .LBB117_110
; %bb.109:                              ;   in Loop: Header=BB117_93 Depth=1
	v_lshl_add_u64 v[0:1], v[66:67], 0, v[56:57]
	global_load_dwordx2 v[106:107], v[0:1], off
.LBB117_110:                            ;   in Loop: Header=BB117_93 Depth=1
	s_or_b64 exec, exec, s[22:23]
	ds_read_b64 v[8:9], v135
	ds_read_b128 v[4:7], v134
	ds_read_b128 v[0:3], v134 offset:16
	s_andn2_b64 vcc, exec, s[16:17]
	s_waitcnt vmcnt(0) lgkmcnt(2)
	v_pk_mul_f32 v[10:11], v[8:9], v[102:103] op_sel:[1,1] op_sel_hi:[0,1]
	v_pk_mul_f32 v[12:13], v[8:9], v[100:101] op_sel:[1,1] op_sel_hi:[0,1]
	v_pk_fma_f32 v[14:15], v[8:9], v[102:103], v[10:11] neg_lo:[0,0,1] neg_hi:[0,0,1]
	v_pk_fma_f32 v[10:11], v[8:9], v[102:103], v[10:11] op_sel_hi:[1,0,1]
	s_nop 0
	v_mov_b32_e32 v15, v11
	v_pk_fma_f32 v[10:11], v[8:9], v[100:101], v[12:13] neg_lo:[0,0,1] neg_hi:[0,0,1]
	v_pk_fma_f32 v[12:13], v[8:9], v[100:101], v[12:13] op_sel_hi:[1,0,1]
	s_nop 0
	v_mov_b32_e32 v11, v13
	ds_write2_b64 v136, v[14:15], v[10:11] offset1:67
	v_pk_mul_f32 v[10:11], v[8:9], v[104:105] op_sel:[1,1] op_sel_hi:[0,1]
	v_pk_fma_f32 v[12:13], v[8:9], v[104:105], v[10:11] neg_lo:[0,0,1] neg_hi:[0,0,1]
	v_pk_fma_f32 v[10:11], v[8:9], v[104:105], v[10:11] op_sel_hi:[1,0,1]
	s_nop 0
	v_mov_b32_e32 v13, v11
	v_pk_mul_f32 v[10:11], v[8:9], v[106:107] op_sel:[1,1] op_sel_hi:[0,1]
	v_pk_fma_f32 v[14:15], v[8:9], v[106:107], v[10:11] neg_lo:[0,0,1] neg_hi:[0,0,1]
	v_pk_fma_f32 v[8:9], v[8:9], v[106:107], v[10:11] op_sel_hi:[1,0,1]
	s_nop 0
	v_mov_b32_e32 v15, v9
	ds_write2_b64 v136, v[12:13], v[14:15] offset0:134 offset1:201
	s_waitcnt lgkmcnt(0)
	s_barrier
	ds_read2_b64 v[20:23], v137 offset1:1
	ds_read2_b64 v[16:19], v137 offset0:2 offset1:3
	v_cndmask_b32_e64 v8, 0, 1, s[16:17]
	v_cmp_ne_u32_e64 s[4:5], 1, v8
	v_lshl_add_u64 v[8:9], v[68:69], 0, v[56:57]
	s_waitcnt lgkmcnt(0)
	s_barrier
	s_cbranch_vccnz .LBB117_118
; %bb.111:                              ;   in Loop: Header=BB117_93 Depth=1
	v_cmp_gt_i32_e32 vcc, s24, v144
	v_mov_b64_e32 v[108:109], 0
	v_mov_b64_e32 v[110:111], 0
	s_and_saveexec_b64 s[16:17], vcc
	s_cbranch_execz .LBB117_113
; %bb.112:                              ;   in Loop: Header=BB117_93 Depth=1
	global_load_dwordx2 v[110:111], v[8:9], off
.LBB117_113:                            ;   in Loop: Header=BB117_93 Depth=1
	s_or_b64 exec, exec, s[16:17]
	v_cmp_gt_i32_e32 vcc, s24, v145
	s_and_saveexec_b64 s[16:17], vcc
	s_cbranch_execz .LBB117_115
; %bb.114:                              ;   in Loop: Header=BB117_93 Depth=1
	v_lshl_add_u64 v[10:11], v[70:71], 0, v[56:57]
	global_load_dwordx2 v[108:109], v[10:11], off
.LBB117_115:                            ;   in Loop: Header=BB117_93 Depth=1
	s_or_b64 exec, exec, s[16:17]
	v_cmp_gt_i32_e32 vcc, s24, v146
	v_mov_b64_e32 v[112:113], 0
	s_and_saveexec_b64 s[16:17], vcc
	s_cbranch_execz .LBB117_117
; %bb.116:                              ;   in Loop: Header=BB117_93 Depth=1
	v_lshl_add_u64 v[10:11], v[72:73], 0, v[56:57]
	global_load_dwordx2 v[112:113], v[10:11], off
.LBB117_117:                            ;   in Loop: Header=BB117_93 Depth=1
	s_or_b64 exec, exec, s[16:17]
	v_cmp_gt_i32_e64 s[16:17], s24, v147
	s_branch .LBB117_120
.LBB117_118:                            ;   in Loop: Header=BB117_93 Depth=1
	s_mov_b64 s[16:17], 0
                                        ; implicit-def: $vgpr112_vgpr113
                                        ; implicit-def: $vgpr108_vgpr109
                                        ; implicit-def: $vgpr110_vgpr111
	s_cbranch_execz .LBB117_120
; %bb.119:                              ;   in Loop: Header=BB117_93 Depth=1
	global_load_dwordx2 v[110:111], v[8:9], off
	v_lshl_add_u64 v[8:9], v[70:71], 0, v[56:57]
	global_load_dwordx2 v[108:109], v[8:9], off
	v_lshl_add_u64 v[8:9], v[74:75], 0, v[56:57]
	global_load_dwordx2 v[112:113], v[8:9], off
	s_or_b64 s[16:17], s[16:17], exec
.LBB117_120:                            ;   in Loop: Header=BB117_93 Depth=1
	v_mov_b64_e32 v[114:115], 0
	s_and_saveexec_b64 s[22:23], s[16:17]
	s_cbranch_execz .LBB117_122
; %bb.121:                              ;   in Loop: Header=BB117_93 Depth=1
	v_lshl_add_u64 v[8:9], v[76:77], 0, v[56:57]
	global_load_dwordx2 v[114:115], v[8:9], off
.LBB117_122:                            ;   in Loop: Header=BB117_93 Depth=1
	s_or_b64 exec, exec, s[22:23]
	ds_read_b64 v[24:25], v135
	ds_read_b128 v[12:15], v134 offset:128
	ds_read_b128 v[8:11], v134 offset:144
	s_and_b64 vcc, exec, s[4:5]
	s_waitcnt vmcnt(0) lgkmcnt(2)
	v_pk_mul_f32 v[26:27], v[24:25], v[110:111] op_sel:[1,1] op_sel_hi:[0,1]
	v_pk_mul_f32 v[28:29], v[24:25], v[108:109] op_sel:[1,1] op_sel_hi:[0,1]
	v_pk_fma_f32 v[30:31], v[24:25], v[110:111], v[26:27] neg_lo:[0,0,1] neg_hi:[0,0,1]
	v_pk_fma_f32 v[26:27], v[24:25], v[110:111], v[26:27] op_sel_hi:[1,0,1]
	s_nop 0
	v_mov_b32_e32 v31, v27
	v_pk_fma_f32 v[26:27], v[24:25], v[108:109], v[28:29] neg_lo:[0,0,1] neg_hi:[0,0,1]
	v_pk_fma_f32 v[28:29], v[24:25], v[108:109], v[28:29] op_sel_hi:[1,0,1]
	s_nop 0
	v_mov_b32_e32 v27, v29
	ds_write2_b64 v136, v[30:31], v[26:27] offset1:67
	v_pk_mul_f32 v[26:27], v[24:25], v[112:113] op_sel:[1,1] op_sel_hi:[0,1]
	v_pk_fma_f32 v[28:29], v[24:25], v[112:113], v[26:27] neg_lo:[0,0,1] neg_hi:[0,0,1]
	v_pk_fma_f32 v[26:27], v[24:25], v[112:113], v[26:27] op_sel_hi:[1,0,1]
	s_nop 0
	v_mov_b32_e32 v29, v27
	v_pk_mul_f32 v[26:27], v[24:25], v[114:115] op_sel:[1,1] op_sel_hi:[0,1]
	v_pk_fma_f32 v[30:31], v[24:25], v[114:115], v[26:27] neg_lo:[0,0,1] neg_hi:[0,0,1]
	v_pk_fma_f32 v[24:25], v[24:25], v[114:115], v[26:27] op_sel_hi:[1,0,1]
	s_nop 0
	v_mov_b32_e32 v31, v25
	ds_write2_b64 v136, v[28:29], v[30:31] offset0:134 offset1:201
	s_waitcnt lgkmcnt(0)
	s_barrier
	ds_read2_b64 v[36:39], v137 offset1:1
	ds_read2_b64 v[32:35], v137 offset0:2 offset1:3
	v_lshl_add_u64 v[24:25], v[78:79], 0, v[56:57]
	s_waitcnt lgkmcnt(0)
	s_barrier
	s_cbranch_vccnz .LBB117_130
; %bb.123:                              ;   in Loop: Header=BB117_93 Depth=1
	v_cmp_gt_i32_e32 vcc, s24, v148
	v_mov_b64_e32 v[116:117], 0
	v_mov_b64_e32 v[118:119], 0
	s_and_saveexec_b64 s[16:17], vcc
	s_cbranch_execz .LBB117_125
; %bb.124:                              ;   in Loop: Header=BB117_93 Depth=1
	global_load_dwordx2 v[118:119], v[24:25], off
.LBB117_125:                            ;   in Loop: Header=BB117_93 Depth=1
	s_or_b64 exec, exec, s[16:17]
	v_cmp_gt_i32_e32 vcc, s24, v149
	s_and_saveexec_b64 s[16:17], vcc
	s_cbranch_execz .LBB117_127
; %bb.126:                              ;   in Loop: Header=BB117_93 Depth=1
	v_lshl_add_u64 v[26:27], v[80:81], 0, v[56:57]
	global_load_dwordx2 v[116:117], v[26:27], off
.LBB117_127:                            ;   in Loop: Header=BB117_93 Depth=1
	s_or_b64 exec, exec, s[16:17]
	v_cmp_gt_i32_e32 vcc, s24, v150
	v_mov_b64_e32 v[120:121], 0
	s_and_saveexec_b64 s[16:17], vcc
	s_cbranch_execz .LBB117_129
; %bb.128:                              ;   in Loop: Header=BB117_93 Depth=1
	v_lshl_add_u64 v[26:27], v[82:83], 0, v[56:57]
	global_load_dwordx2 v[120:121], v[26:27], off
.LBB117_129:                            ;   in Loop: Header=BB117_93 Depth=1
	s_or_b64 exec, exec, s[16:17]
	v_cmp_gt_i32_e64 s[16:17], s24, v151
	s_branch .LBB117_132
.LBB117_130:                            ;   in Loop: Header=BB117_93 Depth=1
	s_mov_b64 s[16:17], 0
                                        ; implicit-def: $vgpr120_vgpr121
                                        ; implicit-def: $vgpr116_vgpr117
                                        ; implicit-def: $vgpr118_vgpr119
	s_cbranch_execz .LBB117_132
; %bb.131:                              ;   in Loop: Header=BB117_93 Depth=1
	global_load_dwordx2 v[118:119], v[24:25], off
	v_lshl_add_u64 v[24:25], v[80:81], 0, v[56:57]
	global_load_dwordx2 v[116:117], v[24:25], off
	v_lshl_add_u64 v[24:25], v[84:85], 0, v[56:57]
	global_load_dwordx2 v[120:121], v[24:25], off
	s_or_b64 s[16:17], s[16:17], exec
.LBB117_132:                            ;   in Loop: Header=BB117_93 Depth=1
	v_mov_b64_e32 v[122:123], 0
	s_and_saveexec_b64 s[22:23], s[16:17]
	s_cbranch_execz .LBB117_134
; %bb.133:                              ;   in Loop: Header=BB117_93 Depth=1
	v_lshl_add_u64 v[24:25], v[86:87], 0, v[56:57]
	global_load_dwordx2 v[122:123], v[24:25], off
.LBB117_134:                            ;   in Loop: Header=BB117_93 Depth=1
	s_or_b64 exec, exec, s[22:23]
	ds_read_b64 v[24:25], v135
	s_and_b64 vcc, exec, s[4:5]
	v_lshl_add_u64 v[130:131], v[88:89], 0, v[56:57]
	s_waitcnt vmcnt(0) lgkmcnt(0)
	v_pk_mul_f32 v[26:27], v[24:25], v[118:119] op_sel:[0,1]
	v_pk_mul_f32 v[28:29], v[24:25], v[116:117] op_sel:[0,1]
	v_pk_fma_f32 v[30:31], v[24:25], v[118:119], v[26:27] op_sel:[0,0,1] op_sel_hi:[1,1,0] neg_lo:[0,0,1] neg_hi:[0,0,1]
	v_pk_fma_f32 v[26:27], v[24:25], v[118:119], v[26:27] op_sel:[0,0,1] op_sel_hi:[1,0,0]
	v_pk_fma_f32 v[40:41], v[24:25], v[116:117], v[28:29] op_sel:[0,0,1] op_sel_hi:[1,1,0] neg_lo:[0,0,1] neg_hi:[0,0,1]
	v_pk_fma_f32 v[28:29], v[24:25], v[116:117], v[28:29] op_sel:[0,0,1] op_sel_hi:[1,0,0]
	v_mov_b32_e32 v31, v27
	v_pk_mul_f32 v[26:27], v[24:25], v[120:121] op_sel:[0,1]
	v_mov_b32_e32 v41, v29
	v_pk_fma_f32 v[28:29], v[24:25], v[120:121], v[26:27] op_sel:[0,0,1] op_sel_hi:[1,1,0] neg_lo:[0,0,1] neg_hi:[0,0,1]
	v_pk_fma_f32 v[26:27], v[24:25], v[120:121], v[26:27] op_sel:[0,0,1] op_sel_hi:[1,0,0]
	ds_write2_b64 v136, v[30:31], v[40:41] offset1:67
	v_mov_b32_e32 v29, v27
	v_pk_mul_f32 v[26:27], v[24:25], v[122:123] op_sel:[0,1]
	s_nop 0
	v_pk_fma_f32 v[30:31], v[24:25], v[122:123], v[26:27] op_sel:[0,0,1] op_sel_hi:[1,1,0] neg_lo:[0,0,1] neg_hi:[0,0,1]
	v_pk_fma_f32 v[24:25], v[24:25], v[122:123], v[26:27] op_sel:[0,0,1] op_sel_hi:[1,0,0]
	s_nop 0
	v_mov_b32_e32 v31, v25
	ds_write2_b64 v136, v[28:29], v[30:31] offset0:134 offset1:201
	ds_read_b128 v[28:31], v134 offset:256
	ds_read_b128 v[24:27], v134 offset:272
	s_waitcnt lgkmcnt(0)
	s_barrier
	ds_read2_b64 v[44:47], v137 offset1:1
	ds_read2_b64 v[40:43], v137 offset0:2 offset1:3
	s_waitcnt lgkmcnt(0)
	s_barrier
	s_cbranch_vccnz .LBB117_142
; %bb.135:                              ;   in Loop: Header=BB117_93 Depth=1
	v_cmp_gt_i32_e32 vcc, s24, v152
	v_mov_b64_e32 v[124:125], 0
	v_mov_b64_e32 v[126:127], 0
	s_and_saveexec_b64 s[4:5], vcc
	s_cbranch_execz .LBB117_137
; %bb.136:                              ;   in Loop: Header=BB117_93 Depth=1
	global_load_dwordx2 v[126:127], v[130:131], off
.LBB117_137:                            ;   in Loop: Header=BB117_93 Depth=1
	s_or_b64 exec, exec, s[4:5]
	v_cmp_gt_i32_e32 vcc, s24, v153
	s_and_saveexec_b64 s[4:5], vcc
	s_cbranch_execz .LBB117_139
; %bb.138:                              ;   in Loop: Header=BB117_93 Depth=1
	v_lshl_add_u64 v[124:125], v[90:91], 0, v[56:57]
	global_load_dwordx2 v[124:125], v[124:125], off
.LBB117_139:                            ;   in Loop: Header=BB117_93 Depth=1
	s_or_b64 exec, exec, s[4:5]
	v_cmp_gt_i32_e32 vcc, s24, v154
	v_mov_b64_e32 v[128:129], 0
	s_and_saveexec_b64 s[4:5], vcc
	s_cbranch_execz .LBB117_141
; %bb.140:                              ;   in Loop: Header=BB117_93 Depth=1
	v_lshl_add_u64 v[128:129], v[92:93], 0, v[56:57]
	global_load_dwordx2 v[128:129], v[128:129], off
.LBB117_141:                            ;   in Loop: Header=BB117_93 Depth=1
	s_or_b64 exec, exec, s[4:5]
	v_cmp_gt_i32_e64 s[4:5], s24, v155
	s_branch .LBB117_144
.LBB117_142:                            ;   in Loop: Header=BB117_93 Depth=1
	s_mov_b64 s[4:5], 0
                                        ; implicit-def: $vgpr128_vgpr129
                                        ; implicit-def: $vgpr124_vgpr125
                                        ; implicit-def: $vgpr126_vgpr127
	s_cbranch_execz .LBB117_144
; %bb.143:                              ;   in Loop: Header=BB117_93 Depth=1
	s_waitcnt vmcnt(0)
	v_lshl_add_u64 v[124:125], v[90:91], 0, v[56:57]
	v_lshl_add_u64 v[128:129], v[94:95], 0, v[56:57]
	global_load_dwordx2 v[126:127], v[130:131], off
	s_or_b64 s[4:5], s[4:5], exec
	global_load_dwordx2 v[124:125], v[124:125], off
	s_nop 0
	global_load_dwordx2 v[128:129], v[128:129], off
.LBB117_144:                            ;   in Loop: Header=BB117_93 Depth=1
	v_mov_b64_e32 v[130:131], 0
	s_and_saveexec_b64 s[16:17], s[4:5]
	s_cbranch_execz .LBB117_146
; %bb.145:                              ;   in Loop: Header=BB117_93 Depth=1
	v_lshl_add_u64 v[130:131], v[96:97], 0, v[56:57]
	global_load_dwordx2 v[130:131], v[130:131], off
.LBB117_146:                            ;   in Loop: Header=BB117_93 Depth=1
	s_or_b64 exec, exec, s[16:17]
	v_pk_add_f32 v[44:45], v[44:45], 0 op_sel_hi:[1,0]
	v_pk_add_f32 v[36:37], v[36:37], 0 op_sel_hi:[1,0]
	v_pk_add_f32 v[44:45], v[44:45], v[46:47]
	v_pk_add_f32 v[36:37], v[36:37], v[38:39]
	;; [unrolled: 1-line block ×5, first 2 shown]
	ds_read_b64 v[40:41], v135
	v_pk_add_f32 v[46:47], v[32:33], v[34:35]
	v_pk_add_f32 v[20:21], v[20:21], 0 op_sel_hi:[1,0]
	v_cmp_gt_i32_e32 vcc, s24, v50
	v_pk_add_f32 v[158:159], v[20:21], v[22:23]
	s_waitcnt vmcnt(0) lgkmcnt(0)
	v_pk_mul_f32 v[32:33], v[40:41], v[126:127] op_sel:[0,1]
	v_pk_add_f32 v[16:17], v[158:159], v[16:17]
	v_pk_fma_f32 v[34:35], v[40:41], v[126:127], v[32:33] op_sel:[0,0,1] op_sel_hi:[1,1,0] neg_lo:[0,0,1] neg_hi:[0,0,1]
	v_pk_fma_f32 v[32:33], v[40:41], v[126:127], v[32:33] op_sel:[0,0,1] op_sel_hi:[1,0,0]
	v_pk_add_f32 v[16:17], v[16:17], v[18:19]
	v_mov_b32_e32 v35, v33
	v_pk_mul_f32 v[32:33], v[40:41], v[124:125] op_sel:[0,1]
	s_or_b64 s[4:5], s[12:13], vcc
	v_pk_fma_f32 v[36:37], v[40:41], v[124:125], v[32:33] op_sel:[0,0,1] op_sel_hi:[1,1,0] neg_lo:[0,0,1] neg_hi:[0,0,1]
	v_pk_fma_f32 v[32:33], v[40:41], v[124:125], v[32:33] op_sel:[0,0,1] op_sel_hi:[1,0,0]
	s_and_b64 s[12:13], s[0:1], s[4:5]
	v_mov_b32_e32 v37, v33
	v_pk_mul_f32 v[32:33], v[40:41], v[128:129] op_sel:[0,1]
	ds_write2_b64 v136, v[34:35], v[36:37] offset1:67
	v_pk_fma_f32 v[34:35], v[40:41], v[128:129], v[32:33] op_sel:[0,0,1] op_sel_hi:[1,1,0] neg_lo:[0,0,1] neg_hi:[0,0,1]
	v_pk_fma_f32 v[32:33], v[40:41], v[128:129], v[32:33] op_sel:[0,0,1] op_sel_hi:[1,0,0]
	s_nop 0
	v_mov_b32_e32 v35, v33
	v_pk_mul_f32 v[32:33], v[40:41], v[130:131] op_sel:[0,1]
	s_nop 0
	v_pk_fma_f32 v[36:37], v[40:41], v[130:131], v[32:33] op_sel:[0,0,1] op_sel_hi:[1,1,0] neg_lo:[0,0,1] neg_hi:[0,0,1]
	v_pk_fma_f32 v[32:33], v[40:41], v[130:131], v[32:33] op_sel:[0,0,1] op_sel_hi:[1,0,0]
	s_nop 0
	v_mov_b32_e32 v37, v33
	ds_write2_b64 v136, v[34:35], v[36:37] offset0:134 offset1:201
	ds_read_b128 v[36:39], v134 offset:384
	ds_read_b128 v[32:35], v134 offset:400
	s_waitcnt lgkmcnt(0)
	s_barrier
	ds_read2_b64 v[40:43], v137 offset1:1
	ds_read2_b64 v[20:23], v137 offset0:2 offset1:3
	s_waitcnt lgkmcnt(0)
	s_barrier
	v_pk_add_f32 v[18:19], v[40:41], 0 op_sel_hi:[1,0]
	s_nop 0
	v_pk_add_f32 v[18:19], v[18:19], v[42:43]
	s_nop 0
	v_pk_add_f32 v[18:19], v[18:19], v[20:21]
	;; [unrolled: 2-line block ×3, first 2 shown]
	ds_write2_b64 v141, v[16:17], v[46:47] offset1:16
	ds_write2_b64 v141, v[44:45], v[18:19] offset0:32 offset1:48
	s_waitcnt lgkmcnt(0)
	s_barrier
	s_and_saveexec_b64 s[4:5], s[12:13]
	s_cbranch_execz .LBB117_92
; %bb.147:                              ;   in Loop: Header=BB117_93 Depth=1
	ds_read_b64 v[40:41], v138
	ds_read2_b64 v[16:19], v138 offset0:1 offset1:2
	ds_read2_b64 v[20:23], v138 offset0:3 offset1:4
	v_ashrrev_i32_e32 v99, 31, v98
	v_lshl_add_u64 v[44:45], v[98:99], 3, s[6:7]
	s_waitcnt lgkmcnt(1)
	v_add_f32_e32 v16, v16, v40
	v_add_f32_e32 v17, v17, v41
	v_add_f32_e32 v40, v18, v16
	v_add_f32_e32 v41, v19, v17
	ds_read2_b64 v[16:19], v138 offset0:5 offset1:6
	s_waitcnt lgkmcnt(1)
	v_add_f32_e32 v20, v40, v20
	v_add_f32_e32 v21, v41, v21
	;; [unrolled: 1-line block ×4, first 2 shown]
	ds_read2_b64 v[20:23], v138 offset0:7 offset1:8
	s_waitcnt lgkmcnt(1)
	v_pk_add_f32 v[16:17], v[40:41], v[16:17]
	ds_read2_b64 v[40:43], v138 offset0:9 offset1:10
	v_pk_add_f32 v[16:17], v[16:17], v[18:19]
	s_waitcnt lgkmcnt(1)
	v_pk_add_f32 v[16:17], v[16:17], v[20:21]
	s_nop 0
	v_pk_add_f32 v[20:21], v[16:17], v[22:23]
	ds_read2_b64 v[16:19], v138 offset0:11 offset1:12
	s_waitcnt lgkmcnt(1)
	v_pk_add_f32 v[40:41], v[20:21], v[40:41]
	ds_read2_b64 v[20:23], v138 offset0:13 offset1:14
	v_pk_add_f32 v[40:41], v[40:41], v[42:43]
	ds_read_b64 v[42:43], v139
	s_waitcnt lgkmcnt(2)
	v_pk_add_f32 v[16:17], v[40:41], v[16:17]
	s_nop 0
	v_pk_add_f32 v[16:17], v[16:17], v[18:19]
	s_waitcnt lgkmcnt(1)
	v_pk_add_f32 v[16:17], v[16:17], v[20:21]
	s_nop 0
	v_pk_add_f32 v[16:17], v[16:17], v[22:23]
	s_waitcnt lgkmcnt(0)
	v_pk_add_f32 v[16:17], v[16:17], v[42:43]
	global_store_dwordx2 v[44:45], v[16:17], off
	s_branch .LBB117_92
.LBB117_148:
	s_movk_i32 s0, 0x218
	v_cmp_gt_i32_e32 vcc, s18, v50
	v_mad_u32_u24 v0, v49, s0, v51
	s_or_b64 s[0:1], s[20:21], vcc
	s_and_b64 s[0:1], s[14:15], s[0:1]
	ds_write_b64 v0, v[52:53]
	s_waitcnt lgkmcnt(0)
	s_barrier
	s_and_saveexec_b64 s[2:3], s[0:1]
	s_cbranch_execz .LBB117_150
; %bb.149:
	ds_read2_b64 v[0:3], v51 offset1:67
	ds_read2_b64 v[4:7], v51 offset0:134 offset1:201
	v_ashrrev_i32_e32 v49, 31, v48
	v_lshl_add_u64 v[8:9], v[48:49], 3, s[6:7]
	s_waitcnt lgkmcnt(1)
	v_pk_add_f32 v[0:1], v[2:3], v[0:1]
	s_waitcnt lgkmcnt(0)
	v_pk_add_f32 v[0:1], v[4:5], v[0:1]
	s_nop 0
	v_pk_add_f32 v[0:1], v[0:1], v[6:7]
	global_store_dwordx2 v[8:9], v[0:1], off
.LBB117_150:
	s_endpgm
	.section	.rodata,"a",@progbits
	.p2align	6, 0x0
	.amdhsa_kernel _ZL26rocblas_hemvn_kernel_upperILb0ELi64ELi4ELi33ELi32ELi16Ei19rocblas_complex_numIfEPKS1_PS1_EviT6_lT7_lT5_lS6_lS7_lS5_lT8_i
		.amdhsa_group_segment_fixed_size 9600
		.amdhsa_private_segment_fixed_size 0
		.amdhsa_kernarg_size 376
		.amdhsa_user_sgpr_count 2
		.amdhsa_user_sgpr_dispatch_ptr 0
		.amdhsa_user_sgpr_queue_ptr 0
		.amdhsa_user_sgpr_kernarg_segment_ptr 1
		.amdhsa_user_sgpr_dispatch_id 0
		.amdhsa_user_sgpr_kernarg_preload_length 0
		.amdhsa_user_sgpr_kernarg_preload_offset 0
		.amdhsa_user_sgpr_private_segment_size 0
		.amdhsa_uses_dynamic_stack 0
		.amdhsa_enable_private_segment 0
		.amdhsa_system_sgpr_workgroup_id_x 1
		.amdhsa_system_sgpr_workgroup_id_y 0
		.amdhsa_system_sgpr_workgroup_id_z 1
		.amdhsa_system_sgpr_workgroup_info 0
		.amdhsa_system_vgpr_workitem_id 1
		.amdhsa_next_free_vgpr 160
		.amdhsa_next_free_sgpr 44
		.amdhsa_accum_offset 160
		.amdhsa_reserve_vcc 1
		.amdhsa_float_round_mode_32 0
		.amdhsa_float_round_mode_16_64 0
		.amdhsa_float_denorm_mode_32 3
		.amdhsa_float_denorm_mode_16_64 3
		.amdhsa_dx10_clamp 1
		.amdhsa_ieee_mode 1
		.amdhsa_fp16_overflow 0
		.amdhsa_tg_split 0
		.amdhsa_exception_fp_ieee_invalid_op 0
		.amdhsa_exception_fp_denorm_src 0
		.amdhsa_exception_fp_ieee_div_zero 0
		.amdhsa_exception_fp_ieee_overflow 0
		.amdhsa_exception_fp_ieee_underflow 0
		.amdhsa_exception_fp_ieee_inexact 0
		.amdhsa_exception_int_div_zero 0
	.end_amdhsa_kernel
	.section	.text._ZL26rocblas_hemvn_kernel_upperILb0ELi64ELi4ELi33ELi32ELi16Ei19rocblas_complex_numIfEPKS1_PS1_EviT6_lT7_lT5_lS6_lS7_lS5_lT8_i,"axG",@progbits,_ZL26rocblas_hemvn_kernel_upperILb0ELi64ELi4ELi33ELi32ELi16Ei19rocblas_complex_numIfEPKS1_PS1_EviT6_lT7_lT5_lS6_lS7_lS5_lT8_i,comdat
.Lfunc_end117:
	.size	_ZL26rocblas_hemvn_kernel_upperILb0ELi64ELi4ELi33ELi32ELi16Ei19rocblas_complex_numIfEPKS1_PS1_EviT6_lT7_lT5_lS6_lS7_lS5_lT8_i, .Lfunc_end117-_ZL26rocblas_hemvn_kernel_upperILb0ELi64ELi4ELi33ELi32ELi16Ei19rocblas_complex_numIfEPKS1_PS1_EviT6_lT7_lT5_lS6_lS7_lS5_lT8_i
                                        ; -- End function
	.set _ZL26rocblas_hemvn_kernel_upperILb0ELi64ELi4ELi33ELi32ELi16Ei19rocblas_complex_numIfEPKS1_PS1_EviT6_lT7_lT5_lS6_lS7_lS5_lT8_i.num_vgpr, 160
	.set _ZL26rocblas_hemvn_kernel_upperILb0ELi64ELi4ELi33ELi32ELi16Ei19rocblas_complex_numIfEPKS1_PS1_EviT6_lT7_lT5_lS6_lS7_lS5_lT8_i.num_agpr, 0
	.set _ZL26rocblas_hemvn_kernel_upperILb0ELi64ELi4ELi33ELi32ELi16Ei19rocblas_complex_numIfEPKS1_PS1_EviT6_lT7_lT5_lS6_lS7_lS5_lT8_i.numbered_sgpr, 44
	.set _ZL26rocblas_hemvn_kernel_upperILb0ELi64ELi4ELi33ELi32ELi16Ei19rocblas_complex_numIfEPKS1_PS1_EviT6_lT7_lT5_lS6_lS7_lS5_lT8_i.num_named_barrier, 0
	.set _ZL26rocblas_hemvn_kernel_upperILb0ELi64ELi4ELi33ELi32ELi16Ei19rocblas_complex_numIfEPKS1_PS1_EviT6_lT7_lT5_lS6_lS7_lS5_lT8_i.private_seg_size, 0
	.set _ZL26rocblas_hemvn_kernel_upperILb0ELi64ELi4ELi33ELi32ELi16Ei19rocblas_complex_numIfEPKS1_PS1_EviT6_lT7_lT5_lS6_lS7_lS5_lT8_i.uses_vcc, 1
	.set _ZL26rocblas_hemvn_kernel_upperILb0ELi64ELi4ELi33ELi32ELi16Ei19rocblas_complex_numIfEPKS1_PS1_EviT6_lT7_lT5_lS6_lS7_lS5_lT8_i.uses_flat_scratch, 0
	.set _ZL26rocblas_hemvn_kernel_upperILb0ELi64ELi4ELi33ELi32ELi16Ei19rocblas_complex_numIfEPKS1_PS1_EviT6_lT7_lT5_lS6_lS7_lS5_lT8_i.has_dyn_sized_stack, 0
	.set _ZL26rocblas_hemvn_kernel_upperILb0ELi64ELi4ELi33ELi32ELi16Ei19rocblas_complex_numIfEPKS1_PS1_EviT6_lT7_lT5_lS6_lS7_lS5_lT8_i.has_recursion, 0
	.set _ZL26rocblas_hemvn_kernel_upperILb0ELi64ELi4ELi33ELi32ELi16Ei19rocblas_complex_numIfEPKS1_PS1_EviT6_lT7_lT5_lS6_lS7_lS5_lT8_i.has_indirect_call, 0
	.section	.AMDGPU.csdata,"",@progbits
; Kernel info:
; codeLenInByte = 8492
; TotalNumSgprs: 50
; NumVgprs: 160
; NumAgprs: 0
; TotalNumVgprs: 160
; ScratchSize: 0
; MemoryBound: 1
; FloatMode: 240
; IeeeMode: 1
; LDSByteSize: 9600 bytes/workgroup (compile time only)
; SGPRBlocks: 6
; VGPRBlocks: 19
; NumSGPRsForWavesPerEU: 50
; NumVGPRsForWavesPerEU: 160
; AccumOffset: 160
; Occupancy: 3
; WaveLimiterHint : 1
; COMPUTE_PGM_RSRC2:SCRATCH_EN: 0
; COMPUTE_PGM_RSRC2:USER_SGPR: 2
; COMPUTE_PGM_RSRC2:TRAP_HANDLER: 0
; COMPUTE_PGM_RSRC2:TGID_X_EN: 1
; COMPUTE_PGM_RSRC2:TGID_Y_EN: 0
; COMPUTE_PGM_RSRC2:TGID_Z_EN: 1
; COMPUTE_PGM_RSRC2:TIDIG_COMP_CNT: 1
; COMPUTE_PGM_RSRC3_GFX90A:ACCUM_OFFSET: 39
; COMPUTE_PGM_RSRC3_GFX90A:TG_SPLIT: 0
	.section	.text._ZL26rocblas_hemvn_kernel_lowerILb0ELi64ELi4ELi33ELi32ELi16ElPK19rocblas_complex_numIfES3_PS1_EviT6_lT7_lT5_lS6_lS7_lS5_lT8_i,"axG",@progbits,_ZL26rocblas_hemvn_kernel_lowerILb0ELi64ELi4ELi33ELi32ELi16ElPK19rocblas_complex_numIfES3_PS1_EviT6_lT7_lT5_lS6_lS7_lS5_lT8_i,comdat
	.globl	_ZL26rocblas_hemvn_kernel_lowerILb0ELi64ELi4ELi33ELi32ELi16ElPK19rocblas_complex_numIfES3_PS1_EviT6_lT7_lT5_lS6_lS7_lS5_lT8_i ; -- Begin function _ZL26rocblas_hemvn_kernel_lowerILb0ELi64ELi4ELi33ELi32ELi16ElPK19rocblas_complex_numIfES3_PS1_EviT6_lT7_lT5_lS6_lS7_lS5_lT8_i
	.p2align	8
	.type	_ZL26rocblas_hemvn_kernel_lowerILb0ELi64ELi4ELi33ELi32ELi16ElPK19rocblas_complex_numIfES3_PS1_EviT6_lT7_lT5_lS6_lS7_lS5_lT8_i,@function
_ZL26rocblas_hemvn_kernel_lowerILb0ELi64ELi4ELi33ELi32ELi16ElPK19rocblas_complex_numIfES3_PS1_EviT6_lT7_lT5_lS6_lS7_lS5_lT8_i: ; @_ZL26rocblas_hemvn_kernel_lowerILb0ELi64ELi4ELi33ELi32ELi16ElPK19rocblas_complex_numIfES3_PS1_EviT6_lT7_lT5_lS6_lS7_lS5_lT8_i
; %bb.0:
	s_load_dwordx2 s[6:7], s[0:1], 0x84
	s_add_u32 s4, s0, 0x78
	s_addc_u32 s5, s1, 0
	s_waitcnt lgkmcnt(0)
	s_lshr_b32 s8, s6, 16
	s_and_b32 s6, s6, 0xffff
	s_and_b32 s7, s7, 0xffff
	s_mul_i32 s6, s8, s6
	s_mul_i32 s6, s6, s7
	s_cmpk_lg_i32 s6, 0x100
	s_cbranch_scc1 .LBB118_99
; %bb.1:
	s_load_dwordx16 s[16:31], s[0:1], 0x8
	s_waitcnt lgkmcnt(0)
	s_mul_i32 s7, s19, s3
	s_mul_hi_u32 s8, s18, s3
	s_mul_i32 s6, s18, s3
	s_add_i32 s7, s8, s7
	s_lshl_b64 s[6:7], s[6:7], 3
	s_add_u32 s6, s16, s6
	s_addc_u32 s7, s17, s7
	s_load_dwordx2 s[8:9], s[6:7], 0x0
	s_load_dwordx2 s[34:35], s[0:1], 0x68
	s_load_dwordx8 s[36:43], s[0:1], 0x48
	s_waitcnt lgkmcnt(0)
	s_or_b32 s6, s8, s9
	s_bitset0_b32 s6, 31
	s_cmp_lg_u32 s6, 0
	s_cselect_b64 s[6:7], -1, 0
	s_mov_b64 s[8:9], -1
	s_and_b64 vcc, exec, s[6:7]
	s_cbranch_vccnz .LBB118_3
; %bb.2:
	s_mul_i32 s8, s43, s3
	s_mul_hi_u32 s9, s42, s3
	s_add_i32 s9, s9, s8
	s_mul_i32 s8, s42, s3
	s_lshl_b64 s[8:9], s[8:9], 3
	s_add_u32 s8, s40, s8
	s_addc_u32 s9, s41, s9
	s_load_dwordx2 s[10:11], s[8:9], 0x0
	s_waitcnt lgkmcnt(0)
	v_cmp_neq_f32_e64 s[8:9], s10, 1.0
	v_cmp_neq_f32_e64 s[10:11], s11, 0
	s_or_b64 s[8:9], s[8:9], s[10:11]
.LBB118_3:
	s_andn2_b64 vcc, exec, s[8:9]
	s_cbranch_vccnz .LBB118_99
; %bb.4:
	s_andn2_b64 vcc, exec, s[6:7]
	s_cbranch_vccnz .LBB118_99
; %bb.5:
	s_load_dword s40, s[4:5], 0x0
	s_load_dword s33, s[0:1], 0x0
	s_mul_i32 s0, s39, s3
	s_mul_hi_u32 s1, s38, s3
	s_add_i32 s1, s1, s0
	s_mul_i32 s0, s38, s3
	s_lshl_b64 s[0:1], s[0:1], 3
	s_add_u32 s4, s28, s0
	s_addc_u32 s5, s29, s1
	s_lshl_b64 s[0:1], s[30:31], 3
	s_add_u32 s0, s4, s0
	s_addc_u32 s1, s5, s1
	s_waitcnt lgkmcnt(0)
	s_ashr_i32 s41, s33, 31
	s_lshr_b32 s5, s41, 26
	s_add_i32 s5, s33, s5
	v_and_b32_e32 v77, 0x3ff, v0
	s_lshl_b32 s30, s2, 6
	s_andn2_b32 s5, s5, 63
	s_add_i32 s4, s40, -1
	s_sub_i32 s5, s33, s5
	v_add_u32_e32 v32, s30, v77
	s_cmp_eq_u32 s2, s4
	v_ashrrev_i32_e32 v33, 31, v32
	v_bfe_u32 v76, v0, 10, 10
	s_cselect_b32 s28, s5, 0
	v_mul_lo_u32 v2, s36, v33
	v_mul_lo_u32 v3, s37, v32
	v_mad_u64_u32 v[0:1], s[4:5], s36, v32, 0
	v_add3_u32 v1, v1, v2, v3
	v_lshl_add_u64 v[16:17], v[0:1], 3, s[0:1]
	v_cmp_ne_u32_e64 s[0:1], 0, v76
	v_cmp_eq_u32_e64 s[16:17], 0, v76
	s_and_saveexec_b64 s[4:5], s[16:17]
	s_cbranch_execz .LBB118_10
; %bb.6:
	s_cmp_lg_u32 s28, 0
	s_cselect_b64 s[6:7], -1, 0
	v_cmp_le_i32_e32 vcc, s28, v77
	v_mov_b32_e32 v0, 0x2380
	s_and_b64 s[6:7], s[6:7], vcc
	v_lshl_add_u32 v0, v77, 3, v0
	s_and_saveexec_b64 s[8:9], s[6:7]
	s_xor_b64 s[6:7], exec, s[8:9]
; %bb.7:
	v_mov_b32_e32 v2, 0
	v_mov_b32_e32 v3, v2
	ds_write_b64 v0, v[2:3]
                                        ; implicit-def: $vgpr0
; %bb.8:
	s_andn2_saveexec_b64 s[6:7], s[6:7]
	s_cbranch_execz .LBB118_10
; %bb.9:
	global_load_dwordx2 v[2:3], v[16:17], off
	s_waitcnt vmcnt(0)
	ds_write_b64 v0, v[2:3]
.LBB118_10:
	s_or_b64 exec, exec, s[4:5]
	s_mul_i32 s4, s27, s3
	s_mul_hi_u32 s5, s26, s3
	s_add_i32 s5, s5, s4
	s_mul_i32 s4, s26, s3
	s_lshl_b64 s[4:5], s[4:5], 3
	s_add_u32 s6, s20, s4
	s_addc_u32 s7, s21, s5
	s_lshl_b64 s[4:5], s[22:23], 3
	s_add_u32 s6, s6, s4
	s_addc_u32 s7, s7, s5
	s_ashr_i32 s31, s30, 31
	v_lshl_add_u32 v22, v76, 6, v77
	s_lshl_b64 s[4:5], s[30:31], 3
	v_and_b32_e32 v0, 31, v77
	v_lshrrev_b32_e32 v8, 5, v22
	s_add_u32 s4, s6, s4
	v_mov_b32_e32 v1, 0
	s_addc_u32 s5, s7, s5
	v_mad_u64_u32 v[18:19], s[6:7], s24, v8, v[0:1]
	v_mov_b32_e32 v2, v19
	v_mad_u64_u32 v[2:3], s[6:7], s25, v8, v[2:3]
	v_mov_b32_e32 v19, v2
	v_lshl_add_u64 v[2:3], v[18:19], 3, s[4:5]
	s_mul_hi_u32 s4, s24, s30
	s_mul_i32 s5, s24, s31
	s_add_i32 s4, s4, s5
	s_mul_i32 s5, s25, s30
	s_add_i32 s23, s4, s5
	s_cmp_lg_u32 s28, 0
	s_mul_i32 s22, s24, s30
	s_cselect_b64 s[26:27], -1, 0
	s_cmp_eq_u32 s28, 0
	v_lshl_add_u64 v[2:3], s[22:23], 3, v[2:3]
	s_cselect_b64 s[18:19], -1, 0
	s_mov_b64 s[4:5], -1
	s_and_b64 vcc, exec, s[26:27]
	s_cbranch_vccnz .LBB118_12
; %bb.11:
	s_lshl_b64 s[4:5], s[24:25], 6
	v_lshl_add_u64 v[4:5], v[2:3], 0, s[4:5]
	v_lshl_add_u64 v[6:7], v[4:5], 0, s[4:5]
	;; [unrolled: 1-line block ×3, first 2 shown]
	global_load_dwordx2 v[12:13], v[2:3], off
	global_load_dwordx2 v[14:15], v[4:5], off
	;; [unrolled: 1-line block ×4, first 2 shown]
	v_mul_u32_u24_e32 v1, 0x108, v8
	v_lshl_add_u32 v1, v0, 3, v1
	s_mov_b64 s[4:5], 0
	s_waitcnt vmcnt(3)
	ds_write_b64 v1, v[12:13]
	s_waitcnt vmcnt(2)
	ds_write_b64 v1, v[14:15] offset:2112
	s_waitcnt vmcnt(1)
	ds_write_b64 v1, v[20:21] offset:4224
	;; [unrolled: 2-line block ×3, first 2 shown]
.LBB118_12:
	s_andn2_b64 vcc, exec, s[4:5]
	s_cbranch_vccnz .LBB118_28
; %bb.13:
	v_lshlrev_b32_e32 v4, 3, v0
	v_sub_co_u32_e32 v6, vcc, v2, v4
	s_ashr_i32 s29, s28, 31
	s_nop 0
	v_subbrev_co_u32_e32 v7, vcc, 0, v3, vcc
	v_lshl_add_u64 v[6:7], s[28:29], 3, v[6:7]
	v_mov_b32_e32 v10, 0
	v_lshl_add_u64 v[6:7], v[6:7], 0, -8
	v_cmp_gt_i32_e32 vcc, s28, v0
	v_cmp_gt_i32_e64 s[4:5], s28, v8
	v_mov_b32_e32 v11, v10
	v_cndmask_b32_e32 v7, v7, v3, vcc
	v_cndmask_b32_e32 v6, v6, v2, vcc
	s_and_saveexec_b64 s[6:7], s[4:5]
	s_cbranch_execz .LBB118_15
; %bb.14:
	global_load_dwordx2 v[10:11], v[6:7], off
.LBB118_15:
	s_or_b64 exec, exec, s[6:7]
	v_lshlrev_b32_e32 v1, 3, v0
	s_movk_i32 s4, 0x108
	v_mad_u32_u24 v9, v8, s4, v1
	s_waitcnt vmcnt(0)
	ds_write_b64 v9, v[10:11]
	v_add_u32_e32 v9, 8, v8
	v_mul_u32_u24_e32 v5, 0x108, v8
	v_cmp_le_i32_e64 s[4:5], s28, v9
	s_and_saveexec_b64 s[6:7], s[4:5]
	s_xor_b64 s[4:5], exec, s[6:7]
; %bb.16:
	v_mov_b32_e32 v10, 0
	v_add_u32_e32 v9, v5, v1
	v_mov_b32_e32 v11, v10
	ds_write_b64 v9, v[10:11] offset:2112
; %bb.17:
	s_andn2_saveexec_b64 s[4:5], s[4:5]
	s_cbranch_execz .LBB118_19
; %bb.18:
	s_lshl_b64 s[6:7], s[24:25], 6
	v_lshl_add_u64 v[10:11], v[6:7], 0, s[6:7]
	global_load_dwordx2 v[10:11], v[10:11], off
	v_add_u32_e32 v9, v5, v1
	s_waitcnt vmcnt(0)
	ds_write_b64 v9, v[10:11] offset:2112
.LBB118_19:
	s_or_b64 exec, exec, s[4:5]
	v_add_u32_e32 v9, 16, v8
	v_cmp_le_i32_e64 s[4:5], s28, v9
	s_and_saveexec_b64 s[6:7], s[4:5]
	s_xor_b64 s[4:5], exec, s[6:7]
; %bb.20:
	v_mov_b32_e32 v10, 0
	v_add_u32_e32 v9, v5, v1
	v_mov_b32_e32 v11, v10
	ds_write_b64 v9, v[10:11] offset:4224
; %bb.21:
	s_andn2_saveexec_b64 s[4:5], s[4:5]
	s_cbranch_execz .LBB118_23
; %bb.22:
	s_lshl_b64 s[6:7], s[24:25], 7
	v_lshl_add_u64 v[10:11], v[6:7], 0, s[6:7]
	global_load_dwordx2 v[10:11], v[10:11], off
	v_add_u32_e32 v9, v5, v1
	s_waitcnt vmcnt(0)
	ds_write_b64 v9, v[10:11] offset:4224
.LBB118_23:
	s_or_b64 exec, exec, s[4:5]
	v_add_u32_e32 v9, 24, v8
	v_cmp_le_i32_e64 s[4:5], s28, v9
	s_and_saveexec_b64 s[6:7], s[4:5]
	s_xor_b64 s[4:5], exec, s[6:7]
; %bb.24:
	v_mov_b32_e32 v10, 0
	v_add_u32_e32 v1, v5, v1
	v_mov_b32_e32 v11, v10
	ds_write_b64 v1, v[10:11] offset:6336
                                        ; implicit-def: $vgpr5
                                        ; implicit-def: $vgpr1
; %bb.25:
	s_andn2_saveexec_b64 s[4:5], s[4:5]
	s_cbranch_execz .LBB118_27
; %bb.26:
	v_mov_b32_e32 v9, 0xc0
	v_mad_u64_u32 v[10:11], s[6:7], s24, v9, v[6:7]
	s_mul_i32 s6, s25, 0xc0
	s_nop 0
	v_add_u32_e32 v11, s6, v11
	global_load_dwordx2 v[10:11], v[10:11], off
	v_add_u32_e32 v1, v5, v1
	s_waitcnt vmcnt(0)
	ds_write_b64 v1, v[10:11] offset:6336
.LBB118_27:
	s_or_b64 exec, exec, s[4:5]
	v_mov_b32_e32 v5, 0
	v_lshl_add_u64 v[4:5], v[6:7], 0, v[4:5]
	s_lshl_b64 s[4:5], s[28:29], 3
	v_mov_b32_e32 v1, s5
	v_subrev_co_u32_e64 v4, s[4:5], s4, v4
	s_nop 1
	v_subb_co_u32_e64 v5, s[4:5], v5, v1, s[4:5]
	v_lshl_add_u64 v[4:5], v[4:5], 0, 8
	v_cndmask_b32_e32 v3, v5, v3, vcc
	v_cndmask_b32_e32 v2, v4, v2, vcc
.LBB118_28:
	v_lshlrev_b32_e32 v9, 2, v8
	v_lshlrev_b32_e32 v10, 3, v0
	v_lshl_or_b32 v4, v0, 8, v10
	v_cmp_lt_u32_e64 s[6:7], v9, v0
	s_waitcnt lgkmcnt(0)
	s_barrier
	s_and_saveexec_b64 s[4:5], s[6:7]
	s_cbranch_execz .LBB118_30
; %bb.29:
	s_movk_i32 s8, 0x420
	v_mad_u32_u24 v1, v8, s8, v10
	ds_read_b64 v[6:7], v1
	v_lshl_add_u32 v1, v9, 3, v4
	s_waitcnt lgkmcnt(0)
	ds_write_b64 v1, v[6:7]
.LBB118_30:
	s_or_b64 exec, exec, s[4:5]
	v_or_b32_e32 v1, 1, v9
	v_cmp_lt_u32_e64 s[8:9], v1, v0
	s_and_saveexec_b64 s[4:5], s[8:9]
	s_cbranch_execz .LBB118_32
; %bb.31:
	s_movk_i32 s10, 0x108
	v_mad_u32_u24 v5, v1, s10, v10
	ds_read_b64 v[6:7], v5
	v_lshl_add_u32 v5, v9, 3, v4
	s_waitcnt lgkmcnt(0)
	ds_write_b64 v5, v[6:7] offset:8
.LBB118_32:
	s_or_b64 exec, exec, s[4:5]
	v_or_b32_e32 v5, 2, v9
	v_cmp_lt_u32_e64 s[10:11], v5, v0
	s_and_saveexec_b64 s[4:5], s[10:11]
	s_cbranch_execz .LBB118_34
; %bb.33:
	s_movk_i32 s12, 0x108
	v_mad_u32_u24 v5, v5, s12, v10
	ds_read_b64 v[6:7], v5
	v_lshl_add_u32 v5, v9, 3, v4
	s_waitcnt lgkmcnt(0)
	ds_write_b64 v5, v[6:7] offset:16
.LBB118_34:
	s_or_b64 exec, exec, s[4:5]
	v_or_b32_e32 v6, 3, v9
	v_cmp_lt_u32_e64 s[12:13], v6, v0
	v_cmp_ge_u32_e32 vcc, v6, v0
                                        ; implicit-def: $vgpr5
	s_and_saveexec_b64 s[4:5], vcc
	s_xor_b64 s[4:5], exec, s[4:5]
; %bb.35:
	v_mul_u32_u24_e32 v5, 0x108, v6
                                        ; implicit-def: $vgpr4
                                        ; implicit-def: $vgpr6
; %bb.36:
	s_andn2_saveexec_b64 s[4:5], s[4:5]
	s_cbranch_execz .LBB118_38
; %bb.37:
	s_movk_i32 s14, 0x108
	v_mad_u32_u24 v5, v6, s14, v10
	ds_read_b64 v[12:13], v5
	v_lshl_add_u32 v4, v9, 3, v4
	v_mul_u32_u24_e32 v5, 0x108, v6
	s_waitcnt lgkmcnt(0)
	ds_write_b64 v4, v[12:13] offset:24
.LBB118_38:
	s_or_b64 exec, exec, s[4:5]
	s_movk_i32 s4, 0x420
	v_mad_u32_u24 v4, v8, s4, v10
	s_movk_i32 s4, 0x108
	v_mad_u32_u24 v6, v1, s4, v10
	s_waitcnt lgkmcnt(0)
	s_barrier
	v_lshlrev_b32_e32 v12, 3, v9
	ds_read2_b64 v[26:29], v6 offset1:33
	v_add_u32_e32 v11, v10, v5
	ds_read_b64 v[14:15], v4
	ds_read_b128 v[4:7], v12 offset:9088
	ds_read_b64 v[20:21], v11
	ds_read_b128 v[36:39], v12 offset:9104
	v_mul_u32_u24_e32 v13, 33, v0
	v_lshlrev_b32_e32 v23, 3, v13
	v_lshl_add_u32 v24, v8, 3, v23
	s_waitcnt lgkmcnt(2)
	v_pk_mul_f32 v[30:31], v[4:5], v[14:15] op_sel:[1,1] op_sel_hi:[0,1]
	v_pk_fma_f32 v[34:35], v[4:5], v[14:15], v[30:31] neg_lo:[0,0,1] neg_hi:[0,0,1]
	v_pk_fma_f32 v[4:5], v[4:5], v[14:15], v[30:31] op_sel_hi:[1,0,1]
	v_pk_mul_f32 v[14:15], v[6:7], v[26:27] op_sel:[1,1] op_sel_hi:[0,1]
	v_pk_fma_f32 v[30:31], v[6:7], v[26:27], v[14:15] neg_lo:[0,0,1] neg_hi:[0,0,1]
	v_pk_fma_f32 v[6:7], v[6:7], v[26:27], v[14:15] op_sel_hi:[1,0,1]
	v_mov_b32_e32 v35, v5
	v_mov_b32_e32 v31, v7
	s_waitcnt lgkmcnt(0)
	v_pk_mul_f32 v[6:7], v[36:37], v[28:29] op_sel:[1,1] op_sel_hi:[0,1]
	v_pk_add_f32 v[4:5], v[34:35], 0 op_sel_hi:[1,0]
	v_pk_fma_f32 v[14:15], v[36:37], v[28:29], v[6:7] neg_lo:[0,0,1] neg_hi:[0,0,1]
	v_pk_fma_f32 v[6:7], v[36:37], v[28:29], v[6:7] op_sel_hi:[1,0,1]
	v_pk_add_f32 v[4:5], v[4:5], v[30:31]
	v_mov_b32_e32 v15, v7
	v_pk_mul_f32 v[6:7], v[38:39], v[20:21] op_sel:[1,1] op_sel_hi:[0,1]
	v_pk_add_f32 v[4:5], v[4:5], v[14:15]
	v_pk_fma_f32 v[14:15], v[38:39], v[20:21], v[6:7] neg_lo:[0,0,1] neg_hi:[0,0,1]
	v_pk_fma_f32 v[6:7], v[38:39], v[20:21], v[6:7] op_sel_hi:[1,0,1]
	v_mov_b32_e32 v34, 0
	v_mov_b32_e32 v15, v7
	;; [unrolled: 1-line block ×3, first 2 shown]
	v_pk_add_f32 v[4:5], v[4:5], v[14:15]
	v_cmp_gt_u32_e64 s[4:5], 32, v22
	s_barrier
	ds_write_b64 v24, v[4:5]
	s_waitcnt lgkmcnt(0)
	s_barrier
	s_and_saveexec_b64 s[14:15], s[4:5]
	s_cbranch_execz .LBB118_40
; %bb.39:
	ds_read2_b64 v[4:7], v23 offset1:7
	ds_read2_b64 v[26:29], v23 offset0:1 offset1:2
	ds_read2_b64 v[34:37], v23 offset0:3 offset1:4
	s_waitcnt lgkmcnt(1)
	v_add_f32_e32 v4, v26, v4
	v_add_f32_e32 v5, v27, v5
	;; [unrolled: 1-line block ×4, first 2 shown]
	ds_read2_b64 v[26:29], v23 offset0:5 offset1:6
	s_waitcnt lgkmcnt(1)
	v_add_f32_e32 v4, v4, v34
	v_add_f32_e32 v5, v5, v35
	;; [unrolled: 1-line block ×4, first 2 shown]
	s_waitcnt lgkmcnt(0)
	v_add_f32_e32 v4, v4, v26
	v_add_f32_e32 v5, v5, v27
	;; [unrolled: 1-line block ×4, first 2 shown]
	v_pk_add_f32 v[34:35], v[4:5], v[6:7]
.LBB118_40:
	s_or_b64 exec, exec, s[14:15]
	s_lshl_b64 s[20:21], s[24:25], 8
	v_lshl_add_u64 v[6:7], v[2:3], 0, s[20:21]
	v_cndmask_b32_e64 v2, 0, 1, s[18:19]
	s_mov_b64 s[38:39], 0x100
	v_cmp_ne_u32_e64 s[14:15], 1, v2
	s_andn2_b64 vcc, exec, s[18:19]
	s_mov_b64 s[18:19], -1
	s_barrier
	s_cbranch_vccnz .LBB118_42
; %bb.41:
	s_lshl_b64 s[18:19], s[24:25], 6
	v_lshl_add_u64 v[2:3], v[6:7], 0, s[18:19]
	v_lshl_add_u64 v[4:5], v[2:3], 0, s[18:19]
	;; [unrolled: 1-line block ×3, first 2 shown]
	global_load_dwordx2 v[20:21], v[6:7], off offset:256
	global_load_dwordx2 v[26:27], v[2:3], off offset:256
	;; [unrolled: 1-line block ×4, first 2 shown]
	s_movk_i32 s18, 0x108
	v_mad_u32_u24 v2, v8, s18, v10
	s_mov_b64 s[18:19], 0
	s_waitcnt vmcnt(3)
	ds_write_b64 v2, v[20:21]
	s_waitcnt vmcnt(2)
	ds_write_b64 v2, v[26:27] offset:2112
	s_waitcnt vmcnt(1)
	ds_write_b64 v2, v[28:29] offset:4224
	s_waitcnt vmcnt(0)
	ds_write_b64 v2, v[30:31] offset:6336
.LBB118_42:
	s_andn2_b64 vcc, exec, s[18:19]
	v_lshl_add_u64 v[2:3], v[6:7], 0, s[38:39]
	s_cbranch_vccnz .LBB118_58
; %bb.43:
	v_lshlrev_b32_e32 v4, 3, v0
	v_sub_co_u32_e32 v6, vcc, v6, v4
	s_ashr_i32 s29, s28, 31
	s_nop 0
	v_subbrev_co_u32_e32 v7, vcc, 0, v7, vcc
	v_or_b32_e32 v5, 32, v0
	v_lshl_add_u64 v[6:7], s[28:29], 3, v[6:7]
	v_mov_b32_e32 v14, 0
	v_lshl_add_u64 v[6:7], v[6:7], 0, -8
	v_cmp_gt_i32_e32 vcc, s28, v5
	s_sub_i32 s42, s28, 32
	v_cmp_gt_i32_e64 s[18:19], s42, v8
	v_cndmask_b32_e32 v7, v7, v3, vcc
	v_cndmask_b32_e32 v6, v6, v2, vcc
	v_mov_b32_e32 v15, v14
	s_and_saveexec_b64 s[38:39], s[18:19]
	s_cbranch_execz .LBB118_45
; %bb.44:
	global_load_dwordx2 v[14:15], v[6:7], off
.LBB118_45:
	s_or_b64 exec, exec, s[38:39]
	s_movk_i32 s18, 0x108
	v_mad_u32_u24 v13, v8, s18, v10
	s_waitcnt vmcnt(0)
	ds_write_b64 v13, v[14:15]
	v_add_u32_e32 v13, 8, v8
	v_mul_u32_u24_e32 v5, 0x108, v8
	v_cmp_le_i32_e64 s[18:19], s42, v13
	s_and_saveexec_b64 s[38:39], s[18:19]
	s_xor_b64 s[18:19], exec, s[38:39]
; %bb.46:
	v_mov_b32_e32 v14, 0
	v_add_u32_e32 v13, v5, v10
	v_mov_b32_e32 v15, v14
	ds_write_b64 v13, v[14:15] offset:2112
; %bb.47:
	s_andn2_saveexec_b64 s[18:19], s[18:19]
	s_cbranch_execz .LBB118_49
; %bb.48:
	s_lshl_b64 s[38:39], s[24:25], 6
	v_lshl_add_u64 v[14:15], v[6:7], 0, s[38:39]
	global_load_dwordx2 v[14:15], v[14:15], off
	v_add_u32_e32 v13, v5, v10
	s_waitcnt vmcnt(0)
	ds_write_b64 v13, v[14:15] offset:2112
.LBB118_49:
	s_or_b64 exec, exec, s[18:19]
	v_add_u32_e32 v13, 16, v8
	v_cmp_le_i32_e64 s[18:19], s42, v13
	s_and_saveexec_b64 s[38:39], s[18:19]
	s_xor_b64 s[18:19], exec, s[38:39]
; %bb.50:
	v_mov_b32_e32 v14, 0
	v_add_u32_e32 v13, v5, v10
	v_mov_b32_e32 v15, v14
	ds_write_b64 v13, v[14:15] offset:4224
; %bb.51:
	s_andn2_saveexec_b64 s[18:19], s[18:19]
	s_cbranch_execz .LBB118_53
; %bb.52:
	s_lshl_b64 s[38:39], s[24:25], 7
	v_lshl_add_u64 v[14:15], v[6:7], 0, s[38:39]
	global_load_dwordx2 v[14:15], v[14:15], off
	v_add_u32_e32 v13, v5, v10
	s_waitcnt vmcnt(0)
	ds_write_b64 v13, v[14:15] offset:4224
.LBB118_53:
	s_or_b64 exec, exec, s[18:19]
	v_add_u32_e32 v13, 24, v8
	v_cmp_le_i32_e64 s[18:19], s42, v13
	s_and_saveexec_b64 s[38:39], s[18:19]
	s_xor_b64 s[18:19], exec, s[38:39]
; %bb.54:
	v_mov_b32_e32 v14, 0
	v_add_u32_e32 v5, v5, v10
	v_mov_b32_e32 v15, v14
	ds_write_b64 v5, v[14:15] offset:6336
                                        ; implicit-def: $vgpr5
; %bb.55:
	s_andn2_saveexec_b64 s[18:19], s[18:19]
	s_cbranch_execz .LBB118_57
; %bb.56:
	v_mov_b32_e32 v13, 0xc0
	v_mad_u64_u32 v[14:15], s[38:39], s24, v13, v[6:7]
	s_mul_i32 s38, s25, 0xc0
	s_nop 0
	v_add_u32_e32 v15, s38, v15
	global_load_dwordx2 v[14:15], v[14:15], off
	v_add_u32_e32 v5, v5, v10
	s_waitcnt vmcnt(0)
	ds_write_b64 v5, v[14:15] offset:6336
.LBB118_57:
	s_or_b64 exec, exec, s[18:19]
	v_mov_b32_e32 v5, 0
	v_lshl_add_u64 v[4:5], v[6:7], 0, v[4:5]
	s_lshl_b64 s[18:19], s[28:29], 3
	v_mov_b32_e32 v6, s19
	v_subrev_co_u32_e64 v4, s[18:19], s18, v4
	s_nop 1
	v_subb_co_u32_e64 v5, s[18:19], v5, v6, s[18:19]
	s_mov_b64 s[18:19], 0x108
	s_nop 0
	v_lshl_add_u64 v[4:5], v[4:5], 0, s[18:19]
	v_cndmask_b32_e32 v3, v5, v3, vcc
	v_cndmask_b32_e32 v2, v4, v2, vcc
.LBB118_58:
	v_mul_u32_u24_e32 v6, 0x420, v8
	v_add_u32_e32 v4, 0x2380, v12
	v_mul_u32_u24_e32 v5, 0x108, v1
	s_lshl_b64 s[18:19], s[24:25], 5
	v_add_u32_e32 v1, v10, v6
	s_waitcnt lgkmcnt(0)
	s_barrier
	s_and_saveexec_b64 s[38:39], s[6:7]
	s_cbranch_execnz .LBB118_67
; %bb.59:
	s_or_b64 exec, exec, s[38:39]
	v_add_u32_e32 v5, v10, v5
	s_and_saveexec_b64 s[6:7], s[8:9]
	s_cbranch_execnz .LBB118_68
.LBB118_60:
	s_or_b64 exec, exec, s[6:7]
	s_and_saveexec_b64 s[6:7], s[10:11]
	s_cbranch_execnz .LBB118_69
.LBB118_61:
	s_or_b64 exec, exec, s[6:7]
	s_and_saveexec_b64 s[6:7], s[12:13]
	s_cbranch_execz .LBB118_63
.LBB118_62:
	ds_read_b64 v[6:7], v11
	v_lshl_add_u32 v12, v9, 3, v23
	s_waitcnt lgkmcnt(0)
	ds_write_b64 v12, v[6:7] offset:24
.LBB118_63:
	s_or_b64 exec, exec, s[6:7]
	s_waitcnt lgkmcnt(0)
	s_barrier
	ds_read_b64 v[6:7], v1
	ds_read_b128 v[12:15], v4 offset:256
	ds_read2_b64 v[26:29], v5 offset1:33
	ds_read_b64 v[20:21], v11
	ds_read_b128 v[36:39], v4 offset:272
	v_cmp_eq_u32_e64 s[6:7], 1, v8
	s_waitcnt lgkmcnt(3)
	v_pk_mul_f32 v[30:31], v[12:13], v[6:7] op_sel:[1,1] op_sel_hi:[0,1]
	v_pk_fma_f32 v[40:41], v[12:13], v[6:7], v[30:31] neg_lo:[0,0,1] neg_hi:[0,0,1]
	v_pk_fma_f32 v[6:7], v[12:13], v[6:7], v[30:31] op_sel_hi:[1,0,1]
	s_waitcnt lgkmcnt(2)
	v_pk_mul_f32 v[12:13], v[14:15], v[26:27] op_sel:[1,1] op_sel_hi:[0,1]
	v_pk_fma_f32 v[30:31], v[14:15], v[26:27], v[12:13] neg_lo:[0,0,1] neg_hi:[0,0,1]
	v_pk_fma_f32 v[12:13], v[14:15], v[26:27], v[12:13] op_sel_hi:[1,0,1]
	v_mov_b32_e32 v41, v7
	v_mov_b32_e32 v31, v13
	s_waitcnt lgkmcnt(0)
	v_pk_mul_f32 v[12:13], v[36:37], v[28:29] op_sel:[1,1] op_sel_hi:[0,1]
	v_pk_add_f32 v[6:7], v[40:41], 0 op_sel_hi:[1,0]
	v_pk_fma_f32 v[14:15], v[36:37], v[28:29], v[12:13] neg_lo:[0,0,1] neg_hi:[0,0,1]
	v_pk_fma_f32 v[12:13], v[36:37], v[28:29], v[12:13] op_sel_hi:[1,0,1]
	v_pk_add_f32 v[6:7], v[6:7], v[30:31]
	v_mov_b32_e32 v15, v13
	v_pk_mul_f32 v[12:13], v[38:39], v[20:21] op_sel:[1,1] op_sel_hi:[0,1]
	v_pk_add_f32 v[6:7], v[6:7], v[14:15]
	v_pk_fma_f32 v[14:15], v[38:39], v[20:21], v[12:13] neg_lo:[0,0,1] neg_hi:[0,0,1]
	v_pk_fma_f32 v[12:13], v[38:39], v[20:21], v[12:13] op_sel_hi:[1,0,1]
	s_nop 0
	v_mov_b32_e32 v15, v13
	v_pk_add_f32 v[6:7], v[6:7], v[14:15]
	s_barrier
	ds_write_b64 v24, v[6:7]
	s_waitcnt lgkmcnt(0)
	s_barrier
	s_and_saveexec_b64 s[8:9], s[6:7]
	s_cbranch_execz .LBB118_65
; %bb.64:
	ds_read2_b64 v[12:15], v23 offset1:7
	ds_read2_b64 v[26:29], v23 offset0:1 offset1:2
	ds_read2_b64 v[34:37], v23 offset0:3 offset1:4
	s_waitcnt lgkmcnt(1)
	v_add_f32_e32 v1, v26, v12
	v_add_f32_e32 v5, v27, v13
	;; [unrolled: 1-line block ×4, first 2 shown]
	ds_read2_b64 v[26:29], v23 offset0:5 offset1:6
	s_waitcnt lgkmcnt(1)
	v_add_f32_e32 v1, v1, v34
	v_add_f32_e32 v5, v5, v35
	;; [unrolled: 1-line block ×4, first 2 shown]
	s_waitcnt lgkmcnt(0)
	v_add_f32_e32 v6, v1, v26
	v_add_f32_e32 v7, v5, v27
	v_pk_add_f32 v[6:7], v[6:7], v[28:29]
	s_nop 0
	v_pk_add_f32 v[34:35], v[6:7], v[14:15]
.LBB118_65:
	s_or_b64 exec, exec, s[8:9]
	s_lshl_b64 s[8:9], s[18:19], 3
	v_mov_b32_e32 v1, s9
	v_subrev_co_u32_e64 v20, s[8:9], s8, v2
	s_and_b64 vcc, exec, s[14:15]
	s_nop 0
	v_subb_co_u32_e64 v21, s[8:9], v3, v1, s[8:9]
	s_barrier
	s_cbranch_vccnz .LBB118_70
; %bb.66:
	s_lshl_b64 s[8:9], s[24:25], 6
	v_lshl_add_u64 v[2:3], v[20:21], 0, s[8:9]
	v_lshl_add_u64 v[6:7], v[2:3], 0, s[8:9]
	;; [unrolled: 1-line block ×3, first 2 shown]
	global_load_dwordx2 v[14:15], v[20:21], off
	global_load_dwordx2 v[26:27], v[2:3], off
	;; [unrolled: 1-line block ×4, first 2 shown]
	s_movk_i32 s8, 0x108
	v_mov_b32_e32 v1, 0x840
	v_mov_b32_e32 v2, 0x1080
	;; [unrolled: 1-line block ×3, first 2 shown]
	v_mul_u32_u24_e32 v5, 0x108, v8
	v_add_u32_e32 v6, 8, v8
	v_add_u32_e32 v7, 16, v8
	;; [unrolled: 1-line block ×3, first 2 shown]
	v_mad_u32_u24 v13, v8, s8, v10
	v_mad_u32_u24 v1, v8, s8, v1
	;; [unrolled: 1-line block ×4, first 2 shown]
	v_add_u32_e32 v3, v10, v1
	v_add_u32_e32 v25, v10, v2
	;; [unrolled: 1-line block ×3, first 2 shown]
	s_waitcnt vmcnt(3)
	ds_write_b64 v13, v[14:15]
	s_waitcnt vmcnt(2)
	ds_write_b64 v3, v[26:27]
	;; [unrolled: 2-line block ×4, first 2 shown]
	s_cbranch_execz .LBB118_71
	s_branch .LBB118_86
.LBB118_67:
	ds_read_b64 v[6:7], v1
	v_lshl_add_u32 v12, v9, 3, v23
	s_waitcnt lgkmcnt(0)
	ds_write_b64 v12, v[6:7]
	s_or_b64 exec, exec, s[38:39]
	v_add_u32_e32 v5, v10, v5
	s_and_saveexec_b64 s[6:7], s[8:9]
	s_cbranch_execz .LBB118_60
.LBB118_68:
	ds_read_b64 v[6:7], v5
	v_lshl_add_u32 v12, v9, 3, v23
	s_waitcnt lgkmcnt(0)
	ds_write_b64 v12, v[6:7] offset:8
	s_or_b64 exec, exec, s[6:7]
	s_and_saveexec_b64 s[6:7], s[10:11]
	s_cbranch_execz .LBB118_61
.LBB118_69:
	ds_read_b64 v[6:7], v5 offset:264
	v_lshl_add_u32 v12, v9, 3, v23
	s_waitcnt lgkmcnt(0)
	ds_write_b64 v12, v[6:7] offset:16
	s_or_b64 exec, exec, s[6:7]
	s_and_saveexec_b64 s[6:7], s[12:13]
	s_cbranch_execnz .LBB118_62
	s_branch .LBB118_63
.LBB118_70:
                                        ; implicit-def: $vgpr5
                                        ; implicit-def: $vgpr6
                                        ; implicit-def: $vgpr1
                                        ; implicit-def: $vgpr7
                                        ; implicit-def: $vgpr2
                                        ; implicit-def: $vgpr11
                                        ; implicit-def: $vgpr12
.LBB118_71:
	v_or_b32_e32 v1, 32, v0
	v_lshlrev_b32_e32 v0, 3, v0
	v_sub_co_u32_e32 v2, vcc, v20, v0
	s_ashr_i32 s29, s28, 31
	s_nop 0
	v_subbrev_co_u32_e32 v3, vcc, 0, v21, vcc
	s_movk_i32 s8, 0xfef8
	v_lshl_add_u64 v[2:3], s[28:29], 3, v[2:3]
	s_mov_b32 s9, -1
	v_mov_b32_e32 v6, 0
	v_lshl_add_u64 v[2:3], v[2:3], 0, s[8:9]
	v_cmp_gt_i32_e32 vcc, s28, v1
	v_cmp_gt_i32_e64 s[8:9], s28, v8
	v_mov_b32_e32 v7, v6
	v_cndmask_b32_e32 v3, v3, v21, vcc
	v_cndmask_b32_e32 v2, v2, v20, vcc
	s_and_saveexec_b64 s[10:11], s[8:9]
	s_cbranch_execz .LBB118_73
; %bb.72:
	global_load_dwordx2 v[6:7], v[2:3], off
.LBB118_73:
	s_or_b64 exec, exec, s[10:11]
	s_movk_i32 s8, 0x108
	v_mad_u32_u24 v1, v8, s8, v10
	s_waitcnt vmcnt(0)
	ds_write_b64 v1, v[6:7]
	v_add_u32_e32 v6, 8, v8
	v_mul_u32_u24_e32 v5, 0x108, v8
	v_cmp_le_i32_e64 s[8:9], s28, v6
	s_and_saveexec_b64 s[10:11], s[8:9]
	s_xor_b64 s[8:9], exec, s[10:11]
; %bb.74:
	v_mov_b32_e32 v12, 0
	v_add_u32_e32 v1, v5, v10
	v_mov_b32_e32 v13, v12
	ds_write_b64 v1, v[12:13] offset:2112
; %bb.75:
	s_andn2_saveexec_b64 s[8:9], s[8:9]
	s_cbranch_execz .LBB118_77
; %bb.76:
	s_lshl_b64 s[10:11], s[24:25], 6
	v_lshl_add_u64 v[12:13], v[2:3], 0, s[10:11]
	global_load_dwordx2 v[12:13], v[12:13], off
	v_add_u32_e32 v1, v5, v10
	s_waitcnt vmcnt(0)
	ds_write_b64 v1, v[12:13] offset:2112
.LBB118_77:
	s_or_b64 exec, exec, s[8:9]
	v_add_u32_e32 v7, 16, v8
	v_cmp_le_i32_e64 s[8:9], s28, v7
	s_and_saveexec_b64 s[10:11], s[8:9]
	s_xor_b64 s[8:9], exec, s[10:11]
; %bb.78:
	v_mov_b32_e32 v12, 0
	v_add_u32_e32 v1, v5, v10
	v_mov_b32_e32 v13, v12
	ds_write_b64 v1, v[12:13] offset:4224
; %bb.79:
	s_andn2_saveexec_b64 s[8:9], s[8:9]
	s_cbranch_execz .LBB118_81
; %bb.80:
	s_lshl_b64 s[10:11], s[24:25], 7
	v_lshl_add_u64 v[12:13], v[2:3], 0, s[10:11]
	global_load_dwordx2 v[12:13], v[12:13], off
	v_add_u32_e32 v1, v5, v10
	s_waitcnt vmcnt(0)
	ds_write_b64 v1, v[12:13] offset:4224
.LBB118_81:
	s_or_b64 exec, exec, s[8:9]
	v_add_u32_e32 v11, 24, v8
	v_cmp_le_i32_e64 s[8:9], s28, v11
                                        ; implicit-def: $vgpr12
	s_and_saveexec_b64 s[10:11], s[8:9]
	s_xor_b64 s[8:9], exec, s[10:11]
; %bb.82:
	v_add_u32_e32 v12, 0x18c0, v5
	v_mov_b32_e32 v14, 0
	v_add_u32_e32 v1, v10, v12
	v_mov_b32_e32 v15, v14
	ds_write_b64 v1, v[14:15]
; %bb.83:
	s_andn2_saveexec_b64 s[8:9], s[8:9]
	s_cbranch_execz .LBB118_85
; %bb.84:
	v_mov_b32_e32 v1, 0xc0
	v_mad_u64_u32 v[12:13], s[10:11], s24, v1, v[2:3]
	s_mul_i32 s10, s25, 0xc0
	s_nop 0
	v_add_u32_e32 v13, s10, v13
	global_load_dwordx2 v[14:15], v[12:13], off
	v_add_u32_e32 v12, 0x18c0, v5
	v_add_u32_e32 v1, v10, v12
	s_waitcnt vmcnt(0)
	ds_write_b64 v1, v[14:15]
.LBB118_85:
	s_or_b64 exec, exec, s[8:9]
	v_mov_b32_e32 v1, 0
	v_lshl_add_u64 v[0:1], v[2:3], 0, v[0:1]
	s_lshl_b64 s[8:9], s[28:29], 3
	v_mov_b32_e32 v2, s9
	v_subrev_co_u32_e64 v0, s[8:9], s8, v0
	s_nop 1
	v_subb_co_u32_e64 v1, s[8:9], v1, v2, s[8:9]
	s_mov_b64 s[8:9], 0x108
	s_nop 0
	v_lshl_add_u64 v[0:1], v[0:1], 0, s[8:9]
	v_cndmask_b32_e32 v21, v1, v21, vcc
	v_cndmask_b32_e32 v20, v0, v20, vcc
	v_add_u32_e32 v1, 0x840, v5
	v_add_u32_e32 v2, 0x1080, v5
.LBB118_86:
	v_lshlrev_b32_e32 v36, 3, v8
	v_add_u32_e32 v28, v10, v1
	v_lshlrev_b32_e32 v30, 3, v6
	v_add_u32_e32 v38, v10, v2
	;; [unrolled: 2-line block ×3, first 2 shown]
	v_lshlrev_b32_e32 v42, 3, v11
	v_lshl_add_u32 v0, v9, 3, v23
	s_waitcnt lgkmcnt(0)
	s_barrier
	v_add_u32_e32 v25, v10, v5
	ds_read2_b64 v[8:11], v0 offset1:1
	ds_read2_b64 v[0:3], v0 offset0:2 offset1:3
	ds_read_b128 v[12:15], v4 offset:256
	ds_read_b128 v[4:7], v4 offset:272
	ds_read_b64 v[26:27], v25
	ds_read_b64 v[28:29], v28
	ds_read_b64 v[30:31], v30 offset:9088
	ds_read_b64 v[36:37], v36 offset:9088
	ds_read_b64 v[38:39], v38
	ds_read2_b32 v[40:41], v40 offset1:1
	ds_read_b64 v[42:43], v42 offset:9088
	ds_read_b64 v[44:45], v44 offset:9088
	s_waitcnt lgkmcnt(4)
	v_pk_mul_f32 v[46:47], v[36:37], v[26:27] op_sel:[1,1] op_sel_hi:[0,1]
	v_pk_fma_f32 v[48:49], v[36:37], v[26:27], v[46:47] neg_lo:[0,0,1] neg_hi:[0,0,1]
	v_pk_fma_f32 v[26:27], v[36:37], v[26:27], v[46:47] op_sel_hi:[1,0,1]
	v_pk_mul_f32 v[36:37], v[30:31], v[28:29] op_sel:[1,1] op_sel_hi:[0,1]
	v_pk_fma_f32 v[46:47], v[30:31], v[28:29], v[36:37] neg_lo:[0,0,1] neg_hi:[0,0,1]
	v_pk_fma_f32 v[28:29], v[30:31], v[28:29], v[36:37] op_sel_hi:[1,0,1]
	v_mov_b32_e32 v49, v27
	v_mov_b32_e32 v47, v29
	s_waitcnt lgkmcnt(0)
	v_pk_mul_f32 v[28:29], v[44:45], v[38:39] op_sel:[1,1] op_sel_hi:[0,1]
	v_pk_add_f32 v[26:27], v[48:49], 0 op_sel_hi:[1,0]
	v_pk_fma_f32 v[30:31], v[44:45], v[38:39], v[28:29] neg_lo:[0,0,1] neg_hi:[0,0,1]
	v_pk_fma_f32 v[28:29], v[44:45], v[38:39], v[28:29] op_sel_hi:[1,0,1]
	v_pk_add_f32 v[26:27], v[26:27], v[46:47]
	v_mov_b32_e32 v31, v29
	v_pk_mul_f32 v[28:29], v[42:43], v[40:41] op_sel:[1,1] op_sel_hi:[0,1]
	v_pk_add_f32 v[26:27], v[26:27], v[30:31]
	v_pk_fma_f32 v[30:31], v[42:43], v[40:41], v[28:29] neg_lo:[0,0,1] neg_hi:[0,0,1]
	v_pk_fma_f32 v[28:29], v[42:43], v[40:41], v[28:29] op_sel_hi:[1,0,1]
	s_nop 0
	v_mov_b32_e32 v31, v29
	v_pk_add_f32 v[26:27], v[26:27], v[30:31]
	s_barrier
	ds_write_b64 v24, v[26:27]
	s_waitcnt lgkmcnt(0)
	s_barrier
	s_and_saveexec_b64 s[8:9], s[6:7]
	s_cbranch_execz .LBB118_88
; %bb.87:
	ds_read2_b64 v[26:29], v23 offset1:1
	ds_read2_b64 v[36:39], v23 offset0:2 offset1:3
	ds_read2_b64 v[40:43], v23 offset0:4 offset1:5
	s_waitcnt lgkmcnt(2)
	v_pk_add_f32 v[26:27], v[34:35], v[26:27]
	s_nop 0
	v_pk_add_f32 v[30:31], v[26:27], v[28:29]
	ds_read2_b64 v[26:29], v23 offset0:6 offset1:7
	s_waitcnt lgkmcnt(2)
	v_pk_add_f32 v[30:31], v[30:31], v[36:37]
	s_nop 0
	v_pk_add_f32 v[30:31], v[30:31], v[38:39]
	s_waitcnt lgkmcnt(1)
	v_pk_add_f32 v[30:31], v[30:31], v[40:41]
	s_nop 0
	v_pk_add_f32 v[30:31], v[30:31], v[42:43]
	;; [unrolled: 4-line block ×3, first 2 shown]
.LBB118_88:
	s_or_b64 exec, exec, s[8:9]
	v_pk_mul_f32 v[26:27], v[12:13], v[8:9] op_sel:[1,1] op_sel_hi:[0,1]
	v_pk_fma_f32 v[28:29], v[12:13], v[8:9], v[26:27] neg_lo:[0,0,1] neg_hi:[0,0,1]
	v_pk_fma_f32 v[8:9], v[12:13], v[8:9], v[26:27] op_sel_hi:[1,0,1]
	v_mov_b32_e32 v12, v11
	v_pk_mul_f32 v[12:13], v[14:15], v[12:13] op_sel:[1,0] op_sel_hi:[0,0]
	v_pk_fma_f32 v[26:27], v[14:15], v[10:11], v[12:13] neg_lo:[0,0,1] neg_hi:[0,0,1]
	v_pk_fma_f32 v[10:11], v[14:15], v[10:11], v[12:13] op_sel_hi:[1,0,1]
	v_mov_b32_e32 v29, v9
	v_mov_b32_e32 v27, v11
	v_pk_mul_f32 v[10:11], v[4:5], v[0:1] op_sel:[1,1] op_sel_hi:[0,1]
	v_pk_add_f32 v[8:9], v[28:29], 0 op_sel_hi:[1,0]
	v_pk_fma_f32 v[12:13], v[4:5], v[0:1], v[10:11] neg_lo:[0,0,1] neg_hi:[0,0,1]
	v_pk_fma_f32 v[0:1], v[4:5], v[0:1], v[10:11] op_sel_hi:[1,0,1]
	v_mov_b32_e32 v4, v3
	v_pk_add_f32 v[8:9], v[8:9], v[26:27]
	v_mov_b32_e32 v13, v1
	v_pk_mul_f32 v[4:5], v[6:7], v[4:5] op_sel:[1,0] op_sel_hi:[0,0]
	v_pk_add_f32 v[0:1], v[8:9], v[12:13]
	v_pk_fma_f32 v[8:9], v[6:7], v[2:3], v[4:5] neg_lo:[0,0,1] neg_hi:[0,0,1]
	v_pk_fma_f32 v[2:3], v[6:7], v[2:3], v[4:5] op_sel_hi:[1,0,1]
	s_nop 0
	v_mov_b32_e32 v9, v3
	v_pk_add_f32 v[0:1], v[0:1], v[8:9]
	s_barrier
	ds_write_b64 v24, v[0:1]
	s_waitcnt lgkmcnt(0)
	s_barrier
	s_and_saveexec_b64 s[6:7], s[4:5]
	s_cbranch_execz .LBB118_90
; %bb.89:
	ds_read2_b64 v[0:3], v23 offset1:1
	ds_read2_b64 v[4:7], v23 offset0:2 offset1:3
	ds_read2_b64 v[8:11], v23 offset0:4 offset1:5
	s_waitcnt lgkmcnt(2)
	v_pk_add_f32 v[0:1], v[34:35], v[0:1]
	s_nop 0
	v_pk_add_f32 v[12:13], v[0:1], v[2:3]
	ds_read2_b64 v[0:3], v23 offset0:6 offset1:7
	s_waitcnt lgkmcnt(2)
	v_pk_add_f32 v[4:5], v[12:13], v[4:5]
	s_nop 0
	v_pk_add_f32 v[4:5], v[4:5], v[6:7]
	s_waitcnt lgkmcnt(1)
	v_pk_add_f32 v[4:5], v[4:5], v[8:9]
	s_nop 0
	v_pk_add_f32 v[4:5], v[4:5], v[10:11]
	;; [unrolled: 4-line block ×3, first 2 shown]
.LBB118_90:
	s_or_b64 exec, exec, s[6:7]
	s_mul_hi_u32 s4, s33, s3
	s_mul_i32 s41, s41, s3
	s_add_i32 s4, s4, s41
	s_mul_i32 s3, s33, s3
	s_mul_i32 s4, s4, s40
	s_mul_hi_u32 s5, s3, s40
	s_add_i32 s5, s5, s4
	s_mul_i32 s4, s3, s40
	s_lshl_b64 s[4:5], s[4:5], 3
	s_add_u32 s3, s34, s4
	s_mul_i32 s4, s33, s2
	s_addc_u32 s7, s35, s5
	s_ashr_i32 s5, s4, 31
	s_lshl_b64 s[4:5], s[4:5], 3
	s_add_u32 s6, s3, s4
	v_cmp_le_i32_e32 vcc, s28, v77
	s_addc_u32 s7, s7, s5
	s_and_b64 vcc, s[26:27], vcc
	s_cmp_lt_i32 s2, 1
	v_lshlrev_b32_e32 v36, 3, v77
	s_barrier
	s_cbranch_scc1 .LBB118_97
; %bb.91:
	s_mul_i32 s3, s36, s31
	s_mul_hi_u32 s4, s36, s30
	s_add_i32 s3, s4, s3
	s_mul_i32 s4, s37, s30
	s_add_i32 s5, s3, s4
	s_mul_i32 s4, s36, s30
	s_lshl_b64 s[4:5], s[4:5], 3
	v_mov_b32_e32 v0, s5
	v_subrev_co_u32_e64 v38, s[4:5], s4, v16
	v_lshlrev_b32_e32 v5, 2, v76
	s_nop 0
	v_subb_co_u32_e64 v39, s[4:5], v17, v0, s[4:5]
	s_lshl_b64 s[4:5], s[22:23], 3
	s_nop 0
	v_mov_b32_e32 v0, s5
	v_subrev_co_u32_e64 v2, s[4:5], s4, v20
	s_ashr_i32 s29, s28, 31
	s_nop 0
	v_subb_co_u32_e64 v3, s[4:5], v21, v0, s[4:5]
	v_lshlrev_b64 v[0:1], 3, v[18:19]
	v_sub_co_u32_e64 v0, s[4:5], v2, v0
	v_mov_b32_e32 v41, 0
	s_nop 0
	v_subb_co_u32_e64 v1, s[4:5], v3, v1, s[4:5]
	v_mad_u64_u32 v[2:3], s[4:5], s24, v5, 0
	v_mov_b32_e32 v4, v3
	v_mad_u64_u32 v[4:5], s[4:5], s25, v5, v[4:5]
	v_mov_b32_e32 v3, v4
	v_lshl_add_u64 v[0:1], v[2:3], 3, v[0:1]
	s_movk_i32 s4, 0xfef8
	v_lshl_add_u64 v[2:3], s[28:29], 3, v[0:1]
	s_mov_b32 s5, -1
	v_lshl_add_u64 v[2:3], v[2:3], 0, s[4:5]
	v_mov_b32_e32 v37, v41
	s_movk_i32 s4, 0xff00
	v_lshl_add_u64 v[0:1], v[0:1], 0, v[36:37]
	s_mov_b32 s5, -1
	v_lshl_add_u64 v[0:1], v[0:1], 0, s[4:5]
	v_cndmask_b32_e32 v43, v1, v3, vcc
	s_movk_i32 s3, 0x860
	v_and_b32_e32 v1, 48, v77
	v_lshrrev_b32_e32 v6, 4, v22
	v_and_b32_e32 v7, 15, v77
	v_cndmask_b32_e32 v42, v0, v2, vcc
	v_mov_b32_e32 v0, 0x2180
	v_mad_u32_u24 v80, v76, s3, v36
	s_movk_i32 s3, 0x218
	v_lshlrev_b32_e32 v1, 3, v1
	v_lshl_add_u32 v78, v76, 5, v0
	v_lshlrev_b32_e32 v0, 5, v6
	v_mad_u32_u24 v82, v7, s3, v1
	v_or_b32_e32 v1, 0x78, v36
	v_mad_u32_u24 v81, v7, s3, v0
	v_mad_u32_u24 v83, v7, s3, v1
	s_mul_i32 s3, s25, 24
	s_mul_hi_u32 s14, s24, 24
	s_add_i32 s15, s14, s3
	s_mul_i32 s3, s25, 0x90
	s_mul_hi_u32 s18, s24, 0x90
	s_add_i32 s19, s18, s3
	;; [unrolled: 3-line block ×9, first 2 shown]
	s_mul_i32 s3, s25, 0x108
	s_mul_hi_u32 s33, s24, 0x108
	v_mul_i32_i24_e32 v0, 0xffffffe8, v6
	s_add_i32 s43, s33, s3
	s_mul_i32 s3, s25, 0x88
	s_mul_hi_u32 s33, s24, 0x88
	v_add_u32_e32 v37, 0x2180, v36
	v_add_u32_e32 v79, 0x2380, v36
	v_cmp_gt_u32_e64 s[4:5], 64, v22
	s_lshl_b64 s[8:9], s[24:25], 3
	s_lshl_b64 s[10:11], s[24:25], 9
	;; [unrolled: 1-line block ×3, first 2 shown]
	s_mul_i32 s14, s24, 24
	s_mul_i32 s18, s24, 0x90
	;; [unrolled: 1-line block ×10, first 2 shown]
	s_add_i32 s45, s33, s3
	s_mul_i32 s44, s24, 0x88
	s_lshl_b64 s[24:25], s[24:25], 7
	s_mov_b32 s3, 0
	v_add_u32_e32 v84, v81, v0
	s_branch .LBB118_93
.LBB118_92:                             ;   in Loop: Header=BB118_93 Depth=1
	s_or_b64 exec, exec, s[46:47]
	v_mul_f32_e32 v40, v5, v51
	v_fma_f32 v40, v4, v50, -v40
	v_add_f32_e32 v34, v34, v40
	v_mul_f32_e32 v40, v7, v49
	v_mul_f32_e32 v5, v5, v50
	v_fma_f32 v40, v6, v48, -v40
	v_mul_f32_e32 v7, v7, v48
	v_add_f32_e32 v34, v34, v40
	v_mul_f32_e32 v40, v1, v47
	v_fmac_f32_e32 v5, v4, v51
	v_fma_f32 v40, v0, v46, -v40
	v_mul_f32_e32 v1, v1, v46
	v_add_f32_e32 v4, v35, v5
	v_fmac_f32_e32 v7, v6, v49
	v_add_f32_e32 v34, v34, v40
	v_mul_f32_e32 v40, v3, v45
	v_mul_f32_e32 v3, v3, v44
	v_add_f32_e32 v4, v4, v7
	v_fmac_f32_e32 v1, v0, v47
	v_add_f32_e32 v0, v4, v1
	v_fmac_f32_e32 v3, v2, v45
	v_fma_f32 v40, v2, v44, -v40
	v_add_f32_e32 v1, v0, v3
	v_mul_f32_e32 v0, v13, v59
	v_add_f32_e32 v34, v34, v40
	v_fma_f32 v0, v12, v58, -v0
	v_mul_f32_e32 v6, v13, v58
	v_mul_f32_e32 v2, v15, v57
	v_add_f32_e32 v0, v34, v0
	v_fma_f32 v2, v14, v56, -v2
	v_mul_f32_e32 v7, v15, v56
	v_fmac_f32_e32 v6, v12, v59
	v_add_f32_e32 v0, v0, v2
	v_mul_f32_e32 v2, v9, v53
	v_mul_f32_e32 v3, v9, v52
	v_add_f32_e32 v1, v1, v6
	v_fmac_f32_e32 v7, v14, v57
	v_fma_f32 v2, v8, v52, -v2
	v_add_f32_e32 v1, v1, v7
	v_fmac_f32_e32 v3, v8, v53
	v_mul_f32_e32 v4, v11, v55
	v_mul_f32_e32 v5, v11, v54
	v_pk_add_f32 v[0:1], v[0:1], v[2:3]
	v_mov_b32_e32 v2, v67
	v_fma_f32 v4, v10, v54, -v4
	v_fmac_f32_e32 v5, v10, v55
	v_pk_mul_f32 v[2:3], v[16:17], v[2:3] op_sel:[1,0] op_sel_hi:[0,0]
	v_pk_add_f32 v[0:1], v[0:1], v[4:5]
	v_pk_fma_f32 v[4:5], v[16:17], v[66:67], v[2:3] neg_lo:[0,0,1] neg_hi:[0,0,1]
	v_pk_fma_f32 v[2:3], v[16:17], v[66:67], v[2:3] op_sel_hi:[1,0,1]
	s_add_i32 s3, s3, 64
	v_mov_b32_e32 v2, v65
	v_mov_b32_e32 v5, v3
	v_pk_mul_f32 v[2:3], v[18:19], v[2:3] op_sel:[1,0] op_sel_hi:[0,0]
	v_pk_add_f32 v[0:1], v[0:1], v[4:5]
	v_pk_fma_f32 v[4:5], v[18:19], v[64:65], v[2:3] neg_lo:[0,0,1] neg_hi:[0,0,1]
	v_pk_fma_f32 v[2:3], v[18:19], v[64:65], v[2:3] op_sel_hi:[1,0,1]
	s_add_i32 s2, s2, -1
	v_mov_b32_e32 v2, v63
	v_mov_b32_e32 v5, v3
	v_pk_mul_f32 v[2:3], v[20:21], v[2:3] op_sel:[1,0] op_sel_hi:[0,0]
	v_pk_add_f32 v[0:1], v[0:1], v[4:5]
	v_pk_fma_f32 v[4:5], v[20:21], v[62:63], v[2:3] neg_lo:[0,0,1] neg_hi:[0,0,1]
	v_pk_fma_f32 v[2:3], v[20:21], v[62:63], v[2:3] op_sel_hi:[1,0,1]
	s_cmp_eq_u32 s2, 0
	v_mov_b32_e32 v2, v61
	v_mov_b32_e32 v5, v3
	v_pk_mul_f32 v[2:3], v[22:23], v[2:3] op_sel:[1,0] op_sel_hi:[0,0]
	v_pk_add_f32 v[0:1], v[0:1], v[4:5]
	v_pk_fma_f32 v[4:5], v[22:23], v[60:61], v[2:3] neg_lo:[0,0,1] neg_hi:[0,0,1]
	v_pk_fma_f32 v[2:3], v[22:23], v[60:61], v[2:3] op_sel_hi:[1,0,1]
	v_lshl_add_u64 v[42:43], v[42:43], 0, s[10:11]
	v_mov_b32_e32 v2, v75
	v_mov_b32_e32 v5, v3
	v_pk_mul_f32 v[2:3], v[24:25], v[2:3] op_sel:[1,0] op_sel_hi:[0,0]
	v_pk_add_f32 v[0:1], v[0:1], v[4:5]
	v_pk_fma_f32 v[4:5], v[24:25], v[74:75], v[2:3] neg_lo:[0,0,1] neg_hi:[0,0,1]
	v_pk_fma_f32 v[2:3], v[24:25], v[74:75], v[2:3] op_sel_hi:[1,0,1]
	s_nop 0
	v_mov_b32_e32 v2, v73
	v_mov_b32_e32 v5, v3
	v_pk_mul_f32 v[2:3], v[26:27], v[2:3] op_sel:[1,0] op_sel_hi:[0,0]
	v_pk_fma_f32 v[6:7], v[26:27], v[72:73], v[2:3] neg_lo:[0,0,1] neg_hi:[0,0,1]
	v_pk_fma_f32 v[2:3], v[26:27], v[72:73], v[2:3] op_sel_hi:[1,0,1]
	v_pk_add_f32 v[0:1], v[0:1], v[4:5]
	v_mov_b32_e32 v2, v71
	v_mov_b32_e32 v7, v3
	v_pk_mul_f32 v[2:3], v[28:29], v[2:3] op_sel:[1,0] op_sel_hi:[0,0]
	v_pk_fma_f32 v[8:9], v[28:29], v[70:71], v[2:3] neg_lo:[0,0,1] neg_hi:[0,0,1]
	v_pk_fma_f32 v[2:3], v[28:29], v[70:71], v[2:3] op_sel_hi:[1,0,1]
	v_pk_add_f32 v[0:1], v[0:1], v[6:7]
	;; [unrolled: 6-line block ×3, first 2 shown]
	v_mov_b32_e32 v11, v3
	v_pk_add_f32 v[34:35], v[0:1], v[10:11]
	s_barrier
	s_cbranch_scc1 .LBB118_97
.LBB118_93:                             ; =>This Inner Loop Header: Depth=1
	s_and_saveexec_b64 s[46:47], s[16:17]
	s_cbranch_execz .LBB118_95
; %bb.94:                               ;   in Loop: Header=BB118_93 Depth=1
	s_mul_i32 s33, s37, s3
	s_mul_hi_u32 s48, s36, s3
	s_add_i32 s49, s48, s33
	s_mul_i32 s48, s36, s3
	v_lshl_add_u64 v[0:1], s[48:49], 3, v[38:39]
	global_load_dwordx2 v[0:1], v[0:1], off
	s_waitcnt vmcnt(0)
	ds_write_b64 v37, v[0:1]
.LBB118_95:                             ;   in Loop: Header=BB118_93 Depth=1
	s_or_b64 exec, exec, s[46:47]
	v_lshl_add_u64 v[0:1], v[42:43], 0, s[8:9]
	s_waitcnt lgkmcnt(0)
	s_barrier
	global_load_dwordx2 v[50:51], v[42:43], off
	global_load_dwordx2 v[48:49], v[0:1], off
	v_lshl_add_u64 v[0:1], v[42:43], 0, s[12:13]
	global_load_dwordx2 v[46:47], v[0:1], off
	v_lshl_add_u64 v[0:1], v[42:43], 0, s[14:15]
	global_load_dwordx2 v[44:45], v[0:1], off
	ds_read_b64 v[8:9], v79
	ds_read_b128 v[4:7], v78
	ds_read_b128 v[0:3], v78 offset:16
	v_lshl_add_u64 v[10:11], v[42:43], 0, s[24:25]
	v_lshl_add_u64 v[70:71], v[42:43], 0, s[40:41]
	s_waitcnt vmcnt(3) lgkmcnt(2)
	v_mul_f32_e32 v12, v9, v51
	v_mul_f32_e32 v13, v9, v50
	s_waitcnt vmcnt(2)
	v_mul_f32_e32 v14, v9, v49
	v_mul_f32_e32 v15, v9, v48
	s_waitcnt vmcnt(1)
	;; [unrolled: 3-line block ×3, first 2 shown]
	v_mul_f32_e32 v18, v9, v45
	v_mul_f32_e32 v19, v8, v45
	v_fma_f32 v12, v8, v50, -v12
	v_fmac_f32_e32 v13, v8, v51
	v_fma_f32 v14, v8, v48, -v14
	v_fmac_f32_e32 v15, v8, v49
	;; [unrolled: 2-line block ×4, first 2 shown]
	v_lshl_add_u64 v[8:9], v[42:43], 0, s[44:45]
	ds_write2_b64 v80, v[12:13], v[14:15] offset1:67
	ds_write2_b64 v80, v[16:17], v[18:19] offset0:134 offset1:201
	s_waitcnt lgkmcnt(0)
	s_barrier
	ds_read2_b64 v[24:27], v81 offset1:1
	ds_read2_b64 v[28:31], v81 offset0:2 offset1:3
	s_waitcnt lgkmcnt(0)
	s_barrier
	global_load_dwordx2 v[58:59], v[10:11], off
	global_load_dwordx2 v[56:57], v[8:9], off
	v_lshl_add_u64 v[8:9], v[42:43], 0, s[18:19]
	global_load_dwordx2 v[52:53], v[8:9], off
	v_lshl_add_u64 v[8:9], v[42:43], 0, s[22:23]
	global_load_dwordx2 v[54:55], v[8:9], off
	ds_read_b64 v[16:17], v79
	v_lshl_add_u64 v[18:19], v[42:43], 0, s[20:21]
	ds_read_b128 v[12:15], v78 offset:128
	ds_read_b128 v[8:11], v78 offset:144
	v_pk_add_f32 v[24:25], v[24:25], 0 op_sel_hi:[1,0]
	s_waitcnt vmcnt(3) lgkmcnt(2)
	v_mul_f32_e32 v20, v17, v59
	v_mul_f32_e32 v21, v17, v58
	s_waitcnt vmcnt(2)
	v_mul_f32_e32 v22, v17, v57
	v_mul_f32_e32 v23, v17, v56
	s_waitcnt vmcnt(1)
	;; [unrolled: 3-line block ×3, first 2 shown]
	v_mul_f32_e32 v62, v17, v55
	v_mul_f32_e32 v63, v16, v55
	v_fma_f32 v20, v16, v58, -v20
	v_fmac_f32_e32 v21, v16, v59
	v_fma_f32 v22, v16, v56, -v22
	v_fmac_f32_e32 v23, v16, v57
	;; [unrolled: 2-line block ×4, first 2 shown]
	v_lshl_add_u64 v[16:17], v[42:43], 0, s[42:43]
	ds_write2_b64 v80, v[20:21], v[22:23] offset1:67
	ds_write2_b64 v80, v[60:61], v[62:63] offset0:134 offset1:201
	s_waitcnt lgkmcnt(0)
	s_barrier
	ds_read2_b64 v[86:89], v81 offset1:1
	ds_read2_b64 v[90:93], v81 offset0:2 offset1:3
	s_waitcnt lgkmcnt(0)
	s_barrier
	global_load_dwordx2 v[66:67], v[18:19], off
	global_load_dwordx2 v[64:65], v[16:17], off
	v_lshl_add_u64 v[16:17], v[42:43], 0, s[26:27]
	global_load_dwordx2 v[62:63], v[16:17], off
	v_lshl_add_u64 v[16:17], v[42:43], 0, s[28:29]
	global_load_dwordx2 v[60:61], v[16:17], off
	ds_read_b64 v[68:69], v79
	ds_read_b128 v[16:19], v78 offset:256
	ds_read_b128 v[20:23], v78 offset:272
	v_pk_add_f32 v[24:25], v[24:25], v[26:27]
	s_waitcnt vmcnt(3) lgkmcnt(2)
	v_mul_f32_e32 v40, v69, v67
	v_mul_f32_e32 v73, v69, v66
	s_waitcnt vmcnt(2)
	v_mul_f32_e32 v74, v69, v65
	v_mul_f32_e32 v75, v69, v64
	s_waitcnt vmcnt(1)
	;; [unrolled: 3-line block ×3, first 2 shown]
	v_mul_f32_e32 v96, v69, v61
	v_mul_f32_e32 v97, v68, v61
	v_fma_f32 v72, v68, v66, -v40
	v_fma_f32 v74, v68, v64, -v74
	;; [unrolled: 1-line block ×4, first 2 shown]
	v_fmac_f32_e32 v73, v68, v67
	v_fmac_f32_e32 v75, v68, v65
	;; [unrolled: 1-line block ×4, first 2 shown]
	v_lshl_add_u64 v[68:69], v[42:43], 0, s[38:39]
	ds_write2_b64 v80, v[72:73], v[74:75] offset1:67
	ds_write2_b64 v80, v[94:95], v[96:97] offset0:134 offset1:201
	s_waitcnt lgkmcnt(0)
	s_barrier
	ds_read2_b64 v[94:97], v81 offset1:1
	ds_read2_b64 v[98:101], v81 offset0:2 offset1:3
	s_waitcnt lgkmcnt(0)
	s_barrier
	global_load_dwordx2 v[74:75], v[70:71], off
	global_load_dwordx2 v[72:73], v[68:69], off
	v_lshl_add_u64 v[68:69], v[42:43], 0, s[30:31]
	global_load_dwordx2 v[70:71], v[68:69], off
	v_lshl_add_u64 v[68:69], v[42:43], 0, s[34:35]
	global_load_dwordx2 v[68:69], v[68:69], off
	v_pk_add_f32 v[24:25], v[24:25], v[28:29]
	s_nop 0
	v_pk_add_f32 v[102:103], v[24:25], v[30:31]
	v_pk_add_f32 v[24:25], v[86:87], 0 op_sel_hi:[1,0]
	s_nop 0
	v_pk_add_f32 v[24:25], v[24:25], v[88:89]
	v_pk_add_f32 v[88:89], v[94:95], 0 op_sel_hi:[1,0]
	v_pk_add_f32 v[24:25], v[24:25], v[90:91]
	v_pk_add_f32 v[88:89], v[88:89], v[96:97]
	;; [unrolled: 1-line block ×3, first 2 shown]
	ds_read_b64 v[86:87], v79
	ds_read_b128 v[24:27], v78 offset:384
	ds_read_b128 v[28:31], v78 offset:400
	v_pk_add_f32 v[88:89], v[88:89], v[98:99]
	s_waitcnt vmcnt(3) lgkmcnt(2)
	v_mul_f32_e32 v40, v87, v75
	v_pk_add_f32 v[94:95], v[88:89], v[100:101]
	v_mul_f32_e32 v89, v87, v74
	s_waitcnt vmcnt(2)
	v_mul_f32_e32 v85, v87, v73
	v_mul_f32_e32 v91, v87, v72
	s_waitcnt vmcnt(1)
	v_mul_f32_e32 v92, v87, v71
	;; [unrolled: 3-line block ×3, first 2 shown]
	v_mul_f32_e32 v97, v86, v69
	v_fma_f32 v88, v86, v74, -v40
	v_fma_f32 v90, v86, v72, -v85
	v_fmac_f32_e32 v89, v86, v75
	v_fmac_f32_e32 v91, v86, v73
	v_fma_f32 v92, v86, v70, -v92
	v_fmac_f32_e32 v93, v86, v71
	v_fma_f32 v96, v86, v68, -v96
	v_fmac_f32_e32 v97, v87, v68
	ds_write2_b64 v80, v[88:89], v[90:91] offset1:67
	ds_write2_b64 v80, v[92:93], v[96:97] offset0:134 offset1:201
	s_waitcnt lgkmcnt(0)
	s_barrier
	ds_read2_b64 v[86:89], v81 offset1:1
	ds_read2_b64 v[90:93], v81 offset0:2 offset1:3
	s_waitcnt lgkmcnt(0)
	s_barrier
	v_pk_add_f32 v[86:87], v[86:87], 0 op_sel_hi:[1,0]
	ds_write2_b64 v84, v[102:103], v[104:105] offset1:16
	v_pk_add_f32 v[86:87], v[86:87], v[88:89]
	s_nop 0
	v_pk_add_f32 v[86:87], v[86:87], v[90:91]
	s_nop 0
	v_pk_add_f32 v[86:87], v[86:87], v[92:93]
	ds_write2_b64 v84, v[94:95], v[86:87] offset0:32 offset1:48
	s_waitcnt lgkmcnt(0)
	s_barrier
	s_and_saveexec_b64 s[46:47], s[4:5]
	s_cbranch_execz .LBB118_92
; %bb.96:                               ;   in Loop: Header=BB118_93 Depth=1
	ds_read_b64 v[94:95], v82
	ds_read2_b64 v[86:89], v82 offset0:1 offset1:2
	ds_read2_b64 v[90:93], v82 offset0:3 offset1:4
	s_waitcnt lgkmcnt(1)
	v_add_f32_e32 v40, v86, v94
	v_add_f32_e32 v85, v87, v95
	;; [unrolled: 1-line block ×4, first 2 shown]
	ds_read2_b64 v[86:89], v82 offset0:5 offset1:6
	s_waitcnt lgkmcnt(1)
	v_add_f32_e32 v40, v40, v90
	v_add_f32_e32 v85, v85, v91
	v_add_f32_e32 v94, v40, v92
	v_add_f32_e32 v95, v85, v93
	ds_read2_b64 v[90:93], v82 offset0:7 offset1:8
	s_waitcnt lgkmcnt(1)
	v_pk_add_f32 v[86:87], v[94:95], v[86:87]
	ds_read2_b64 v[94:97], v82 offset0:9 offset1:10
	v_pk_add_f32 v[86:87], v[86:87], v[88:89]
	v_add_u32_e32 v40, s3, v77
	s_waitcnt lgkmcnt(1)
	v_pk_add_f32 v[86:87], v[86:87], v[90:91]
	v_lshl_add_u64 v[98:99], v[40:41], 3, s[6:7]
	v_pk_add_f32 v[90:91], v[86:87], v[92:93]
	ds_read2_b64 v[86:89], v82 offset0:11 offset1:12
	s_waitcnt lgkmcnt(1)
	v_pk_add_f32 v[94:95], v[90:91], v[94:95]
	ds_read2_b64 v[90:93], v82 offset0:13 offset1:14
	v_pk_add_f32 v[94:95], v[94:95], v[96:97]
	ds_read_b64 v[96:97], v83
	s_waitcnt lgkmcnt(2)
	v_pk_add_f32 v[86:87], v[94:95], v[86:87]
	s_nop 0
	v_pk_add_f32 v[86:87], v[86:87], v[88:89]
	s_waitcnt lgkmcnt(1)
	v_pk_add_f32 v[86:87], v[86:87], v[90:91]
	s_nop 0
	v_pk_add_f32 v[86:87], v[86:87], v[92:93]
	s_waitcnt lgkmcnt(0)
	v_pk_add_f32 v[86:87], v[86:87], v[96:97]
	global_store_dwordx2 v[98:99], v[86:87], off
	s_branch .LBB118_92
.LBB118_97:
	s_movk_i32 s2, 0x218
	v_mad_u32_u24 v0, v76, s2, v36
	s_nor_b64 s[0:1], s[0:1], vcc
	ds_write_b64 v0, v[34:35]
	s_waitcnt lgkmcnt(0)
	s_barrier
	s_and_saveexec_b64 s[2:3], s[0:1]
	s_cbranch_execz .LBB118_99
; %bb.98:
	ds_read2_b64 v[0:3], v36 offset1:67
	ds_read2_b64 v[4:7], v36 offset0:134 offset1:201
	v_lshl_add_u64 v[8:9], v[32:33], 3, s[6:7]
	s_waitcnt lgkmcnt(1)
	v_pk_add_f32 v[0:1], v[2:3], v[0:1]
	s_waitcnt lgkmcnt(0)
	v_pk_add_f32 v[0:1], v[4:5], v[0:1]
	s_nop 0
	v_pk_add_f32 v[0:1], v[0:1], v[6:7]
	global_store_dwordx2 v[8:9], v[0:1], off
.LBB118_99:
	s_endpgm
	.section	.rodata,"a",@progbits
	.p2align	6, 0x0
	.amdhsa_kernel _ZL26rocblas_hemvn_kernel_lowerILb0ELi64ELi4ELi33ELi32ELi16ElPK19rocblas_complex_numIfES3_PS1_EviT6_lT7_lT5_lS6_lS7_lS5_lT8_i
		.amdhsa_group_segment_fixed_size 9600
		.amdhsa_private_segment_fixed_size 0
		.amdhsa_kernarg_size 376
		.amdhsa_user_sgpr_count 2
		.amdhsa_user_sgpr_dispatch_ptr 0
		.amdhsa_user_sgpr_queue_ptr 0
		.amdhsa_user_sgpr_kernarg_segment_ptr 1
		.amdhsa_user_sgpr_dispatch_id 0
		.amdhsa_user_sgpr_kernarg_preload_length 0
		.amdhsa_user_sgpr_kernarg_preload_offset 0
		.amdhsa_user_sgpr_private_segment_size 0
		.amdhsa_uses_dynamic_stack 0
		.amdhsa_enable_private_segment 0
		.amdhsa_system_sgpr_workgroup_id_x 1
		.amdhsa_system_sgpr_workgroup_id_y 0
		.amdhsa_system_sgpr_workgroup_id_z 1
		.amdhsa_system_sgpr_workgroup_info 0
		.amdhsa_system_vgpr_workitem_id 1
		.amdhsa_next_free_vgpr 106
		.amdhsa_next_free_sgpr 50
		.amdhsa_accum_offset 108
		.amdhsa_reserve_vcc 1
		.amdhsa_float_round_mode_32 0
		.amdhsa_float_round_mode_16_64 0
		.amdhsa_float_denorm_mode_32 3
		.amdhsa_float_denorm_mode_16_64 3
		.amdhsa_dx10_clamp 1
		.amdhsa_ieee_mode 1
		.amdhsa_fp16_overflow 0
		.amdhsa_tg_split 0
		.amdhsa_exception_fp_ieee_invalid_op 0
		.amdhsa_exception_fp_denorm_src 0
		.amdhsa_exception_fp_ieee_div_zero 0
		.amdhsa_exception_fp_ieee_overflow 0
		.amdhsa_exception_fp_ieee_underflow 0
		.amdhsa_exception_fp_ieee_inexact 0
		.amdhsa_exception_int_div_zero 0
	.end_amdhsa_kernel
	.section	.text._ZL26rocblas_hemvn_kernel_lowerILb0ELi64ELi4ELi33ELi32ELi16ElPK19rocblas_complex_numIfES3_PS1_EviT6_lT7_lT5_lS6_lS7_lS5_lT8_i,"axG",@progbits,_ZL26rocblas_hemvn_kernel_lowerILb0ELi64ELi4ELi33ELi32ELi16ElPK19rocblas_complex_numIfES3_PS1_EviT6_lT7_lT5_lS6_lS7_lS5_lT8_i,comdat
.Lfunc_end118:
	.size	_ZL26rocblas_hemvn_kernel_lowerILb0ELi64ELi4ELi33ELi32ELi16ElPK19rocblas_complex_numIfES3_PS1_EviT6_lT7_lT5_lS6_lS7_lS5_lT8_i, .Lfunc_end118-_ZL26rocblas_hemvn_kernel_lowerILb0ELi64ELi4ELi33ELi32ELi16ElPK19rocblas_complex_numIfES3_PS1_EviT6_lT7_lT5_lS6_lS7_lS5_lT8_i
                                        ; -- End function
	.set _ZL26rocblas_hemvn_kernel_lowerILb0ELi64ELi4ELi33ELi32ELi16ElPK19rocblas_complex_numIfES3_PS1_EviT6_lT7_lT5_lS6_lS7_lS5_lT8_i.num_vgpr, 106
	.set _ZL26rocblas_hemvn_kernel_lowerILb0ELi64ELi4ELi33ELi32ELi16ElPK19rocblas_complex_numIfES3_PS1_EviT6_lT7_lT5_lS6_lS7_lS5_lT8_i.num_agpr, 0
	.set _ZL26rocblas_hemvn_kernel_lowerILb0ELi64ELi4ELi33ELi32ELi16ElPK19rocblas_complex_numIfES3_PS1_EviT6_lT7_lT5_lS6_lS7_lS5_lT8_i.numbered_sgpr, 50
	.set _ZL26rocblas_hemvn_kernel_lowerILb0ELi64ELi4ELi33ELi32ELi16ElPK19rocblas_complex_numIfES3_PS1_EviT6_lT7_lT5_lS6_lS7_lS5_lT8_i.num_named_barrier, 0
	.set _ZL26rocblas_hemvn_kernel_lowerILb0ELi64ELi4ELi33ELi32ELi16ElPK19rocblas_complex_numIfES3_PS1_EviT6_lT7_lT5_lS6_lS7_lS5_lT8_i.private_seg_size, 0
	.set _ZL26rocblas_hemvn_kernel_lowerILb0ELi64ELi4ELi33ELi32ELi16ElPK19rocblas_complex_numIfES3_PS1_EviT6_lT7_lT5_lS6_lS7_lS5_lT8_i.uses_vcc, 1
	.set _ZL26rocblas_hemvn_kernel_lowerILb0ELi64ELi4ELi33ELi32ELi16ElPK19rocblas_complex_numIfES3_PS1_EviT6_lT7_lT5_lS6_lS7_lS5_lT8_i.uses_flat_scratch, 0
	.set _ZL26rocblas_hemvn_kernel_lowerILb0ELi64ELi4ELi33ELi32ELi16ElPK19rocblas_complex_numIfES3_PS1_EviT6_lT7_lT5_lS6_lS7_lS5_lT8_i.has_dyn_sized_stack, 0
	.set _ZL26rocblas_hemvn_kernel_lowerILb0ELi64ELi4ELi33ELi32ELi16ElPK19rocblas_complex_numIfES3_PS1_EviT6_lT7_lT5_lS6_lS7_lS5_lT8_i.has_recursion, 0
	.set _ZL26rocblas_hemvn_kernel_lowerILb0ELi64ELi4ELi33ELi32ELi16ElPK19rocblas_complex_numIfES3_PS1_EviT6_lT7_lT5_lS6_lS7_lS5_lT8_i.has_indirect_call, 0
	.section	.AMDGPU.csdata,"",@progbits
; Kernel info:
; codeLenInByte = 7624
; TotalNumSgprs: 56
; NumVgprs: 106
; NumAgprs: 0
; TotalNumVgprs: 106
; ScratchSize: 0
; MemoryBound: 1
; FloatMode: 240
; IeeeMode: 1
; LDSByteSize: 9600 bytes/workgroup (compile time only)
; SGPRBlocks: 6
; VGPRBlocks: 13
; NumSGPRsForWavesPerEU: 56
; NumVGPRsForWavesPerEU: 106
; AccumOffset: 108
; Occupancy: 4
; WaveLimiterHint : 0
; COMPUTE_PGM_RSRC2:SCRATCH_EN: 0
; COMPUTE_PGM_RSRC2:USER_SGPR: 2
; COMPUTE_PGM_RSRC2:TRAP_HANDLER: 0
; COMPUTE_PGM_RSRC2:TGID_X_EN: 1
; COMPUTE_PGM_RSRC2:TGID_Y_EN: 0
; COMPUTE_PGM_RSRC2:TGID_Z_EN: 1
; COMPUTE_PGM_RSRC2:TIDIG_COMP_CNT: 1
; COMPUTE_PGM_RSRC3_GFX90A:ACCUM_OFFSET: 26
; COMPUTE_PGM_RSRC3_GFX90A:TG_SPLIT: 0
	.section	.text._ZL26rocblas_hemvn_kernel_lowerILb0ELi64ELi4ELi33ELi32ELi16EiPK19rocblas_complex_numIfES3_PS1_EviT6_lT7_lT5_lS6_lS7_lS5_lT8_i,"axG",@progbits,_ZL26rocblas_hemvn_kernel_lowerILb0ELi64ELi4ELi33ELi32ELi16EiPK19rocblas_complex_numIfES3_PS1_EviT6_lT7_lT5_lS6_lS7_lS5_lT8_i,comdat
	.globl	_ZL26rocblas_hemvn_kernel_lowerILb0ELi64ELi4ELi33ELi32ELi16EiPK19rocblas_complex_numIfES3_PS1_EviT6_lT7_lT5_lS6_lS7_lS5_lT8_i ; -- Begin function _ZL26rocblas_hemvn_kernel_lowerILb0ELi64ELi4ELi33ELi32ELi16EiPK19rocblas_complex_numIfES3_PS1_EviT6_lT7_lT5_lS6_lS7_lS5_lT8_i
	.p2align	8
	.type	_ZL26rocblas_hemvn_kernel_lowerILb0ELi64ELi4ELi33ELi32ELi16EiPK19rocblas_complex_numIfES3_PS1_EviT6_lT7_lT5_lS6_lS7_lS5_lT8_i,@function
_ZL26rocblas_hemvn_kernel_lowerILb0ELi64ELi4ELi33ELi32ELi16EiPK19rocblas_complex_numIfES3_PS1_EviT6_lT7_lT5_lS6_lS7_lS5_lT8_i: ; @_ZL26rocblas_hemvn_kernel_lowerILb0ELi64ELi4ELi33ELi32ELi16EiPK19rocblas_complex_numIfES3_PS1_EviT6_lT7_lT5_lS6_lS7_lS5_lT8_i
; %bb.0:
	s_load_dwordx2 s[4:5], s[0:1], 0x84
	s_add_u32 s12, s0, 0x78
	s_addc_u32 s13, s1, 0
	s_waitcnt lgkmcnt(0)
	s_lshr_b32 s6, s4, 16
	s_and_b32 s4, s4, 0xffff
	s_and_b32 s5, s5, 0xffff
	s_mul_i32 s4, s6, s4
	s_mul_i32 s4, s4, s5
	s_cmpk_lg_i32 s4, 0x100
	s_cbranch_scc1 .LBB119_99
; %bb.1:
	s_load_dwordx8 s[4:11], s[0:1], 0x8
	s_waitcnt lgkmcnt(0)
	s_mul_i32 s7, s7, s3
	s_mul_hi_u32 s14, s6, s3
	s_mul_i32 s6, s6, s3
	s_add_i32 s7, s14, s7
	s_lshl_b64 s[6:7], s[6:7], 3
	s_add_u32 s4, s4, s6
	s_addc_u32 s5, s5, s7
	s_load_dwordx2 s[6:7], s[4:5], 0x0
	s_load_dwordx8 s[16:23], s[0:1], 0x50
	s_waitcnt lgkmcnt(0)
	s_or_b32 s4, s6, s7
	s_bitset0_b32 s4, 31
	s_cmp_lg_u32 s4, 0
	s_cselect_b64 s[4:5], -1, 0
	s_mov_b64 s[6:7], -1
	s_and_b64 vcc, exec, s[4:5]
	s_cbranch_vccnz .LBB119_3
; %bb.2:
	s_mul_i32 s6, s21, s3
	s_mul_hi_u32 s7, s20, s3
	s_add_i32 s7, s7, s6
	s_mul_i32 s6, s20, s3
	s_lshl_b64 s[6:7], s[6:7], 3
	s_add_u32 s6, s18, s6
	s_addc_u32 s7, s19, s7
	s_load_dwordx2 s[14:15], s[6:7], 0x0
	s_waitcnt lgkmcnt(0)
	v_cmp_neq_f32_e64 s[6:7], s14, 1.0
	v_cmp_neq_f32_e64 s[14:15], s15, 0
	s_or_b64 s[6:7], s[6:7], s[14:15]
.LBB119_3:
	s_andn2_b64 vcc, exec, s[6:7]
	s_cbranch_vccnz .LBB119_99
; %bb.4:
	s_andn2_b64 vcc, exec, s[4:5]
	s_cbranch_vccnz .LBB119_99
; %bb.5:
	s_load_dword s39, s[12:13], 0x0
	s_load_dword s38, s[0:1], 0x0
	s_load_dwordx4 s[4:7], s[0:1], 0x30
	s_load_dwordx2 s[14:15], s[0:1], 0x40
	s_load_dword s33, s[0:1], 0x48
	s_mul_i32 s12, s17, s3
	s_mul_hi_u32 s13, s16, s3
	s_add_i32 s13, s13, s12
	s_mul_i32 s12, s16, s3
	s_lshl_b64 s[12:13], s[12:13], 3
	s_waitcnt lgkmcnt(0)
	s_add_u32 s12, s6, s12
	s_addc_u32 s13, s7, s13
	s_lshl_b64 s[6:7], s[14:15], 3
	s_add_u32 s6, s12, s6
	s_addc_u32 s7, s13, s7
	s_ashr_i32 s40, s38, 31
	s_lshr_b32 s13, s40, 26
	v_and_b32_e32 v34, 0x3ff, v0
	s_lshl_b32 s26, s2, 6
	s_add_i32 s13, s38, s13
	s_andn2_b32 s13, s13, 63
	v_add_u32_e32 v32, s26, v34
	v_bfe_u32 v33, v0, 10, 10
	s_add_i32 s12, s39, -1
	s_sub_i32 s13, s38, s13
	v_mul_lo_u32 v0, s33, v32
	s_cmp_eq_u32 s2, s12
	v_ashrrev_i32_e32 v1, 31, v0
	s_cselect_b32 s24, s13, 0
	v_lshl_add_u64 v[16:17], v[0:1], 3, s[6:7]
	v_cmp_ne_u32_e64 s[16:17], 0, v33
	v_cmp_eq_u32_e64 s[18:19], 0, v33
	s_and_saveexec_b64 s[6:7], s[18:19]
	s_cbranch_execz .LBB119_10
; %bb.6:
	s_cmp_lg_u32 s24, 0
	s_cselect_b64 s[12:13], -1, 0
	v_cmp_le_i32_e32 vcc, s24, v34
	v_mov_b32_e32 v0, 0x2380
	s_and_b64 s[12:13], s[12:13], vcc
	v_lshl_add_u32 v0, v34, 3, v0
	s_and_saveexec_b64 s[14:15], s[12:13]
	s_xor_b64 s[12:13], exec, s[14:15]
; %bb.7:
	v_mov_b32_e32 v2, 0
	v_mov_b32_e32 v3, v2
	ds_write_b64 v0, v[2:3]
                                        ; implicit-def: $vgpr0
; %bb.8:
	s_andn2_saveexec_b64 s[12:13], s[12:13]
	s_cbranch_execz .LBB119_10
; %bb.9:
	global_load_dwordx2 v[2:3], v[16:17], off
	s_waitcnt vmcnt(0)
	ds_write_b64 v0, v[2:3]
.LBB119_10:
	s_or_b64 exec, exec, s[6:7]
	s_mul_i32 s5, s5, s3
	s_mul_hi_u32 s6, s4, s3
	s_add_i32 s5, s6, s5
	s_mul_i32 s4, s4, s3
	s_lshl_b64 s[4:5], s[4:5], 3
	s_add_u32 s6, s8, s4
	s_load_dword s20, s[0:1], 0x28
	s_addc_u32 s7, s9, s5
	s_lshl_b64 s[4:5], s[10:11], 3
	s_add_u32 s4, s6, s4
	s_addc_u32 s5, s7, s5
	s_ashr_i32 s27, s26, 31
	v_lshl_add_u32 v22, v33, 6, v34
	s_lshl_b64 s[0:1], s[26:27], 3
	v_and_b32_e32 v2, 31, v34
	v_lshrrev_b32_e32 v8, 5, v22
	s_add_u32 s0, s4, s0
	s_waitcnt lgkmcnt(0)
	s_mul_i32 s28, s20, s26
	s_addc_u32 s1, s5, s1
	v_mad_u64_u32 v[18:19], s[4:5], s20, v8, v[2:3]
	s_ashr_i32 s29, s28, 31
	v_ashrrev_i32_e32 v19, 31, v18
	s_cmp_lg_u32 s24, 0
	v_lshl_add_u64 v[0:1], v[18:19], 3, s[0:1]
	s_cselect_b64 s[30:31], -1, 0
	s_cmp_eq_u32 s24, 0
	v_lshl_add_u64 v[4:5], s[28:29], 3, v[0:1]
	s_cselect_b64 s[34:35], -1, 0
	s_mov_b64 s[0:1], -1
	s_and_b64 vcc, exec, s[30:31]
	s_cbranch_vccnz .LBB119_12
; %bb.11:
	s_lshl_b32 s0, s20, 3
	s_ashr_i32 s1, s0, 31
	s_ashr_i32 s21, s20, 31
	v_lshl_add_u64 v[0:1], s[0:1], 3, v[4:5]
	s_lshl_b64 s[0:1], s[20:21], 6
	v_lshl_add_u64 v[6:7], v[0:1], 0, s[0:1]
	v_lshl_add_u64 v[10:11], v[6:7], 0, s[0:1]
	global_load_dwordx2 v[12:13], v[4:5], off
	global_load_dwordx2 v[14:15], v[0:1], off
	;; [unrolled: 1-line block ×4, first 2 shown]
	v_mul_u32_u24_e32 v0, 0x108, v8
	v_lshl_add_u32 v0, v2, 3, v0
	s_mov_b64 s[0:1], 0
	s_waitcnt vmcnt(3)
	ds_write_b64 v0, v[12:13]
	s_waitcnt vmcnt(2)
	ds_write_b64 v0, v[14:15] offset:2112
	s_waitcnt vmcnt(1)
	ds_write_b64 v0, v[20:21] offset:4224
	;; [unrolled: 2-line block ×3, first 2 shown]
.LBB119_12:
	s_andn2_b64 vcc, exec, s[0:1]
	v_lshlrev_b32_e32 v0, 3, v2
	s_cbranch_vccnz .LBB119_28
; %bb.13:
	v_sub_co_u32_e32 v6, vcc, v4, v0
	s_ashr_i32 s25, s24, 31
	s_nop 0
	v_subbrev_co_u32_e32 v7, vcc, 0, v5, vcc
	v_lshl_add_u64 v[6:7], s[24:25], 3, v[6:7]
	v_mov_b32_e32 v10, 0
	v_lshl_add_u64 v[6:7], v[6:7], 0, -8
	v_cmp_gt_i32_e32 vcc, s24, v2
	v_cmp_gt_i32_e64 s[0:1], s24, v8
	v_mov_b32_e32 v11, v10
	v_cndmask_b32_e32 v7, v7, v5, vcc
	v_cndmask_b32_e32 v6, v6, v4, vcc
	s_and_saveexec_b64 s[4:5], s[0:1]
	s_cbranch_execz .LBB119_15
; %bb.14:
	global_load_dwordx2 v[10:11], v[6:7], off
.LBB119_15:
	s_or_b64 exec, exec, s[4:5]
	s_movk_i32 s0, 0x108
	v_mad_u32_u24 v3, v8, s0, v0
	s_waitcnt vmcnt(0)
	ds_write_b64 v3, v[10:11]
	v_add_u32_e32 v3, 8, v8
	v_mul_u32_u24_e32 v1, 0x108, v8
	v_cmp_le_i32_e64 s[0:1], s24, v3
	s_and_saveexec_b64 s[4:5], s[0:1]
	s_xor_b64 s[0:1], exec, s[4:5]
; %bb.16:
	v_mov_b32_e32 v10, 0
	v_add_u32_e32 v3, v1, v0
	v_mov_b32_e32 v11, v10
	ds_write_b64 v3, v[10:11] offset:2112
; %bb.17:
	s_andn2_saveexec_b64 s[0:1], s[0:1]
	s_cbranch_execz .LBB119_19
; %bb.18:
	s_lshl_b32 s4, s20, 3
	s_ashr_i32 s5, s4, 31
	v_lshl_add_u64 v[10:11], s[4:5], 3, v[6:7]
	global_load_dwordx2 v[10:11], v[10:11], off
	v_add_u32_e32 v3, v1, v0
	s_waitcnt vmcnt(0)
	ds_write_b64 v3, v[10:11] offset:2112
.LBB119_19:
	s_or_b64 exec, exec, s[0:1]
	v_add_u32_e32 v3, 16, v8
	v_cmp_le_i32_e64 s[0:1], s24, v3
	s_and_saveexec_b64 s[4:5], s[0:1]
	s_xor_b64 s[0:1], exec, s[4:5]
; %bb.20:
	v_mov_b32_e32 v10, 0
	v_add_u32_e32 v3, v1, v0
	v_mov_b32_e32 v11, v10
	ds_write_b64 v3, v[10:11] offset:4224
; %bb.21:
	s_andn2_saveexec_b64 s[0:1], s[0:1]
	s_cbranch_execz .LBB119_23
; %bb.22:
	s_lshl_b32 s4, s20, 4
	s_ashr_i32 s5, s4, 31
	v_lshl_add_u64 v[10:11], s[4:5], 3, v[6:7]
	global_load_dwordx2 v[10:11], v[10:11], off
	v_add_u32_e32 v3, v1, v0
	s_waitcnt vmcnt(0)
	ds_write_b64 v3, v[10:11] offset:4224
.LBB119_23:
	s_or_b64 exec, exec, s[0:1]
	v_add_u32_e32 v3, 24, v8
	v_cmp_le_i32_e64 s[0:1], s24, v3
	s_and_saveexec_b64 s[4:5], s[0:1]
	s_xor_b64 s[0:1], exec, s[4:5]
; %bb.24:
	v_mov_b32_e32 v10, 0
	v_add_u32_e32 v1, v1, v0
	v_mov_b32_e32 v11, v10
	ds_write_b64 v1, v[10:11] offset:6336
                                        ; implicit-def: $vgpr1
; %bb.25:
	s_andn2_saveexec_b64 s[0:1], s[0:1]
	s_cbranch_execz .LBB119_27
; %bb.26:
	s_mul_i32 s4, s20, 24
	s_ashr_i32 s5, s4, 31
	v_lshl_add_u64 v[10:11], s[4:5], 3, v[6:7]
	global_load_dwordx2 v[10:11], v[10:11], off
	v_add_u32_e32 v1, v1, v0
	s_waitcnt vmcnt(0)
	ds_write_b64 v1, v[10:11] offset:6336
.LBB119_27:
	s_or_b64 exec, exec, s[0:1]
	v_mov_b32_e32 v1, 0
	v_lshl_add_u64 v[6:7], v[6:7], 0, v[0:1]
	s_lshl_b64 s[0:1], s[24:25], 3
	v_mov_b32_e32 v1, s1
	v_subrev_co_u32_e64 v6, s[0:1], s0, v6
	s_nop 1
	v_subb_co_u32_e64 v7, s[0:1], v7, v1, s[0:1]
	v_lshl_add_u64 v[6:7], v[6:7], 0, 8
	v_cndmask_b32_e32 v5, v7, v5, vcc
	v_cndmask_b32_e32 v4, v6, v4, vcc
.LBB119_28:
	v_lshlrev_b32_e32 v9, 2, v8
	v_lshl_or_b32 v1, v2, 8, v0
	v_cmp_lt_u32_e64 s[6:7], v9, v2
	s_waitcnt lgkmcnt(0)
	s_barrier
	s_and_saveexec_b64 s[0:1], s[6:7]
	s_cbranch_execz .LBB119_30
; %bb.29:
	s_movk_i32 s4, 0x420
	v_mad_u32_u24 v3, v8, s4, v0
	ds_read_b64 v[6:7], v3
	v_lshl_add_u32 v3, v9, 3, v1
	s_waitcnt lgkmcnt(0)
	ds_write_b64 v3, v[6:7]
.LBB119_30:
	s_or_b64 exec, exec, s[0:1]
	v_or_b32_e32 v3, 1, v9
	v_cmp_lt_u32_e64 s[8:9], v3, v2
	s_and_saveexec_b64 s[0:1], s[8:9]
	s_cbranch_execz .LBB119_32
; %bb.31:
	s_movk_i32 s4, 0x108
	v_mad_u32_u24 v6, v3, s4, v0
	ds_read_b64 v[6:7], v6
	v_lshl_add_u32 v10, v9, 3, v1
	s_waitcnt lgkmcnt(0)
	ds_write_b64 v10, v[6:7] offset:8
.LBB119_32:
	s_or_b64 exec, exec, s[0:1]
	v_or_b32_e32 v6, 2, v9
	v_cmp_lt_u32_e64 s[10:11], v6, v2
	s_and_saveexec_b64 s[0:1], s[10:11]
	s_cbranch_execz .LBB119_34
; %bb.33:
	s_movk_i32 s4, 0x108
	v_mad_u32_u24 v6, v6, s4, v0
	ds_read_b64 v[6:7], v6
	v_lshl_add_u32 v10, v9, 3, v1
	s_waitcnt lgkmcnt(0)
	ds_write_b64 v10, v[6:7] offset:16
.LBB119_34:
	s_or_b64 exec, exec, s[0:1]
	v_or_b32_e32 v7, 3, v9
	v_cmp_lt_u32_e64 s[12:13], v7, v2
	v_cmp_ge_u32_e32 vcc, v7, v2
                                        ; implicit-def: $vgpr6
	s_and_saveexec_b64 s[0:1], vcc
	s_xor_b64 s[0:1], exec, s[0:1]
; %bb.35:
	v_mul_u32_u24_e32 v6, 0x108, v7
                                        ; implicit-def: $vgpr1
                                        ; implicit-def: $vgpr7
; %bb.36:
	s_andn2_saveexec_b64 s[0:1], s[0:1]
	s_cbranch_execz .LBB119_38
; %bb.37:
	s_movk_i32 s4, 0x108
	v_mad_u32_u24 v6, v7, s4, v0
	ds_read_b64 v[10:11], v6
	v_lshl_add_u32 v1, v9, 3, v1
	v_mul_u32_u24_e32 v6, 0x108, v7
	s_waitcnt lgkmcnt(0)
	ds_write_b64 v1, v[10:11] offset:24
.LBB119_38:
	s_or_b64 exec, exec, s[0:1]
	s_movk_i32 s0, 0x420
	v_mad_u32_u24 v1, v8, s0, v0
	s_movk_i32 s0, 0x108
	v_mad_u32_u24 v7, v3, s0, v0
	s_waitcnt lgkmcnt(0)
	s_barrier
	v_lshlrev_b32_e32 v11, 3, v9
	ds_read2_b64 v[12:15], v7 offset1:33
	v_add_u32_e32 v10, v0, v6
	ds_read_b64 v[6:7], v1
	ds_read_b128 v[26:29], v11 offset:9088
	v_mul_u32_u24_e32 v20, 33, v2
	v_lshlrev_b32_e32 v23, 3, v20
	ds_read_b64 v[20:21], v10
	ds_read_b128 v[38:41], v11 offset:9104
	v_lshl_add_u32 v24, v8, 3, v23
	s_waitcnt lgkmcnt(2)
	v_pk_mul_f32 v[30:31], v[26:27], v[6:7] op_sel:[1,1] op_sel_hi:[0,1]
	v_pk_fma_f32 v[36:37], v[26:27], v[6:7], v[30:31] neg_lo:[0,0,1] neg_hi:[0,0,1]
	v_pk_fma_f32 v[6:7], v[26:27], v[6:7], v[30:31] op_sel_hi:[1,0,1]
	v_pk_mul_f32 v[26:27], v[28:29], v[12:13] op_sel:[1,1] op_sel_hi:[0,1]
	v_pk_fma_f32 v[30:31], v[28:29], v[12:13], v[26:27] neg_lo:[0,0,1] neg_hi:[0,0,1]
	v_pk_fma_f32 v[12:13], v[28:29], v[12:13], v[26:27] op_sel_hi:[1,0,1]
	v_mov_b32_e32 v37, v7
	v_mov_b32_e32 v31, v13
	s_waitcnt lgkmcnt(0)
	v_pk_mul_f32 v[12:13], v[38:39], v[14:15] op_sel:[1,1] op_sel_hi:[0,1]
	v_pk_fma_f32 v[26:27], v[38:39], v[14:15], v[12:13] neg_lo:[0,0,1] neg_hi:[0,0,1]
	v_pk_fma_f32 v[12:13], v[38:39], v[14:15], v[12:13] op_sel_hi:[1,0,1]
	v_pk_add_f32 v[6:7], v[36:37], 0 op_sel_hi:[1,0]
	v_mov_b32_e32 v27, v13
	v_pk_mul_f32 v[12:13], v[40:41], v[20:21] op_sel:[1,1] op_sel_hi:[0,1]
	v_pk_add_f32 v[6:7], v[6:7], v[30:31]
	v_pk_fma_f32 v[14:15], v[40:41], v[20:21], v[12:13] neg_lo:[0,0,1] neg_hi:[0,0,1]
	v_pk_fma_f32 v[12:13], v[40:41], v[20:21], v[12:13] op_sel_hi:[1,0,1]
	v_mov_b32_e32 v36, 0
	v_pk_add_f32 v[6:7], v[6:7], v[26:27]
	v_mov_b32_e32 v15, v13
	v_mov_b32_e32 v37, v36
	v_pk_add_f32 v[6:7], v[6:7], v[14:15]
	v_cmp_gt_u32_e64 s[4:5], 32, v22
	s_barrier
	ds_write_b64 v24, v[6:7]
	s_waitcnt lgkmcnt(0)
	s_barrier
	s_and_saveexec_b64 s[0:1], s[4:5]
	s_cbranch_execz .LBB119_40
; %bb.39:
	ds_read2_b64 v[12:15], v23 offset1:7
	ds_read2_b64 v[26:29], v23 offset0:1 offset1:2
	ds_read2_b64 v[36:39], v23 offset0:3 offset1:4
	s_waitcnt lgkmcnt(1)
	v_add_f32_e32 v1, v26, v12
	v_add_f32_e32 v6, v27, v13
	;; [unrolled: 1-line block ×4, first 2 shown]
	ds_read2_b64 v[26:29], v23 offset0:5 offset1:6
	s_waitcnt lgkmcnt(1)
	v_add_f32_e32 v1, v1, v36
	v_add_f32_e32 v6, v6, v37
	;; [unrolled: 1-line block ×4, first 2 shown]
	s_waitcnt lgkmcnt(0)
	v_add_f32_e32 v1, v1, v26
	v_add_f32_e32 v7, v6, v27
	;; [unrolled: 1-line block ×4, first 2 shown]
	v_pk_add_f32 v[36:37], v[6:7], v[14:15]
.LBB119_40:
	s_or_b64 exec, exec, s[0:1]
	s_lshl_b32 s36, s20, 5
	s_ashr_i32 s37, s36, 31
	v_cndmask_b32_e64 v1, 0, 1, s[34:35]
	v_lshl_add_u64 v[6:7], s[36:37], 3, v[4:5]
	s_mov_b64 s[0:1], 0x100
	v_cmp_ne_u32_e64 s[14:15], 1, v1
	s_andn2_b64 vcc, exec, s[34:35]
	s_mov_b64 s[34:35], -1
	s_barrier
	s_cbranch_vccnz .LBB119_42
; %bb.41:
	s_lshl_b32 s34, s20, 3
	s_ashr_i32 s35, s34, 31
	s_ashr_i32 s21, s20, 31
	v_lshl_add_u64 v[4:5], s[34:35], 3, v[6:7]
	s_lshl_b64 s[34:35], s[20:21], 6
	v_lshl_add_u64 v[12:13], v[4:5], 0, s[34:35]
	v_lshl_add_u64 v[14:15], v[12:13], 0, s[34:35]
	global_load_dwordx2 v[20:21], v[6:7], off offset:256
	global_load_dwordx2 v[26:27], v[4:5], off offset:256
	;; [unrolled: 1-line block ×4, first 2 shown]
	s_movk_i32 s21, 0x108
	v_mad_u32_u24 v1, v8, s21, v0
	s_mov_b64 s[34:35], 0
	s_waitcnt vmcnt(3)
	ds_write_b64 v1, v[20:21]
	s_waitcnt vmcnt(2)
	ds_write_b64 v1, v[26:27] offset:2112
	s_waitcnt vmcnt(1)
	ds_write_b64 v1, v[28:29] offset:4224
	;; [unrolled: 2-line block ×3, first 2 shown]
.LBB119_42:
	s_andn2_b64 vcc, exec, s[34:35]
	v_lshl_add_u64 v[4:5], v[6:7], 0, s[0:1]
	s_cbranch_vccnz .LBB119_58
; %bb.43:
	v_sub_co_u32_e32 v6, vcc, v6, v0
	s_ashr_i32 s25, s24, 31
	s_nop 0
	v_subbrev_co_u32_e32 v7, vcc, 0, v7, vcc
	v_or_b32_e32 v1, 32, v2
	v_lshl_add_u64 v[6:7], s[24:25], 3, v[6:7]
	v_mov_b32_e32 v12, 0
	v_lshl_add_u64 v[6:7], v[6:7], 0, -8
	v_cmp_gt_i32_e32 vcc, s24, v1
	s_sub_i32 s21, s24, 32
	v_cmp_gt_i32_e64 s[0:1], s21, v8
	v_cndmask_b32_e32 v7, v7, v5, vcc
	v_cndmask_b32_e32 v6, v6, v4, vcc
	v_mov_b32_e32 v13, v12
	s_and_saveexec_b64 s[34:35], s[0:1]
	s_cbranch_execz .LBB119_45
; %bb.44:
	global_load_dwordx2 v[12:13], v[6:7], off
.LBB119_45:
	s_or_b64 exec, exec, s[34:35]
	s_movk_i32 s0, 0x108
	v_mad_u32_u24 v14, v8, s0, v0
	s_waitcnt vmcnt(0)
	ds_write_b64 v14, v[12:13]
	v_add_u32_e32 v12, 8, v8
	v_mul_u32_u24_e32 v1, 0x108, v8
	v_cmp_le_i32_e64 s[0:1], s21, v12
	s_and_saveexec_b64 s[34:35], s[0:1]
	s_xor_b64 s[0:1], exec, s[34:35]
; %bb.46:
	v_mov_b32_e32 v14, 0
	v_add_u32_e32 v12, v1, v0
	v_mov_b32_e32 v15, v14
	ds_write_b64 v12, v[14:15] offset:2112
; %bb.47:
	s_andn2_saveexec_b64 s[0:1], s[0:1]
	s_cbranch_execz .LBB119_49
; %bb.48:
	s_lshl_b32 s34, s20, 3
	s_ashr_i32 s35, s34, 31
	v_lshl_add_u64 v[12:13], s[34:35], 3, v[6:7]
	global_load_dwordx2 v[12:13], v[12:13], off
	v_add_u32_e32 v14, v1, v0
	s_waitcnt vmcnt(0)
	ds_write_b64 v14, v[12:13] offset:2112
.LBB119_49:
	s_or_b64 exec, exec, s[0:1]
	v_add_u32_e32 v12, 16, v8
	v_cmp_le_i32_e64 s[0:1], s21, v12
	s_and_saveexec_b64 s[34:35], s[0:1]
	s_xor_b64 s[0:1], exec, s[34:35]
; %bb.50:
	v_mov_b32_e32 v14, 0
	v_add_u32_e32 v12, v1, v0
	v_mov_b32_e32 v15, v14
	ds_write_b64 v12, v[14:15] offset:4224
; %bb.51:
	s_andn2_saveexec_b64 s[0:1], s[0:1]
	s_cbranch_execz .LBB119_53
; %bb.52:
	s_lshl_b32 s34, s20, 4
	s_ashr_i32 s35, s34, 31
	v_lshl_add_u64 v[12:13], s[34:35], 3, v[6:7]
	global_load_dwordx2 v[12:13], v[12:13], off
	v_add_u32_e32 v14, v1, v0
	s_waitcnt vmcnt(0)
	ds_write_b64 v14, v[12:13] offset:4224
.LBB119_53:
	s_or_b64 exec, exec, s[0:1]
	v_add_u32_e32 v12, 24, v8
	v_cmp_le_i32_e64 s[0:1], s21, v12
	s_and_saveexec_b64 s[34:35], s[0:1]
	s_xor_b64 s[0:1], exec, s[34:35]
; %bb.54:
	v_mov_b32_e32 v12, 0
	v_add_u32_e32 v1, v1, v0
	v_mov_b32_e32 v13, v12
	ds_write_b64 v1, v[12:13] offset:6336
                                        ; implicit-def: $vgpr1
; %bb.55:
	s_andn2_saveexec_b64 s[0:1], s[0:1]
	s_cbranch_execz .LBB119_57
; %bb.56:
	s_mul_i32 s34, s20, 24
	s_ashr_i32 s35, s34, 31
	v_lshl_add_u64 v[12:13], s[34:35], 3, v[6:7]
	global_load_dwordx2 v[12:13], v[12:13], off
	v_add_u32_e32 v1, v1, v0
	s_waitcnt vmcnt(0)
	ds_write_b64 v1, v[12:13] offset:6336
.LBB119_57:
	s_or_b64 exec, exec, s[0:1]
	v_mov_b32_e32 v1, 0
	v_lshl_add_u64 v[6:7], v[6:7], 0, v[0:1]
	s_lshl_b64 s[0:1], s[24:25], 3
	v_mov_b32_e32 v1, s1
	v_subrev_co_u32_e64 v6, s[0:1], s0, v6
	s_nop 1
	v_subb_co_u32_e64 v7, s[0:1], v7, v1, s[0:1]
	s_mov_b64 s[0:1], 0x108
	s_nop 0
	v_lshl_add_u64 v[6:7], v[6:7], 0, s[0:1]
	v_cndmask_b32_e32 v5, v7, v5, vcc
	v_cndmask_b32_e32 v4, v6, v4, vcc
.LBB119_58:
	v_mul_u32_u24_e32 v1, 0x420, v8
	v_add_u32_e32 v6, 0x2380, v11
	v_mul_u32_u24_e32 v3, 0x108, v3
	v_add_u32_e32 v1, v0, v1
	s_waitcnt lgkmcnt(0)
	s_barrier
	s_and_saveexec_b64 s[0:1], s[6:7]
	s_cbranch_execnz .LBB119_67
; %bb.59:
	s_or_b64 exec, exec, s[0:1]
	v_add_u32_e32 v3, v0, v3
	s_and_saveexec_b64 s[0:1], s[8:9]
	s_cbranch_execnz .LBB119_68
.LBB119_60:
	s_or_b64 exec, exec, s[0:1]
	s_and_saveexec_b64 s[0:1], s[10:11]
	s_cbranch_execnz .LBB119_69
.LBB119_61:
	s_or_b64 exec, exec, s[0:1]
	s_and_saveexec_b64 s[0:1], s[12:13]
	s_cbranch_execz .LBB119_63
.LBB119_62:
	ds_read_b64 v[12:13], v10
	v_lshl_add_u32 v7, v9, 3, v23
	s_waitcnt lgkmcnt(0)
	ds_write_b64 v7, v[12:13] offset:24
.LBB119_63:
	s_or_b64 exec, exec, s[0:1]
	s_waitcnt lgkmcnt(0)
	s_barrier
	ds_read_b64 v[20:21], v1
	ds_read_b128 v[12:15], v6 offset:256
	ds_read2_b64 v[26:29], v3 offset1:33
	ds_read_b64 v[10:11], v10
	ds_read_b128 v[38:41], v6 offset:272
	v_cmp_eq_u32_e64 s[6:7], 1, v8
	s_waitcnt lgkmcnt(3)
	v_pk_mul_f32 v[30:31], v[12:13], v[20:21] op_sel:[1,1] op_sel_hi:[0,1]
	v_pk_fma_f32 v[42:43], v[12:13], v[20:21], v[30:31] neg_lo:[0,0,1] neg_hi:[0,0,1]
	v_pk_fma_f32 v[12:13], v[12:13], v[20:21], v[30:31] op_sel_hi:[1,0,1]
	s_waitcnt lgkmcnt(2)
	v_pk_mul_f32 v[20:21], v[14:15], v[26:27] op_sel:[1,1] op_sel_hi:[0,1]
	v_pk_fma_f32 v[30:31], v[14:15], v[26:27], v[20:21] neg_lo:[0,0,1] neg_hi:[0,0,1]
	v_pk_fma_f32 v[14:15], v[14:15], v[26:27], v[20:21] op_sel_hi:[1,0,1]
	v_mov_b32_e32 v43, v13
	v_mov_b32_e32 v31, v15
	s_waitcnt lgkmcnt(0)
	v_pk_mul_f32 v[14:15], v[38:39], v[28:29] op_sel:[1,1] op_sel_hi:[0,1]
	v_pk_add_f32 v[12:13], v[42:43], 0 op_sel_hi:[1,0]
	v_pk_fma_f32 v[20:21], v[38:39], v[28:29], v[14:15] neg_lo:[0,0,1] neg_hi:[0,0,1]
	v_pk_fma_f32 v[14:15], v[38:39], v[28:29], v[14:15] op_sel_hi:[1,0,1]
	v_pk_add_f32 v[12:13], v[12:13], v[30:31]
	v_mov_b32_e32 v21, v15
	v_pk_mul_f32 v[14:15], v[40:41], v[10:11] op_sel:[1,1] op_sel_hi:[0,1]
	v_pk_add_f32 v[12:13], v[12:13], v[20:21]
	v_pk_fma_f32 v[20:21], v[40:41], v[10:11], v[14:15] neg_lo:[0,0,1] neg_hi:[0,0,1]
	v_pk_fma_f32 v[10:11], v[40:41], v[10:11], v[14:15] op_sel_hi:[1,0,1]
	s_nop 0
	v_mov_b32_e32 v21, v11
	v_pk_add_f32 v[10:11], v[12:13], v[20:21]
	s_barrier
	ds_write_b64 v24, v[10:11]
	s_waitcnt lgkmcnt(0)
	s_barrier
	s_and_saveexec_b64 s[0:1], s[6:7]
	s_cbranch_execz .LBB119_65
; %bb.64:
	ds_read2_b64 v[10:13], v23 offset1:7
	ds_read2_b64 v[26:29], v23 offset0:1 offset1:2
	ds_read2_b64 v[36:39], v23 offset0:3 offset1:4
	s_waitcnt lgkmcnt(1)
	v_add_f32_e32 v1, v26, v10
	v_add_f32_e32 v3, v27, v11
	;; [unrolled: 1-line block ×4, first 2 shown]
	ds_read2_b64 v[26:29], v23 offset0:5 offset1:6
	s_waitcnt lgkmcnt(1)
	v_add_f32_e32 v1, v1, v36
	v_add_f32_e32 v3, v3, v37
	;; [unrolled: 1-line block ×4, first 2 shown]
	s_waitcnt lgkmcnt(0)
	v_add_f32_e32 v10, v1, v26
	v_add_f32_e32 v11, v3, v27
	v_pk_add_f32 v[10:11], v[10:11], v[28:29]
	s_nop 0
	v_pk_add_f32 v[36:37], v[10:11], v[12:13]
.LBB119_65:
	s_or_b64 exec, exec, s[0:1]
	s_lshl_b64 s[0:1], s[36:37], 3
	v_mov_b32_e32 v1, s1
	v_subrev_co_u32_e64 v20, s[0:1], s0, v4
	s_and_b64 vcc, exec, s[14:15]
	s_nop 0
	v_subb_co_u32_e64 v21, s[0:1], v5, v1, s[0:1]
	s_barrier
	s_cbranch_vccnz .LBB119_70
; %bb.66:
	s_lshl_b32 s0, s20, 3
	s_ashr_i32 s1, s0, 31
	s_ashr_i32 s21, s20, 31
	v_lshl_add_u64 v[4:5], s[0:1], 3, v[20:21]
	s_lshl_b64 s[0:1], s[20:21], 6
	v_lshl_add_u64 v[10:11], v[4:5], 0, s[0:1]
	v_lshl_add_u64 v[12:13], v[10:11], 0, s[0:1]
	global_load_dwordx2 v[14:15], v[20:21], off
	global_load_dwordx2 v[26:27], v[4:5], off
	;; [unrolled: 1-line block ×4, first 2 shown]
	s_movk_i32 s0, 0x108
	v_mov_b32_e32 v1, 0x840
	v_mov_b32_e32 v3, 0x1080
	;; [unrolled: 1-line block ×3, first 2 shown]
	v_mul_u32_u24_e32 v4, 0x108, v8
	v_add_u32_e32 v5, 8, v8
	v_add_u32_e32 v7, 16, v8
	;; [unrolled: 1-line block ×3, first 2 shown]
	v_mad_u32_u24 v12, v8, s0, v0
	v_mad_u32_u24 v1, v8, s0, v1
	;; [unrolled: 1-line block ×4, first 2 shown]
	v_add_u32_e32 v13, v0, v1
	v_add_u32_e32 v25, v0, v3
	;; [unrolled: 1-line block ×3, first 2 shown]
	s_waitcnt vmcnt(3)
	ds_write_b64 v12, v[14:15]
	s_waitcnt vmcnt(2)
	ds_write_b64 v13, v[26:27]
	;; [unrolled: 2-line block ×4, first 2 shown]
	s_cbranch_execz .LBB119_71
	s_branch .LBB119_86
.LBB119_67:
	ds_read_b64 v[12:13], v1
	v_lshl_add_u32 v7, v9, 3, v23
	s_waitcnt lgkmcnt(0)
	ds_write_b64 v7, v[12:13]
	s_or_b64 exec, exec, s[0:1]
	v_add_u32_e32 v3, v0, v3
	s_and_saveexec_b64 s[0:1], s[8:9]
	s_cbranch_execz .LBB119_60
.LBB119_68:
	ds_read_b64 v[12:13], v3
	v_lshl_add_u32 v7, v9, 3, v23
	s_waitcnt lgkmcnt(0)
	ds_write_b64 v7, v[12:13] offset:8
	s_or_b64 exec, exec, s[0:1]
	s_and_saveexec_b64 s[0:1], s[10:11]
	s_cbranch_execz .LBB119_61
.LBB119_69:
	ds_read_b64 v[12:13], v3 offset:264
	v_lshl_add_u32 v7, v9, 3, v23
	s_waitcnt lgkmcnt(0)
	ds_write_b64 v7, v[12:13] offset:16
	s_or_b64 exec, exec, s[0:1]
	s_and_saveexec_b64 s[0:1], s[12:13]
	s_cbranch_execnz .LBB119_62
	s_branch .LBB119_63
.LBB119_70:
                                        ; implicit-def: $vgpr4
                                        ; implicit-def: $vgpr5
                                        ; implicit-def: $vgpr1
                                        ; implicit-def: $vgpr7
                                        ; implicit-def: $vgpr3
                                        ; implicit-def: $vgpr10
                                        ; implicit-def: $vgpr11
.LBB119_71:
	v_or_b32_e32 v1, 32, v2
	v_sub_co_u32_e32 v2, vcc, v20, v0
	s_ashr_i32 s25, s24, 31
	s_nop 0
	v_subbrev_co_u32_e32 v3, vcc, 0, v21, vcc
	s_movk_i32 s0, 0xfef8
	v_lshl_add_u64 v[2:3], s[24:25], 3, v[2:3]
	s_mov_b32 s1, -1
	v_mov_b32_e32 v10, 0
	v_lshl_add_u64 v[2:3], v[2:3], 0, s[0:1]
	v_cmp_gt_i32_e32 vcc, s24, v1
	v_cmp_gt_i32_e64 s[0:1], s24, v8
	v_mov_b32_e32 v11, v10
	v_cndmask_b32_e32 v3, v3, v21, vcc
	v_cndmask_b32_e32 v2, v2, v20, vcc
	s_and_saveexec_b64 s[8:9], s[0:1]
	s_cbranch_execz .LBB119_73
; %bb.72:
	global_load_dwordx2 v[10:11], v[2:3], off
.LBB119_73:
	s_or_b64 exec, exec, s[8:9]
	s_movk_i32 s0, 0x108
	v_add_u32_e32 v5, 8, v8
	v_mul_u32_u24_e32 v4, 0x108, v8
	v_mad_u32_u24 v1, v8, s0, v0
	v_cmp_le_i32_e64 s[0:1], s24, v5
	s_waitcnt vmcnt(0)
	ds_write_b64 v1, v[10:11]
	s_and_saveexec_b64 s[8:9], s[0:1]
	s_xor_b64 s[0:1], exec, s[8:9]
; %bb.74:
	v_mov_b32_e32 v10, 0
	v_add_u32_e32 v1, v4, v0
	v_mov_b32_e32 v11, v10
	ds_write_b64 v1, v[10:11] offset:2112
; %bb.75:
	s_andn2_saveexec_b64 s[0:1], s[0:1]
	s_cbranch_execz .LBB119_77
; %bb.76:
	s_lshl_b32 s8, s20, 3
	s_ashr_i32 s9, s8, 31
	v_lshl_add_u64 v[10:11], s[8:9], 3, v[2:3]
	global_load_dwordx2 v[10:11], v[10:11], off
	v_add_u32_e32 v1, v4, v0
	s_waitcnt vmcnt(0)
	ds_write_b64 v1, v[10:11] offset:2112
.LBB119_77:
	s_or_b64 exec, exec, s[0:1]
	v_add_u32_e32 v7, 16, v8
	v_cmp_le_i32_e64 s[0:1], s24, v7
	s_and_saveexec_b64 s[8:9], s[0:1]
	s_xor_b64 s[0:1], exec, s[8:9]
; %bb.78:
	v_mov_b32_e32 v10, 0
	v_add_u32_e32 v1, v4, v0
	v_mov_b32_e32 v11, v10
	ds_write_b64 v1, v[10:11] offset:4224
; %bb.79:
	s_andn2_saveexec_b64 s[0:1], s[0:1]
	s_cbranch_execz .LBB119_81
; %bb.80:
	s_lshl_b32 s8, s20, 4
	s_ashr_i32 s9, s8, 31
	v_lshl_add_u64 v[10:11], s[8:9], 3, v[2:3]
	global_load_dwordx2 v[10:11], v[10:11], off
	v_add_u32_e32 v1, v4, v0
	s_waitcnt vmcnt(0)
	ds_write_b64 v1, v[10:11] offset:4224
.LBB119_81:
	s_or_b64 exec, exec, s[0:1]
	v_add_u32_e32 v10, 24, v8
	v_cmp_le_i32_e64 s[0:1], s24, v10
                                        ; implicit-def: $vgpr11
	s_and_saveexec_b64 s[8:9], s[0:1]
	s_xor_b64 s[0:1], exec, s[8:9]
; %bb.82:
	v_add_u32_e32 v11, 0x18c0, v4
	v_mov_b32_e32 v12, 0
	v_add_u32_e32 v1, v0, v11
	v_mov_b32_e32 v13, v12
	ds_write_b64 v1, v[12:13]
; %bb.83:
	s_andn2_saveexec_b64 s[0:1], s[0:1]
	s_cbranch_execz .LBB119_85
; %bb.84:
	s_mul_i32 s8, s20, 24
	s_ashr_i32 s9, s8, 31
	v_lshl_add_u64 v[12:13], s[8:9], 3, v[2:3]
	global_load_dwordx2 v[12:13], v[12:13], off
	v_add_u32_e32 v11, 0x18c0, v4
	v_add_u32_e32 v1, v0, v11
	s_waitcnt vmcnt(0)
	ds_write_b64 v1, v[12:13]
.LBB119_85:
	s_or_b64 exec, exec, s[0:1]
	v_mov_b32_e32 v1, 0
	v_lshl_add_u64 v[2:3], v[2:3], 0, v[0:1]
	s_lshl_b64 s[0:1], s[24:25], 3
	v_mov_b32_e32 v1, s1
	v_subrev_co_u32_e64 v2, s[0:1], s0, v2
	s_nop 1
	v_subb_co_u32_e64 v3, s[0:1], v3, v1, s[0:1]
	s_mov_b64 s[0:1], 0x108
	s_nop 0
	v_lshl_add_u64 v[2:3], v[2:3], 0, s[0:1]
	v_cndmask_b32_e32 v21, v3, v21, vcc
	v_cndmask_b32_e32 v20, v2, v20, vcc
	v_add_u32_e32 v1, 0x840, v4
	v_add_u32_e32 v3, 0x1080, v4
.LBB119_86:
	v_add_u32_e32 v25, v0, v4
	v_add_u32_e32 v28, v0, v1
	v_lshlrev_b32_e32 v30, 3, v5
	v_add_u32_e32 v40, v0, v3
	v_lshlrev_b32_e32 v46, 3, v7
	v_add_u32_e32 v42, v0, v11
	v_lshlrev_b32_e32 v44, 3, v10
	v_lshl_add_u32 v0, v9, 3, v23
	s_waitcnt lgkmcnt(0)
	s_barrier
	v_lshlrev_b32_e32 v35, 3, v8
	ds_read2_b64 v[8:11], v0 offset1:1
	ds_read2_b64 v[0:3], v0 offset0:2 offset1:3
	ds_read_b128 v[12:15], v6 offset:256
	ds_read_b128 v[4:7], v6 offset:272
	ds_read_b64 v[26:27], v25
	ds_read_b64 v[28:29], v28
	ds_read_b64 v[30:31], v30 offset:9088
	ds_read_b64 v[38:39], v35 offset:9088
	ds_read_b64 v[40:41], v40
	ds_read2_b32 v[42:43], v42 offset1:1
	ds_read_b64 v[44:45], v44 offset:9088
	ds_read_b64 v[46:47], v46 offset:9088
	s_waitcnt lgkmcnt(4)
	v_pk_mul_f32 v[48:49], v[38:39], v[26:27] op_sel:[1,1] op_sel_hi:[0,1]
	v_pk_fma_f32 v[50:51], v[38:39], v[26:27], v[48:49] neg_lo:[0,0,1] neg_hi:[0,0,1]
	v_pk_fma_f32 v[26:27], v[38:39], v[26:27], v[48:49] op_sel_hi:[1,0,1]
	v_pk_mul_f32 v[38:39], v[30:31], v[28:29] op_sel:[1,1] op_sel_hi:[0,1]
	v_pk_fma_f32 v[48:49], v[30:31], v[28:29], v[38:39] neg_lo:[0,0,1] neg_hi:[0,0,1]
	v_pk_fma_f32 v[28:29], v[30:31], v[28:29], v[38:39] op_sel_hi:[1,0,1]
	v_mov_b32_e32 v51, v27
	v_mov_b32_e32 v49, v29
	s_waitcnt lgkmcnt(0)
	v_pk_mul_f32 v[28:29], v[46:47], v[40:41] op_sel:[1,1] op_sel_hi:[0,1]
	v_pk_add_f32 v[26:27], v[50:51], 0 op_sel_hi:[1,0]
	v_pk_fma_f32 v[30:31], v[46:47], v[40:41], v[28:29] neg_lo:[0,0,1] neg_hi:[0,0,1]
	v_pk_fma_f32 v[28:29], v[46:47], v[40:41], v[28:29] op_sel_hi:[1,0,1]
	v_pk_add_f32 v[26:27], v[26:27], v[48:49]
	v_mov_b32_e32 v31, v29
	v_pk_mul_f32 v[28:29], v[44:45], v[42:43] op_sel:[1,1] op_sel_hi:[0,1]
	v_pk_add_f32 v[26:27], v[26:27], v[30:31]
	v_pk_fma_f32 v[30:31], v[44:45], v[42:43], v[28:29] neg_lo:[0,0,1] neg_hi:[0,0,1]
	v_pk_fma_f32 v[28:29], v[44:45], v[42:43], v[28:29] op_sel_hi:[1,0,1]
	s_nop 0
	v_mov_b32_e32 v31, v29
	v_pk_add_f32 v[26:27], v[26:27], v[30:31]
	s_barrier
	ds_write_b64 v24, v[26:27]
	s_waitcnt lgkmcnt(0)
	s_barrier
	s_and_saveexec_b64 s[0:1], s[6:7]
	s_cbranch_execz .LBB119_88
; %bb.87:
	ds_read2_b64 v[26:29], v23 offset1:1
	ds_read2_b64 v[38:41], v23 offset0:2 offset1:3
	ds_read2_b64 v[42:45], v23 offset0:4 offset1:5
	s_waitcnt lgkmcnt(2)
	v_pk_add_f32 v[26:27], v[36:37], v[26:27]
	s_nop 0
	v_pk_add_f32 v[30:31], v[26:27], v[28:29]
	ds_read2_b64 v[26:29], v23 offset0:6 offset1:7
	s_waitcnt lgkmcnt(2)
	v_pk_add_f32 v[30:31], v[30:31], v[38:39]
	s_nop 0
	v_pk_add_f32 v[30:31], v[30:31], v[40:41]
	s_waitcnt lgkmcnt(1)
	v_pk_add_f32 v[30:31], v[30:31], v[42:43]
	s_nop 0
	v_pk_add_f32 v[30:31], v[30:31], v[44:45]
	;; [unrolled: 4-line block ×3, first 2 shown]
.LBB119_88:
	s_or_b64 exec, exec, s[0:1]
	v_pk_mul_f32 v[26:27], v[12:13], v[8:9] op_sel:[1,1] op_sel_hi:[0,1]
	v_pk_fma_f32 v[28:29], v[12:13], v[8:9], v[26:27] neg_lo:[0,0,1] neg_hi:[0,0,1]
	v_pk_fma_f32 v[8:9], v[12:13], v[8:9], v[26:27] op_sel_hi:[1,0,1]
	v_mov_b32_e32 v12, v11
	v_pk_mul_f32 v[12:13], v[14:15], v[12:13] op_sel:[1,0] op_sel_hi:[0,0]
	v_pk_fma_f32 v[26:27], v[14:15], v[10:11], v[12:13] neg_lo:[0,0,1] neg_hi:[0,0,1]
	v_pk_fma_f32 v[10:11], v[14:15], v[10:11], v[12:13] op_sel_hi:[1,0,1]
	v_mov_b32_e32 v29, v9
	v_mov_b32_e32 v27, v11
	v_pk_mul_f32 v[10:11], v[4:5], v[0:1] op_sel:[1,1] op_sel_hi:[0,1]
	v_pk_add_f32 v[8:9], v[28:29], 0 op_sel_hi:[1,0]
	v_pk_fma_f32 v[12:13], v[4:5], v[0:1], v[10:11] neg_lo:[0,0,1] neg_hi:[0,0,1]
	v_pk_fma_f32 v[0:1], v[4:5], v[0:1], v[10:11] op_sel_hi:[1,0,1]
	v_mov_b32_e32 v4, v3
	v_pk_add_f32 v[8:9], v[8:9], v[26:27]
	v_mov_b32_e32 v13, v1
	v_pk_mul_f32 v[4:5], v[6:7], v[4:5] op_sel:[1,0] op_sel_hi:[0,0]
	v_pk_add_f32 v[0:1], v[8:9], v[12:13]
	v_pk_fma_f32 v[8:9], v[6:7], v[2:3], v[4:5] neg_lo:[0,0,1] neg_hi:[0,0,1]
	v_pk_fma_f32 v[2:3], v[6:7], v[2:3], v[4:5] op_sel_hi:[1,0,1]
	s_nop 0
	v_mov_b32_e32 v9, v3
	v_pk_add_f32 v[0:1], v[0:1], v[8:9]
	s_barrier
	ds_write_b64 v24, v[0:1]
	s_waitcnt lgkmcnt(0)
	s_barrier
	s_and_saveexec_b64 s[0:1], s[4:5]
	s_cbranch_execz .LBB119_90
; %bb.89:
	ds_read2_b64 v[0:3], v23 offset1:1
	ds_read2_b64 v[4:7], v23 offset0:2 offset1:3
	ds_read2_b64 v[8:11], v23 offset0:4 offset1:5
	s_waitcnt lgkmcnt(2)
	v_pk_add_f32 v[0:1], v[36:37], v[0:1]
	s_nop 0
	v_pk_add_f32 v[12:13], v[0:1], v[2:3]
	ds_read2_b64 v[0:3], v23 offset0:6 offset1:7
	s_waitcnt lgkmcnt(2)
	v_pk_add_f32 v[4:5], v[12:13], v[4:5]
	s_nop 0
	v_pk_add_f32 v[4:5], v[4:5], v[6:7]
	s_waitcnt lgkmcnt(1)
	v_pk_add_f32 v[4:5], v[4:5], v[8:9]
	s_nop 0
	v_pk_add_f32 v[4:5], v[4:5], v[10:11]
	;; [unrolled: 4-line block ×3, first 2 shown]
.LBB119_90:
	s_or_b64 exec, exec, s[0:1]
	s_mul_hi_u32 s0, s38, s3
	s_mul_i32 s40, s40, s3
	s_add_i32 s0, s0, s40
	s_mul_i32 s3, s38, s3
	s_mul_i32 s0, s0, s39
	s_mul_hi_u32 s1, s3, s39
	s_add_i32 s1, s1, s0
	s_mul_i32 s0, s3, s39
	s_lshl_b64 s[0:1], s[0:1], 3
	s_add_u32 s3, s22, s0
	s_mul_i32 s0, s38, s2
	s_addc_u32 s4, s23, s1
	s_ashr_i32 s1, s0, 31
	s_lshl_b64 s[0:1], s[0:1], 3
	s_add_u32 s6, s3, s0
	v_cmp_le_i32_e32 vcc, s24, v34
	s_addc_u32 s7, s4, s1
	s_and_b64 vcc, s[30:31], vcc
	s_cmp_lt_i32 s2, 1
	v_lshlrev_b32_e32 v74, 3, v34
	s_barrier
	s_cbranch_scc1 .LBB119_97
; %bb.91:
	s_mul_i32 s0, s33, s26
	s_ashr_i32 s1, s0, 31
	s_lshl_b64 s[0:1], s[0:1], 3
	v_mov_b32_e32 v0, s1
	v_subrev_co_u32_e64 v38, s[0:1], s0, v16
	s_ashr_i32 s25, s24, 31
	s_nop 0
	v_subb_co_u32_e64 v39, s[0:1], v17, v0, s[0:1]
	s_lshl_b64 s[0:1], s[28:29], 3
	s_nop 0
	v_mov_b32_e32 v0, s1
	v_subrev_co_u32_e64 v2, s[0:1], s0, v20
	v_lshrrev_b32_e32 v4, 4, v22
	s_nop 0
	v_subb_co_u32_e64 v3, s[0:1], v21, v0, s[0:1]
	v_lshlrev_b64 v[0:1], 3, v[18:19]
	v_sub_co_u32_e64 v0, s[0:1], v2, v0
	v_mul_lo_u32 v2, v33, s20
	s_nop 0
	v_subb_co_u32_e64 v1, s[0:1], v3, v1, s[0:1]
	v_lshl_add_u32 v2, v2, 2, v34
	v_ashrrev_i32_e32 v3, 31, v2
	s_movk_i32 s0, 0xff00
	v_lshl_add_u64 v[0:1], v[2:3], 3, v[0:1]
	s_mov_b32 s1, -1
	v_lshl_add_u64 v[2:3], v[0:1], 0, s[0:1]
	v_sub_co_u32_e64 v0, s[0:1], v0, v74
	v_and_b32_e32 v5, 15, v34
	s_nop 0
	v_subbrev_co_u32_e64 v1, s[0:1], 0, v1, s[0:1]
	s_movk_i32 s0, 0xfef8
	v_lshl_add_u64 v[0:1], s[24:25], 3, v[0:1]
	s_mov_b32 s1, -1
	v_lshl_add_u64 v[0:1], v[0:1], 0, s[0:1]
	v_cndmask_b32_e32 v41, v3, v1, vcc
	v_cndmask_b32_e32 v40, v2, v0, vcc
	v_mov_b32_e32 v0, 0x2180
	s_movk_i32 s0, 0x860
	v_and_b32_e32 v1, 48, v34
	v_lshl_add_u32 v76, v33, 5, v0
	v_mad_u32_u24 v78, v33, s0, v74
	v_lshlrev_b32_e32 v0, 5, v4
	s_movk_i32 s0, 0x218
	v_lshlrev_b32_e32 v1, 3, v1
	v_mad_u32_u24 v79, v5, s0, v0
	v_mul_i32_i24_e32 v0, 0xffffffe8, v4
	v_mad_u32_u24 v80, v5, s0, v1
	v_or_b32_e32 v1, 0x78, v74
	s_ashr_i32 s21, s20, 31
	v_mov_b32_e32 v35, 0
	s_lshl_b32 s3, s33, 6
	v_add_u32_e32 v75, 0x2180, v74
	v_add_u32_e32 v77, 0x2380, v74
	v_cmp_gt_u32_e64 s[4:5], 64, v22
	v_mad_u32_u24 v81, v5, s0, v1
	s_lshl_b64 s[0:1], s[20:21], 3
	s_lshl_b64 s[8:9], s[20:21], 9
	;; [unrolled: 1-line block ×3, first 2 shown]
	s_mul_hi_i32 s13, s20, 24
	s_mul_i32 s12, s20, 24
	s_mul_hi_i32 s15, s20, 0x90
	s_mul_i32 s14, s20, 0x90
	;; [unrolled: 2-line block ×10, first 2 shown]
	s_lshl_b64 s[40:41], s[20:21], 8
	s_mul_hi_i32 s43, s20, 0x88
	s_mul_i32 s42, s20, 0x88
	s_lshl_b64 s[20:21], s[20:21], 7
	s_mov_b32 s44, 0
	v_add_u32_e32 v82, v79, v0
	s_branch .LBB119_93
.LBB119_92:                             ;   in Loop: Header=BB119_93 Depth=1
	s_or_b64 exec, exec, s[46:47]
	v_mul_f32_e32 v83, v5, v49
	v_mul_f32_e32 v5, v5, v48
	v_fma_f32 v83, v4, v48, -v83
	v_mul_f32_e32 v48, v7, v47
	v_mul_f32_e32 v7, v7, v46
	v_fmac_f32_e32 v5, v4, v49
	v_fma_f32 v48, v6, v46, -v48
	v_mul_f32_e32 v46, v1, v45
	v_mul_f32_e32 v1, v1, v44
	v_add_f32_e32 v4, v37, v5
	v_fmac_f32_e32 v7, v6, v47
	v_add_f32_e32 v36, v36, v83
	v_fma_f32 v46, v0, v44, -v46
	v_mul_f32_e32 v44, v3, v43
	v_mul_f32_e32 v3, v3, v42
	v_add_f32_e32 v4, v4, v7
	v_fmac_f32_e32 v1, v0, v45
	v_add_f32_e32 v36, v36, v48
	v_add_f32_e32 v0, v4, v1
	v_fmac_f32_e32 v3, v2, v43
	v_add_f32_e32 v36, v36, v46
	v_fma_f32 v44, v2, v42, -v44
	v_add_f32_e32 v1, v0, v3
	v_mul_f32_e32 v0, v13, v57
	v_add_f32_e32 v36, v36, v44
	v_fma_f32 v0, v12, v56, -v0
	v_mul_f32_e32 v6, v13, v56
	v_mul_f32_e32 v2, v15, v55
	v_add_f32_e32 v0, v36, v0
	v_fma_f32 v2, v14, v54, -v2
	v_mul_f32_e32 v7, v15, v54
	v_fmac_f32_e32 v6, v12, v57
	v_add_f32_e32 v0, v0, v2
	v_mul_f32_e32 v2, v9, v51
	v_mul_f32_e32 v3, v9, v50
	v_add_f32_e32 v1, v1, v6
	v_fmac_f32_e32 v7, v14, v55
	v_fma_f32 v2, v8, v50, -v2
	v_add_f32_e32 v1, v1, v7
	v_fmac_f32_e32 v3, v8, v51
	v_mul_f32_e32 v4, v11, v53
	v_mul_f32_e32 v5, v11, v52
	v_pk_add_f32 v[0:1], v[0:1], v[2:3]
	v_mov_b32_e32 v2, v65
	v_fma_f32 v4, v10, v52, -v4
	v_fmac_f32_e32 v5, v10, v53
	v_pk_mul_f32 v[2:3], v[16:17], v[2:3] op_sel:[1,0] op_sel_hi:[0,0]
	v_pk_add_f32 v[0:1], v[0:1], v[4:5]
	v_pk_fma_f32 v[4:5], v[16:17], v[64:65], v[2:3] neg_lo:[0,0,1] neg_hi:[0,0,1]
	v_pk_fma_f32 v[2:3], v[16:17], v[64:65], v[2:3] op_sel_hi:[1,0,1]
	s_add_i32 s2, s2, -1
	v_mov_b32_e32 v2, v63
	v_mov_b32_e32 v5, v3
	v_pk_mul_f32 v[2:3], v[18:19], v[2:3] op_sel:[1,0] op_sel_hi:[0,0]
	v_pk_add_f32 v[0:1], v[0:1], v[4:5]
	v_pk_fma_f32 v[4:5], v[18:19], v[62:63], v[2:3] neg_lo:[0,0,1] neg_hi:[0,0,1]
	v_pk_fma_f32 v[2:3], v[18:19], v[62:63], v[2:3] op_sel_hi:[1,0,1]
	s_add_i32 s44, s44, s3
	v_mov_b32_e32 v2, v61
	v_mov_b32_e32 v5, v3
	v_pk_mul_f32 v[2:3], v[20:21], v[2:3] op_sel:[1,0] op_sel_hi:[0,0]
	v_pk_add_f32 v[0:1], v[0:1], v[4:5]
	v_pk_fma_f32 v[4:5], v[20:21], v[60:61], v[2:3] neg_lo:[0,0,1] neg_hi:[0,0,1]
	v_pk_fma_f32 v[2:3], v[20:21], v[60:61], v[2:3] op_sel_hi:[1,0,1]
	v_lshl_add_u64 v[40:41], v[40:41], 0, s[8:9]
	v_mov_b32_e32 v2, v59
	v_mov_b32_e32 v5, v3
	v_pk_mul_f32 v[2:3], v[22:23], v[2:3] op_sel:[1,0] op_sel_hi:[0,0]
	v_pk_add_f32 v[0:1], v[0:1], v[4:5]
	v_pk_fma_f32 v[4:5], v[22:23], v[58:59], v[2:3] neg_lo:[0,0,1] neg_hi:[0,0,1]
	v_pk_fma_f32 v[2:3], v[22:23], v[58:59], v[2:3] op_sel_hi:[1,0,1]
	s_cmp_eq_u32 s2, 0
	v_mov_b32_e32 v2, v73
	v_mov_b32_e32 v5, v3
	v_pk_mul_f32 v[2:3], v[24:25], v[2:3] op_sel:[1,0] op_sel_hi:[0,0]
	v_pk_add_f32 v[0:1], v[0:1], v[4:5]
	v_pk_fma_f32 v[4:5], v[24:25], v[72:73], v[2:3] neg_lo:[0,0,1] neg_hi:[0,0,1]
	v_pk_fma_f32 v[2:3], v[24:25], v[72:73], v[2:3] op_sel_hi:[1,0,1]
	v_add_u32_e32 v34, 64, v34
	v_mov_b32_e32 v2, v71
	v_mov_b32_e32 v5, v3
	v_pk_mul_f32 v[2:3], v[26:27], v[2:3] op_sel:[1,0] op_sel_hi:[0,0]
	v_pk_fma_f32 v[6:7], v[26:27], v[70:71], v[2:3] neg_lo:[0,0,1] neg_hi:[0,0,1]
	v_pk_fma_f32 v[2:3], v[26:27], v[70:71], v[2:3] op_sel_hi:[1,0,1]
	v_pk_add_f32 v[0:1], v[0:1], v[4:5]
	v_mov_b32_e32 v2, v69
	v_mov_b32_e32 v7, v3
	v_pk_mul_f32 v[2:3], v[28:29], v[2:3] op_sel:[1,0] op_sel_hi:[0,0]
	v_pk_fma_f32 v[8:9], v[28:29], v[68:69], v[2:3] neg_lo:[0,0,1] neg_hi:[0,0,1]
	v_pk_fma_f32 v[2:3], v[28:29], v[68:69], v[2:3] op_sel_hi:[1,0,1]
	v_pk_add_f32 v[0:1], v[0:1], v[6:7]
	;; [unrolled: 6-line block ×3, first 2 shown]
	v_mov_b32_e32 v11, v3
	v_pk_add_f32 v[36:37], v[0:1], v[10:11]
	s_barrier
	s_cbranch_scc1 .LBB119_97
.LBB119_93:                             ; =>This Inner Loop Header: Depth=1
	s_and_saveexec_b64 s[46:47], s[18:19]
	s_cbranch_execz .LBB119_95
; %bb.94:                               ;   in Loop: Header=BB119_93 Depth=1
	s_ashr_i32 s45, s44, 31
	v_lshl_add_u64 v[0:1], s[44:45], 3, v[38:39]
	global_load_dwordx2 v[0:1], v[0:1], off
	s_waitcnt vmcnt(0)
	ds_write_b64 v75, v[0:1]
.LBB119_95:                             ;   in Loop: Header=BB119_93 Depth=1
	s_or_b64 exec, exec, s[46:47]
	v_lshl_add_u64 v[0:1], v[40:41], 0, s[0:1]
	s_waitcnt lgkmcnt(0)
	s_barrier
	global_load_dwordx2 v[48:49], v[40:41], off
	global_load_dwordx2 v[46:47], v[0:1], off
	v_lshl_add_u64 v[0:1], v[40:41], 0, s[10:11]
	global_load_dwordx2 v[44:45], v[0:1], off
	v_lshl_add_u64 v[0:1], v[40:41], 0, s[12:13]
	global_load_dwordx2 v[42:43], v[0:1], off
	ds_read_b64 v[8:9], v77
	ds_read_b128 v[4:7], v76
	ds_read_b128 v[0:3], v76 offset:16
	v_lshl_add_u64 v[10:11], v[40:41], 0, s[20:21]
	v_lshl_add_u64 v[68:69], v[40:41], 0, s[36:37]
	s_waitcnt vmcnt(3) lgkmcnt(2)
	v_mul_f32_e32 v12, v9, v49
	v_mul_f32_e32 v13, v9, v48
	s_waitcnt vmcnt(2)
	v_mul_f32_e32 v14, v9, v47
	v_mul_f32_e32 v15, v9, v46
	s_waitcnt vmcnt(1)
	;; [unrolled: 3-line block ×3, first 2 shown]
	v_mul_f32_e32 v18, v9, v43
	v_mul_f32_e32 v19, v8, v43
	v_fma_f32 v12, v8, v48, -v12
	v_fmac_f32_e32 v13, v8, v49
	v_fma_f32 v14, v8, v46, -v14
	v_fmac_f32_e32 v15, v8, v47
	;; [unrolled: 2-line block ×4, first 2 shown]
	v_lshl_add_u64 v[8:9], v[40:41], 0, s[42:43]
	ds_write2_b64 v78, v[12:13], v[14:15] offset1:67
	ds_write2_b64 v78, v[16:17], v[18:19] offset0:134 offset1:201
	s_waitcnt lgkmcnt(0)
	s_barrier
	ds_read2_b64 v[24:27], v79 offset1:1
	ds_read2_b64 v[28:31], v79 offset0:2 offset1:3
	s_waitcnt lgkmcnt(0)
	s_barrier
	global_load_dwordx2 v[56:57], v[10:11], off
	global_load_dwordx2 v[54:55], v[8:9], off
	v_lshl_add_u64 v[8:9], v[40:41], 0, s[14:15]
	global_load_dwordx2 v[50:51], v[8:9], off
	v_lshl_add_u64 v[8:9], v[40:41], 0, s[22:23]
	global_load_dwordx2 v[52:53], v[8:9], off
	ds_read_b64 v[16:17], v77
	v_lshl_add_u64 v[18:19], v[40:41], 0, s[40:41]
	ds_read_b128 v[12:15], v76 offset:128
	ds_read_b128 v[8:11], v76 offset:144
	v_pk_add_f32 v[24:25], v[24:25], 0 op_sel_hi:[1,0]
	s_waitcnt vmcnt(3) lgkmcnt(2)
	v_mul_f32_e32 v20, v17, v57
	v_mul_f32_e32 v21, v17, v56
	s_waitcnt vmcnt(2)
	v_mul_f32_e32 v22, v17, v55
	v_mul_f32_e32 v23, v17, v54
	s_waitcnt vmcnt(1)
	;; [unrolled: 3-line block ×3, first 2 shown]
	v_mul_f32_e32 v60, v17, v53
	v_mul_f32_e32 v61, v16, v53
	v_fma_f32 v20, v16, v56, -v20
	v_fmac_f32_e32 v21, v16, v57
	v_fma_f32 v22, v16, v54, -v22
	v_fmac_f32_e32 v23, v16, v55
	;; [unrolled: 2-line block ×4, first 2 shown]
	v_lshl_add_u64 v[16:17], v[40:41], 0, s[38:39]
	ds_write2_b64 v78, v[20:21], v[22:23] offset1:67
	ds_write2_b64 v78, v[58:59], v[60:61] offset0:134 offset1:201
	s_waitcnt lgkmcnt(0)
	s_barrier
	ds_read2_b64 v[84:87], v79 offset1:1
	ds_read2_b64 v[88:91], v79 offset0:2 offset1:3
	s_waitcnt lgkmcnt(0)
	s_barrier
	global_load_dwordx2 v[64:65], v[18:19], off
	global_load_dwordx2 v[62:63], v[16:17], off
	v_lshl_add_u64 v[16:17], v[40:41], 0, s[24:25]
	global_load_dwordx2 v[60:61], v[16:17], off
	v_lshl_add_u64 v[16:17], v[40:41], 0, s[26:27]
	global_load_dwordx2 v[58:59], v[16:17], off
	ds_read_b64 v[66:67], v77
	ds_read_b128 v[16:19], v76 offset:256
	ds_read_b128 v[20:23], v76 offset:272
	v_pk_add_f32 v[24:25], v[24:25], v[26:27]
	s_waitcnt vmcnt(3) lgkmcnt(2)
	v_mul_f32_e32 v70, v67, v65
	v_mul_f32_e32 v71, v67, v64
	s_waitcnt vmcnt(2)
	v_mul_f32_e32 v72, v67, v63
	v_mul_f32_e32 v73, v67, v62
	s_waitcnt vmcnt(1)
	;; [unrolled: 3-line block ×3, first 2 shown]
	v_mul_f32_e32 v94, v67, v59
	v_mul_f32_e32 v95, v66, v59
	v_fma_f32 v70, v66, v64, -v70
	v_fma_f32 v72, v66, v62, -v72
	;; [unrolled: 1-line block ×4, first 2 shown]
	v_fmac_f32_e32 v71, v66, v65
	v_fmac_f32_e32 v73, v66, v63
	;; [unrolled: 1-line block ×4, first 2 shown]
	v_lshl_add_u64 v[66:67], v[40:41], 0, s[34:35]
	ds_write2_b64 v78, v[70:71], v[72:73] offset1:67
	ds_write2_b64 v78, v[92:93], v[94:95] offset0:134 offset1:201
	s_waitcnt lgkmcnt(0)
	s_barrier
	ds_read2_b64 v[92:95], v79 offset1:1
	ds_read2_b64 v[96:99], v79 offset0:2 offset1:3
	s_waitcnt lgkmcnt(0)
	s_barrier
	global_load_dwordx2 v[72:73], v[68:69], off
	global_load_dwordx2 v[70:71], v[66:67], off
	v_lshl_add_u64 v[66:67], v[40:41], 0, s[28:29]
	global_load_dwordx2 v[68:69], v[66:67], off
	v_lshl_add_u64 v[66:67], v[40:41], 0, s[30:31]
	global_load_dwordx2 v[66:67], v[66:67], off
	v_pk_add_f32 v[24:25], v[24:25], v[28:29]
	s_nop 0
	v_pk_add_f32 v[100:101], v[24:25], v[30:31]
	v_pk_add_f32 v[24:25], v[84:85], 0 op_sel_hi:[1,0]
	s_nop 0
	v_pk_add_f32 v[24:25], v[24:25], v[86:87]
	v_pk_add_f32 v[86:87], v[92:93], 0 op_sel_hi:[1,0]
	v_pk_add_f32 v[24:25], v[24:25], v[88:89]
	v_pk_add_f32 v[86:87], v[86:87], v[94:95]
	;; [unrolled: 1-line block ×3, first 2 shown]
	ds_read_b64 v[84:85], v77
	ds_read_b128 v[24:27], v76 offset:384
	ds_read_b128 v[28:31], v76 offset:400
	v_pk_add_f32 v[86:87], v[86:87], v[96:97]
	s_waitcnt vmcnt(3) lgkmcnt(2)
	v_mul_f32_e32 v83, v85, v73
	v_pk_add_f32 v[92:93], v[86:87], v[98:99]
	v_mul_f32_e32 v87, v85, v72
	s_waitcnt vmcnt(2)
	v_mul_f32_e32 v88, v85, v71
	v_mul_f32_e32 v89, v85, v70
	s_waitcnt vmcnt(1)
	v_mul_f32_e32 v90, v85, v69
	;; [unrolled: 3-line block ×3, first 2 shown]
	v_mul_f32_e32 v95, v84, v67
	v_fma_f32 v86, v84, v72, -v83
	v_fma_f32 v88, v84, v70, -v88
	v_fmac_f32_e32 v87, v84, v73
	v_fmac_f32_e32 v89, v84, v71
	v_fma_f32 v90, v84, v68, -v90
	v_fmac_f32_e32 v91, v84, v69
	v_fma_f32 v94, v84, v66, -v94
	v_fmac_f32_e32 v95, v85, v66
	ds_write2_b64 v78, v[86:87], v[88:89] offset1:67
	ds_write2_b64 v78, v[90:91], v[94:95] offset0:134 offset1:201
	s_waitcnt lgkmcnt(0)
	s_barrier
	ds_read2_b64 v[84:87], v79 offset1:1
	ds_read2_b64 v[88:91], v79 offset0:2 offset1:3
	s_waitcnt lgkmcnt(0)
	s_barrier
	v_pk_add_f32 v[84:85], v[84:85], 0 op_sel_hi:[1,0]
	ds_write2_b64 v82, v[100:101], v[102:103] offset1:16
	v_pk_add_f32 v[84:85], v[84:85], v[86:87]
	s_nop 0
	v_pk_add_f32 v[84:85], v[84:85], v[88:89]
	s_nop 0
	v_pk_add_f32 v[84:85], v[84:85], v[90:91]
	ds_write2_b64 v82, v[92:93], v[84:85] offset0:32 offset1:48
	s_waitcnt lgkmcnt(0)
	s_barrier
	s_and_saveexec_b64 s[46:47], s[4:5]
	s_cbranch_execz .LBB119_92
; %bb.96:                               ;   in Loop: Header=BB119_93 Depth=1
	ds_read_b64 v[92:93], v80
	ds_read2_b64 v[84:87], v80 offset0:1 offset1:2
	ds_read2_b64 v[88:91], v80 offset0:3 offset1:4
	v_lshl_add_u64 v[96:97], v[34:35], 3, s[6:7]
	s_waitcnt lgkmcnt(1)
	v_add_f32_e32 v83, v84, v92
	v_add_f32_e32 v84, v85, v93
	;; [unrolled: 1-line block ×4, first 2 shown]
	ds_read2_b64 v[84:87], v80 offset0:5 offset1:6
	s_waitcnt lgkmcnt(1)
	v_add_f32_e32 v83, v83, v88
	v_add_f32_e32 v88, v92, v89
	;; [unrolled: 1-line block ×4, first 2 shown]
	ds_read2_b64 v[88:91], v80 offset0:7 offset1:8
	s_waitcnt lgkmcnt(1)
	v_pk_add_f32 v[84:85], v[92:93], v[84:85]
	ds_read2_b64 v[92:95], v80 offset0:9 offset1:10
	v_pk_add_f32 v[84:85], v[84:85], v[86:87]
	s_waitcnt lgkmcnt(1)
	v_pk_add_f32 v[84:85], v[84:85], v[88:89]
	s_nop 0
	v_pk_add_f32 v[88:89], v[84:85], v[90:91]
	ds_read2_b64 v[84:87], v80 offset0:11 offset1:12
	s_waitcnt lgkmcnt(1)
	v_pk_add_f32 v[92:93], v[88:89], v[92:93]
	ds_read2_b64 v[88:91], v80 offset0:13 offset1:14
	v_pk_add_f32 v[92:93], v[92:93], v[94:95]
	ds_read_b64 v[94:95], v81
	s_waitcnt lgkmcnt(2)
	v_pk_add_f32 v[84:85], v[92:93], v[84:85]
	s_nop 0
	v_pk_add_f32 v[84:85], v[84:85], v[86:87]
	s_waitcnt lgkmcnt(1)
	v_pk_add_f32 v[84:85], v[84:85], v[88:89]
	s_nop 0
	v_pk_add_f32 v[84:85], v[84:85], v[90:91]
	s_waitcnt lgkmcnt(0)
	v_pk_add_f32 v[84:85], v[84:85], v[94:95]
	global_store_dwordx2 v[96:97], v[84:85], off
	s_branch .LBB119_92
.LBB119_97:
	s_movk_i32 s0, 0x218
	v_mad_u32_u24 v0, v33, s0, v74
	s_nor_b64 s[0:1], s[16:17], vcc
	ds_write_b64 v0, v[36:37]
	s_waitcnt lgkmcnt(0)
	s_barrier
	s_and_saveexec_b64 s[2:3], s[0:1]
	s_cbranch_execz .LBB119_99
; %bb.98:
	ds_read2_b64 v[0:3], v74 offset1:67
	ds_read2_b64 v[4:7], v74 offset0:134 offset1:201
	v_ashrrev_i32_e32 v33, 31, v32
	v_lshl_add_u64 v[8:9], v[32:33], 3, s[6:7]
	s_waitcnt lgkmcnt(1)
	v_pk_add_f32 v[0:1], v[2:3], v[0:1]
	s_waitcnt lgkmcnt(0)
	v_pk_add_f32 v[0:1], v[4:5], v[0:1]
	s_nop 0
	v_pk_add_f32 v[0:1], v[0:1], v[6:7]
	global_store_dwordx2 v[8:9], v[0:1], off
.LBB119_99:
	s_endpgm
	.section	.rodata,"a",@progbits
	.p2align	6, 0x0
	.amdhsa_kernel _ZL26rocblas_hemvn_kernel_lowerILb0ELi64ELi4ELi33ELi32ELi16EiPK19rocblas_complex_numIfES3_PS1_EviT6_lT7_lT5_lS6_lS7_lS5_lT8_i
		.amdhsa_group_segment_fixed_size 9600
		.amdhsa_private_segment_fixed_size 0
		.amdhsa_kernarg_size 376
		.amdhsa_user_sgpr_count 2
		.amdhsa_user_sgpr_dispatch_ptr 0
		.amdhsa_user_sgpr_queue_ptr 0
		.amdhsa_user_sgpr_kernarg_segment_ptr 1
		.amdhsa_user_sgpr_dispatch_id 0
		.amdhsa_user_sgpr_kernarg_preload_length 0
		.amdhsa_user_sgpr_kernarg_preload_offset 0
		.amdhsa_user_sgpr_private_segment_size 0
		.amdhsa_uses_dynamic_stack 0
		.amdhsa_enable_private_segment 0
		.amdhsa_system_sgpr_workgroup_id_x 1
		.amdhsa_system_sgpr_workgroup_id_y 0
		.amdhsa_system_sgpr_workgroup_id_z 1
		.amdhsa_system_sgpr_workgroup_info 0
		.amdhsa_system_vgpr_workitem_id 1
		.amdhsa_next_free_vgpr 104
		.amdhsa_next_free_sgpr 48
		.amdhsa_accum_offset 104
		.amdhsa_reserve_vcc 1
		.amdhsa_float_round_mode_32 0
		.amdhsa_float_round_mode_16_64 0
		.amdhsa_float_denorm_mode_32 3
		.amdhsa_float_denorm_mode_16_64 3
		.amdhsa_dx10_clamp 1
		.amdhsa_ieee_mode 1
		.amdhsa_fp16_overflow 0
		.amdhsa_tg_split 0
		.amdhsa_exception_fp_ieee_invalid_op 0
		.amdhsa_exception_fp_denorm_src 0
		.amdhsa_exception_fp_ieee_div_zero 0
		.amdhsa_exception_fp_ieee_overflow 0
		.amdhsa_exception_fp_ieee_underflow 0
		.amdhsa_exception_fp_ieee_inexact 0
		.amdhsa_exception_int_div_zero 0
	.end_amdhsa_kernel
	.section	.text._ZL26rocblas_hemvn_kernel_lowerILb0ELi64ELi4ELi33ELi32ELi16EiPK19rocblas_complex_numIfES3_PS1_EviT6_lT7_lT5_lS6_lS7_lS5_lT8_i,"axG",@progbits,_ZL26rocblas_hemvn_kernel_lowerILb0ELi64ELi4ELi33ELi32ELi16EiPK19rocblas_complex_numIfES3_PS1_EviT6_lT7_lT5_lS6_lS7_lS5_lT8_i,comdat
.Lfunc_end119:
	.size	_ZL26rocblas_hemvn_kernel_lowerILb0ELi64ELi4ELi33ELi32ELi16EiPK19rocblas_complex_numIfES3_PS1_EviT6_lT7_lT5_lS6_lS7_lS5_lT8_i, .Lfunc_end119-_ZL26rocblas_hemvn_kernel_lowerILb0ELi64ELi4ELi33ELi32ELi16EiPK19rocblas_complex_numIfES3_PS1_EviT6_lT7_lT5_lS6_lS7_lS5_lT8_i
                                        ; -- End function
	.set _ZL26rocblas_hemvn_kernel_lowerILb0ELi64ELi4ELi33ELi32ELi16EiPK19rocblas_complex_numIfES3_PS1_EviT6_lT7_lT5_lS6_lS7_lS5_lT8_i.num_vgpr, 104
	.set _ZL26rocblas_hemvn_kernel_lowerILb0ELi64ELi4ELi33ELi32ELi16EiPK19rocblas_complex_numIfES3_PS1_EviT6_lT7_lT5_lS6_lS7_lS5_lT8_i.num_agpr, 0
	.set _ZL26rocblas_hemvn_kernel_lowerILb0ELi64ELi4ELi33ELi32ELi16EiPK19rocblas_complex_numIfES3_PS1_EviT6_lT7_lT5_lS6_lS7_lS5_lT8_i.numbered_sgpr, 48
	.set _ZL26rocblas_hemvn_kernel_lowerILb0ELi64ELi4ELi33ELi32ELi16EiPK19rocblas_complex_numIfES3_PS1_EviT6_lT7_lT5_lS6_lS7_lS5_lT8_i.num_named_barrier, 0
	.set _ZL26rocblas_hemvn_kernel_lowerILb0ELi64ELi4ELi33ELi32ELi16EiPK19rocblas_complex_numIfES3_PS1_EviT6_lT7_lT5_lS6_lS7_lS5_lT8_i.private_seg_size, 0
	.set _ZL26rocblas_hemvn_kernel_lowerILb0ELi64ELi4ELi33ELi32ELi16EiPK19rocblas_complex_numIfES3_PS1_EviT6_lT7_lT5_lS6_lS7_lS5_lT8_i.uses_vcc, 1
	.set _ZL26rocblas_hemvn_kernel_lowerILb0ELi64ELi4ELi33ELi32ELi16EiPK19rocblas_complex_numIfES3_PS1_EviT6_lT7_lT5_lS6_lS7_lS5_lT8_i.uses_flat_scratch, 0
	.set _ZL26rocblas_hemvn_kernel_lowerILb0ELi64ELi4ELi33ELi32ELi16EiPK19rocblas_complex_numIfES3_PS1_EviT6_lT7_lT5_lS6_lS7_lS5_lT8_i.has_dyn_sized_stack, 0
	.set _ZL26rocblas_hemvn_kernel_lowerILb0ELi64ELi4ELi33ELi32ELi16EiPK19rocblas_complex_numIfES3_PS1_EviT6_lT7_lT5_lS6_lS7_lS5_lT8_i.has_recursion, 0
	.set _ZL26rocblas_hemvn_kernel_lowerILb0ELi64ELi4ELi33ELi32ELi16EiPK19rocblas_complex_numIfES3_PS1_EviT6_lT7_lT5_lS6_lS7_lS5_lT8_i.has_indirect_call, 0
	.section	.AMDGPU.csdata,"",@progbits
; Kernel info:
; codeLenInByte = 7452
; TotalNumSgprs: 54
; NumVgprs: 104
; NumAgprs: 0
; TotalNumVgprs: 104
; ScratchSize: 0
; MemoryBound: 1
; FloatMode: 240
; IeeeMode: 1
; LDSByteSize: 9600 bytes/workgroup (compile time only)
; SGPRBlocks: 6
; VGPRBlocks: 12
; NumSGPRsForWavesPerEU: 54
; NumVGPRsForWavesPerEU: 104
; AccumOffset: 104
; Occupancy: 4
; WaveLimiterHint : 1
; COMPUTE_PGM_RSRC2:SCRATCH_EN: 0
; COMPUTE_PGM_RSRC2:USER_SGPR: 2
; COMPUTE_PGM_RSRC2:TRAP_HANDLER: 0
; COMPUTE_PGM_RSRC2:TGID_X_EN: 1
; COMPUTE_PGM_RSRC2:TGID_Y_EN: 0
; COMPUTE_PGM_RSRC2:TGID_Z_EN: 1
; COMPUTE_PGM_RSRC2:TIDIG_COMP_CNT: 1
; COMPUTE_PGM_RSRC3_GFX90A:ACCUM_OFFSET: 25
; COMPUTE_PGM_RSRC3_GFX90A:TG_SPLIT: 0
	.section	.text._ZL26rocblas_hemvn_kernel_lowerILb0ELi64ELi4ELi33ELi32ELi16El19rocblas_complex_numIfEPKS1_PS1_EviT6_lT7_lT5_lS6_lS7_lS5_lT8_i,"axG",@progbits,_ZL26rocblas_hemvn_kernel_lowerILb0ELi64ELi4ELi33ELi32ELi16El19rocblas_complex_numIfEPKS1_PS1_EviT6_lT7_lT5_lS6_lS7_lS5_lT8_i,comdat
	.globl	_ZL26rocblas_hemvn_kernel_lowerILb0ELi64ELi4ELi33ELi32ELi16El19rocblas_complex_numIfEPKS1_PS1_EviT6_lT7_lT5_lS6_lS7_lS5_lT8_i ; -- Begin function _ZL26rocblas_hemvn_kernel_lowerILb0ELi64ELi4ELi33ELi32ELi16El19rocblas_complex_numIfEPKS1_PS1_EviT6_lT7_lT5_lS6_lS7_lS5_lT8_i
	.p2align	8
	.type	_ZL26rocblas_hemvn_kernel_lowerILb0ELi64ELi4ELi33ELi32ELi16El19rocblas_complex_numIfEPKS1_PS1_EviT6_lT7_lT5_lS6_lS7_lS5_lT8_i,@function
_ZL26rocblas_hemvn_kernel_lowerILb0ELi64ELi4ELi33ELi32ELi16El19rocblas_complex_numIfEPKS1_PS1_EviT6_lT7_lT5_lS6_lS7_lS5_lT8_i: ; @_ZL26rocblas_hemvn_kernel_lowerILb0ELi64ELi4ELi33ELi32ELi16El19rocblas_complex_numIfEPKS1_PS1_EviT6_lT7_lT5_lS6_lS7_lS5_lT8_i
; %bb.0:
	s_load_dwordx2 s[6:7], s[0:1], 0x84
	s_add_u32 s4, s0, 0x78
	s_addc_u32 s5, s1, 0
	s_waitcnt lgkmcnt(0)
	s_lshr_b32 s8, s6, 16
	s_and_b32 s6, s6, 0xffff
	s_and_b32 s7, s7, 0xffff
	s_mul_i32 s6, s8, s6
	s_mul_i32 s6, s6, s7
	s_cmpk_lg_i32 s6, 0x100
	s_cbranch_scc1 .LBB120_99
; %bb.1:
	s_load_dwordx2 s[6:7], s[0:1], 0x4
	s_mov_b64 s[8:9], -1
	s_waitcnt lgkmcnt(0)
	s_or_b32 s6, s6, s7
	s_bitset0_b32 s6, 31
	s_cmp_lg_u32 s6, 0
	s_cselect_b64 s[6:7], -1, 0
	s_and_b64 vcc, exec, s[6:7]
	s_cbranch_vccnz .LBB120_3
; %bb.2:
	s_load_dwordx2 s[8:9], s[0:1], 0x58
	s_waitcnt lgkmcnt(0)
	v_cmp_neq_f32_e64 s[10:11], s8, 1.0
	v_cmp_neq_f32_e64 s[8:9], s9, 0
	s_or_b64 s[8:9], s[10:11], s[8:9]
.LBB120_3:
	s_andn2_b64 vcc, exec, s[8:9]
	s_cbranch_vccnz .LBB120_99
; %bb.4:
	s_andn2_b64 vcc, exec, s[6:7]
	s_cbranch_vccnz .LBB120_99
; %bb.5:
	s_load_dwordx16 s[36:51], s[0:1], 0x18
	s_load_dword s52, s[4:5], 0x0
	s_load_dword s33, s[0:1], 0x0
	v_and_b32_e32 v77, 0x3ff, v0
	v_bfe_u32 v76, v0, 10, 10
	s_waitcnt lgkmcnt(0)
	s_mul_i32 s5, s51, s3
	s_mul_hi_u32 s6, s50, s3
	s_mul_i32 s4, s50, s3
	s_add_i32 s5, s6, s5
	s_lshl_b64 s[4:5], s[4:5], 3
	s_add_u32 s6, s44, s4
	s_addc_u32 s7, s45, s5
	s_lshl_b64 s[4:5], s[46:47], 3
	s_add_u32 s4, s6, s4
	s_addc_u32 s5, s7, s5
	s_ashr_i32 s44, s33, 31
	s_lshr_b32 s7, s44, 26
	s_add_i32 s7, s33, s7
	s_lshl_b32 s26, s2, 6
	s_andn2_b32 s7, s7, 63
	s_add_i32 s6, s52, -1
	s_sub_i32 s7, s33, s7
	v_add_u32_e32 v32, s26, v77
	s_cmp_eq_u32 s2, s6
	v_ashrrev_i32_e32 v33, 31, v32
	s_cselect_b32 s24, s7, 0
	v_mul_lo_u32 v2, s48, v33
	v_mul_lo_u32 v3, s49, v32
	v_mad_u64_u32 v[0:1], s[6:7], s48, v32, 0
	v_add3_u32 v1, v1, v2, v3
	v_lshl_add_u64 v[16:17], v[0:1], 3, s[4:5]
	v_cmp_ne_u32_e64 s[4:5], 0, v76
	v_cmp_eq_u32_e64 s[18:19], 0, v76
	s_and_saveexec_b64 s[6:7], s[18:19]
	s_cbranch_execz .LBB120_10
; %bb.6:
	s_cmp_lg_u32 s24, 0
	s_cselect_b64 s[8:9], -1, 0
	v_cmp_le_i32_e32 vcc, s24, v77
	v_mov_b32_e32 v0, 0x2380
	s_and_b64 s[8:9], s[8:9], vcc
	v_lshl_add_u32 v0, v77, 3, v0
	s_and_saveexec_b64 s[10:11], s[8:9]
	s_xor_b64 s[8:9], exec, s[10:11]
; %bb.7:
	v_mov_b32_e32 v2, 0
	v_mov_b32_e32 v3, v2
	ds_write_b64 v0, v[2:3]
                                        ; implicit-def: $vgpr0
; %bb.8:
	s_andn2_saveexec_b64 s[8:9], s[8:9]
	s_cbranch_execz .LBB120_10
; %bb.9:
	global_load_dwordx2 v[2:3], v[16:17], off
	s_waitcnt vmcnt(0)
	ds_write_b64 v0, v[2:3]
.LBB120_10:
	s_or_b64 exec, exec, s[6:7]
	s_mul_i32 s6, s43, s3
	s_mul_hi_u32 s7, s42, s3
	s_add_i32 s7, s7, s6
	s_mul_i32 s6, s42, s3
	s_lshl_b64 s[6:7], s[6:7], 3
	s_add_u32 s8, s36, s6
	s_addc_u32 s9, s37, s7
	s_lshl_b64 s[6:7], s[38:39], 3
	s_add_u32 s8, s8, s6
	s_addc_u32 s9, s9, s7
	s_ashr_i32 s27, s26, 31
	v_lshl_add_u32 v22, v76, 6, v77
	s_lshl_b64 s[6:7], s[26:27], 3
	v_and_b32_e32 v0, 31, v77
	v_lshrrev_b32_e32 v8, 5, v22
	s_add_u32 s6, s8, s6
	v_mov_b32_e32 v1, 0
	s_addc_u32 s7, s9, s7
	v_mad_u64_u32 v[18:19], s[8:9], s40, v8, v[0:1]
	v_mov_b32_e32 v2, v19
	v_mad_u64_u32 v[2:3], s[8:9], s41, v8, v[2:3]
	v_mov_b32_e32 v19, v2
	v_lshl_add_u64 v[2:3], v[18:19], 3, s[6:7]
	s_mul_hi_u32 s6, s40, s26
	s_mul_i32 s7, s40, s27
	s_add_i32 s6, s6, s7
	s_mul_i32 s7, s41, s26
	s_add_i32 s29, s6, s7
	s_cmp_lg_u32 s24, 0
	s_mul_i32 s28, s40, s26
	s_cselect_b64 s[30:31], -1, 0
	s_cmp_eq_u32 s24, 0
	v_lshl_add_u64 v[2:3], s[28:29], 3, v[2:3]
	s_cselect_b64 s[20:21], -1, 0
	s_mov_b64 s[6:7], -1
	s_and_b64 vcc, exec, s[30:31]
	s_cbranch_vccnz .LBB120_12
; %bb.11:
	s_lshl_b64 s[6:7], s[40:41], 6
	v_lshl_add_u64 v[4:5], v[2:3], 0, s[6:7]
	v_lshl_add_u64 v[6:7], v[4:5], 0, s[6:7]
	v_lshl_add_u64 v[10:11], v[6:7], 0, s[6:7]
	global_load_dwordx2 v[12:13], v[2:3], off
	global_load_dwordx2 v[14:15], v[4:5], off
	;; [unrolled: 1-line block ×4, first 2 shown]
	v_mul_u32_u24_e32 v1, 0x108, v8
	v_lshl_add_u32 v1, v0, 3, v1
	s_mov_b64 s[6:7], 0
	s_waitcnt vmcnt(3)
	ds_write_b64 v1, v[12:13]
	s_waitcnt vmcnt(2)
	ds_write_b64 v1, v[14:15] offset:2112
	s_waitcnt vmcnt(1)
	ds_write_b64 v1, v[20:21] offset:4224
	;; [unrolled: 2-line block ×3, first 2 shown]
.LBB120_12:
	s_andn2_b64 vcc, exec, s[6:7]
	s_cbranch_vccnz .LBB120_28
; %bb.13:
	v_lshlrev_b32_e32 v4, 3, v0
	v_sub_co_u32_e32 v6, vcc, v2, v4
	s_ashr_i32 s25, s24, 31
	s_nop 0
	v_subbrev_co_u32_e32 v7, vcc, 0, v3, vcc
	v_lshl_add_u64 v[6:7], s[24:25], 3, v[6:7]
	v_mov_b32_e32 v10, 0
	v_lshl_add_u64 v[6:7], v[6:7], 0, -8
	v_cmp_gt_i32_e32 vcc, s24, v0
	v_cmp_gt_i32_e64 s[6:7], s24, v8
	v_mov_b32_e32 v11, v10
	v_cndmask_b32_e32 v7, v7, v3, vcc
	v_cndmask_b32_e32 v6, v6, v2, vcc
	s_and_saveexec_b64 s[8:9], s[6:7]
	s_cbranch_execz .LBB120_15
; %bb.14:
	global_load_dwordx2 v[10:11], v[6:7], off
.LBB120_15:
	s_or_b64 exec, exec, s[8:9]
	v_lshlrev_b32_e32 v1, 3, v0
	s_movk_i32 s6, 0x108
	v_mad_u32_u24 v9, v8, s6, v1
	s_waitcnt vmcnt(0)
	ds_write_b64 v9, v[10:11]
	v_add_u32_e32 v9, 8, v8
	v_mul_u32_u24_e32 v5, 0x108, v8
	v_cmp_le_i32_e64 s[6:7], s24, v9
	s_and_saveexec_b64 s[8:9], s[6:7]
	s_xor_b64 s[6:7], exec, s[8:9]
; %bb.16:
	v_mov_b32_e32 v10, 0
	v_add_u32_e32 v9, v5, v1
	v_mov_b32_e32 v11, v10
	ds_write_b64 v9, v[10:11] offset:2112
; %bb.17:
	s_andn2_saveexec_b64 s[6:7], s[6:7]
	s_cbranch_execz .LBB120_19
; %bb.18:
	s_lshl_b64 s[8:9], s[40:41], 6
	v_lshl_add_u64 v[10:11], v[6:7], 0, s[8:9]
	global_load_dwordx2 v[10:11], v[10:11], off
	v_add_u32_e32 v9, v5, v1
	s_waitcnt vmcnt(0)
	ds_write_b64 v9, v[10:11] offset:2112
.LBB120_19:
	s_or_b64 exec, exec, s[6:7]
	v_add_u32_e32 v9, 16, v8
	v_cmp_le_i32_e64 s[6:7], s24, v9
	s_and_saveexec_b64 s[8:9], s[6:7]
	s_xor_b64 s[6:7], exec, s[8:9]
; %bb.20:
	v_mov_b32_e32 v10, 0
	v_add_u32_e32 v9, v5, v1
	v_mov_b32_e32 v11, v10
	ds_write_b64 v9, v[10:11] offset:4224
; %bb.21:
	s_andn2_saveexec_b64 s[6:7], s[6:7]
	s_cbranch_execz .LBB120_23
; %bb.22:
	s_lshl_b64 s[8:9], s[40:41], 7
	v_lshl_add_u64 v[10:11], v[6:7], 0, s[8:9]
	global_load_dwordx2 v[10:11], v[10:11], off
	v_add_u32_e32 v9, v5, v1
	s_waitcnt vmcnt(0)
	ds_write_b64 v9, v[10:11] offset:4224
.LBB120_23:
	s_or_b64 exec, exec, s[6:7]
	v_add_u32_e32 v9, 24, v8
	v_cmp_le_i32_e64 s[6:7], s24, v9
	s_and_saveexec_b64 s[8:9], s[6:7]
	s_xor_b64 s[6:7], exec, s[8:9]
; %bb.24:
	v_mov_b32_e32 v10, 0
	v_add_u32_e32 v1, v5, v1
	v_mov_b32_e32 v11, v10
	ds_write_b64 v1, v[10:11] offset:6336
                                        ; implicit-def: $vgpr5
                                        ; implicit-def: $vgpr1
; %bb.25:
	s_andn2_saveexec_b64 s[6:7], s[6:7]
	s_cbranch_execz .LBB120_27
; %bb.26:
	v_mov_b32_e32 v9, 0xc0
	v_mad_u64_u32 v[10:11], s[8:9], s40, v9, v[6:7]
	s_mul_i32 s8, s41, 0xc0
	s_nop 0
	v_add_u32_e32 v11, s8, v11
	global_load_dwordx2 v[10:11], v[10:11], off
	v_add_u32_e32 v1, v5, v1
	s_waitcnt vmcnt(0)
	ds_write_b64 v1, v[10:11] offset:6336
.LBB120_27:
	s_or_b64 exec, exec, s[6:7]
	v_mov_b32_e32 v5, 0
	v_lshl_add_u64 v[4:5], v[6:7], 0, v[4:5]
	s_lshl_b64 s[6:7], s[24:25], 3
	v_mov_b32_e32 v1, s7
	v_subrev_co_u32_e64 v4, s[6:7], s6, v4
	s_nop 1
	v_subb_co_u32_e64 v5, s[6:7], v5, v1, s[6:7]
	v_lshl_add_u64 v[4:5], v[4:5], 0, 8
	v_cndmask_b32_e32 v3, v5, v3, vcc
	v_cndmask_b32_e32 v2, v4, v2, vcc
.LBB120_28:
	v_lshlrev_b32_e32 v9, 2, v8
	v_lshlrev_b32_e32 v10, 3, v0
	v_lshl_or_b32 v4, v0, 8, v10
	v_cmp_lt_u32_e64 s[8:9], v9, v0
	s_waitcnt lgkmcnt(0)
	s_barrier
	s_and_saveexec_b64 s[6:7], s[8:9]
	s_cbranch_execz .LBB120_30
; %bb.29:
	s_movk_i32 s10, 0x420
	v_mad_u32_u24 v1, v8, s10, v10
	ds_read_b64 v[6:7], v1
	v_lshl_add_u32 v1, v9, 3, v4
	s_waitcnt lgkmcnt(0)
	ds_write_b64 v1, v[6:7]
.LBB120_30:
	s_or_b64 exec, exec, s[6:7]
	v_or_b32_e32 v1, 1, v9
	v_cmp_lt_u32_e64 s[10:11], v1, v0
	s_and_saveexec_b64 s[6:7], s[10:11]
	s_cbranch_execz .LBB120_32
; %bb.31:
	s_movk_i32 s12, 0x108
	v_mad_u32_u24 v5, v1, s12, v10
	ds_read_b64 v[6:7], v5
	v_lshl_add_u32 v5, v9, 3, v4
	s_waitcnt lgkmcnt(0)
	ds_write_b64 v5, v[6:7] offset:8
.LBB120_32:
	s_or_b64 exec, exec, s[6:7]
	v_or_b32_e32 v5, 2, v9
	v_cmp_lt_u32_e64 s[12:13], v5, v0
	s_and_saveexec_b64 s[6:7], s[12:13]
	s_cbranch_execz .LBB120_34
; %bb.33:
	s_movk_i32 s14, 0x108
	v_mad_u32_u24 v5, v5, s14, v10
	ds_read_b64 v[6:7], v5
	v_lshl_add_u32 v5, v9, 3, v4
	s_waitcnt lgkmcnt(0)
	ds_write_b64 v5, v[6:7] offset:16
.LBB120_34:
	s_or_b64 exec, exec, s[6:7]
	v_or_b32_e32 v6, 3, v9
	v_cmp_lt_u32_e64 s[14:15], v6, v0
	v_cmp_ge_u32_e32 vcc, v6, v0
                                        ; implicit-def: $vgpr5
	s_and_saveexec_b64 s[6:7], vcc
	s_xor_b64 s[6:7], exec, s[6:7]
; %bb.35:
	v_mul_u32_u24_e32 v5, 0x108, v6
                                        ; implicit-def: $vgpr4
                                        ; implicit-def: $vgpr6
; %bb.36:
	s_andn2_saveexec_b64 s[6:7], s[6:7]
	s_cbranch_execz .LBB120_38
; %bb.37:
	s_movk_i32 s16, 0x108
	v_mad_u32_u24 v5, v6, s16, v10
	ds_read_b64 v[12:13], v5
	v_lshl_add_u32 v4, v9, 3, v4
	v_mul_u32_u24_e32 v5, 0x108, v6
	s_waitcnt lgkmcnt(0)
	ds_write_b64 v4, v[12:13] offset:24
.LBB120_38:
	s_or_b64 exec, exec, s[6:7]
	s_movk_i32 s6, 0x420
	v_mad_u32_u24 v4, v8, s6, v10
	s_movk_i32 s6, 0x108
	v_mad_u32_u24 v6, v1, s6, v10
	s_waitcnt lgkmcnt(0)
	s_barrier
	v_lshlrev_b32_e32 v12, 3, v9
	ds_read2_b64 v[26:29], v6 offset1:33
	v_add_u32_e32 v11, v10, v5
	ds_read_b64 v[14:15], v4
	ds_read_b128 v[4:7], v12 offset:9088
	ds_read_b64 v[20:21], v11
	ds_read_b128 v[36:39], v12 offset:9104
	v_mul_u32_u24_e32 v13, 33, v0
	v_lshlrev_b32_e32 v23, 3, v13
	v_lshl_add_u32 v24, v8, 3, v23
	s_waitcnt lgkmcnt(2)
	v_pk_mul_f32 v[30:31], v[4:5], v[14:15] op_sel:[1,1] op_sel_hi:[0,1]
	v_pk_fma_f32 v[34:35], v[4:5], v[14:15], v[30:31] neg_lo:[0,0,1] neg_hi:[0,0,1]
	v_pk_fma_f32 v[4:5], v[4:5], v[14:15], v[30:31] op_sel_hi:[1,0,1]
	v_pk_mul_f32 v[14:15], v[6:7], v[26:27] op_sel:[1,1] op_sel_hi:[0,1]
	v_pk_fma_f32 v[30:31], v[6:7], v[26:27], v[14:15] neg_lo:[0,0,1] neg_hi:[0,0,1]
	v_pk_fma_f32 v[6:7], v[6:7], v[26:27], v[14:15] op_sel_hi:[1,0,1]
	v_mov_b32_e32 v35, v5
	v_mov_b32_e32 v31, v7
	s_waitcnt lgkmcnt(0)
	v_pk_mul_f32 v[6:7], v[36:37], v[28:29] op_sel:[1,1] op_sel_hi:[0,1]
	v_pk_add_f32 v[4:5], v[34:35], 0 op_sel_hi:[1,0]
	v_pk_fma_f32 v[14:15], v[36:37], v[28:29], v[6:7] neg_lo:[0,0,1] neg_hi:[0,0,1]
	v_pk_fma_f32 v[6:7], v[36:37], v[28:29], v[6:7] op_sel_hi:[1,0,1]
	v_pk_add_f32 v[4:5], v[4:5], v[30:31]
	v_mov_b32_e32 v15, v7
	v_pk_mul_f32 v[6:7], v[38:39], v[20:21] op_sel:[1,1] op_sel_hi:[0,1]
	v_pk_add_f32 v[4:5], v[4:5], v[14:15]
	v_pk_fma_f32 v[14:15], v[38:39], v[20:21], v[6:7] neg_lo:[0,0,1] neg_hi:[0,0,1]
	v_pk_fma_f32 v[6:7], v[38:39], v[20:21], v[6:7] op_sel_hi:[1,0,1]
	v_mov_b32_e32 v34, 0
	v_mov_b32_e32 v15, v7
	;; [unrolled: 1-line block ×3, first 2 shown]
	v_pk_add_f32 v[4:5], v[4:5], v[14:15]
	v_cmp_gt_u32_e64 s[6:7], 32, v22
	s_barrier
	ds_write_b64 v24, v[4:5]
	s_waitcnt lgkmcnt(0)
	s_barrier
	s_and_saveexec_b64 s[16:17], s[6:7]
	s_cbranch_execz .LBB120_40
; %bb.39:
	ds_read2_b64 v[4:7], v23 offset1:7
	ds_read2_b64 v[26:29], v23 offset0:1 offset1:2
	ds_read2_b64 v[34:37], v23 offset0:3 offset1:4
	s_waitcnt lgkmcnt(1)
	v_add_f32_e32 v4, v26, v4
	v_add_f32_e32 v5, v27, v5
	v_add_f32_e32 v4, v28, v4
	v_add_f32_e32 v5, v29, v5
	ds_read2_b64 v[26:29], v23 offset0:5 offset1:6
	s_waitcnt lgkmcnt(1)
	v_add_f32_e32 v4, v4, v34
	v_add_f32_e32 v5, v5, v35
	;; [unrolled: 1-line block ×4, first 2 shown]
	s_waitcnt lgkmcnt(0)
	v_add_f32_e32 v4, v4, v26
	v_add_f32_e32 v5, v5, v27
	;; [unrolled: 1-line block ×4, first 2 shown]
	v_pk_add_f32 v[34:35], v[4:5], v[6:7]
.LBB120_40:
	s_or_b64 exec, exec, s[16:17]
	s_lshl_b64 s[22:23], s[40:41], 8
	v_lshl_add_u64 v[6:7], v[2:3], 0, s[22:23]
	v_cndmask_b32_e64 v2, 0, 1, s[20:21]
	s_mov_b64 s[34:35], 0x100
	v_cmp_ne_u32_e64 s[16:17], 1, v2
	s_andn2_b64 vcc, exec, s[20:21]
	s_mov_b64 s[20:21], -1
	s_barrier
	s_cbranch_vccnz .LBB120_42
; %bb.41:
	s_lshl_b64 s[20:21], s[40:41], 6
	v_lshl_add_u64 v[2:3], v[6:7], 0, s[20:21]
	v_lshl_add_u64 v[4:5], v[2:3], 0, s[20:21]
	;; [unrolled: 1-line block ×3, first 2 shown]
	global_load_dwordx2 v[20:21], v[6:7], off offset:256
	global_load_dwordx2 v[26:27], v[2:3], off offset:256
	;; [unrolled: 1-line block ×4, first 2 shown]
	s_movk_i32 s20, 0x108
	v_mad_u32_u24 v2, v8, s20, v10
	s_mov_b64 s[20:21], 0
	s_waitcnt vmcnt(3)
	ds_write_b64 v2, v[20:21]
	s_waitcnt vmcnt(2)
	ds_write_b64 v2, v[26:27] offset:2112
	s_waitcnt vmcnt(1)
	ds_write_b64 v2, v[28:29] offset:4224
	;; [unrolled: 2-line block ×3, first 2 shown]
.LBB120_42:
	s_andn2_b64 vcc, exec, s[20:21]
	v_lshl_add_u64 v[2:3], v[6:7], 0, s[34:35]
	s_cbranch_vccnz .LBB120_58
; %bb.43:
	v_lshlrev_b32_e32 v4, 3, v0
	v_sub_co_u32_e32 v6, vcc, v6, v4
	s_ashr_i32 s25, s24, 31
	s_nop 0
	v_subbrev_co_u32_e32 v7, vcc, 0, v7, vcc
	v_or_b32_e32 v5, 32, v0
	v_lshl_add_u64 v[6:7], s[24:25], 3, v[6:7]
	v_mov_b32_e32 v14, 0
	v_lshl_add_u64 v[6:7], v[6:7], 0, -8
	v_cmp_gt_i32_e32 vcc, s24, v5
	s_sub_i32 s36, s24, 32
	v_cmp_gt_i32_e64 s[20:21], s36, v8
	v_cndmask_b32_e32 v7, v7, v3, vcc
	v_cndmask_b32_e32 v6, v6, v2, vcc
	v_mov_b32_e32 v15, v14
	s_and_saveexec_b64 s[34:35], s[20:21]
	s_cbranch_execz .LBB120_45
; %bb.44:
	global_load_dwordx2 v[14:15], v[6:7], off
.LBB120_45:
	s_or_b64 exec, exec, s[34:35]
	s_movk_i32 s20, 0x108
	v_mad_u32_u24 v13, v8, s20, v10
	s_waitcnt vmcnt(0)
	ds_write_b64 v13, v[14:15]
	v_add_u32_e32 v13, 8, v8
	v_mul_u32_u24_e32 v5, 0x108, v8
	v_cmp_le_i32_e64 s[20:21], s36, v13
	s_and_saveexec_b64 s[34:35], s[20:21]
	s_xor_b64 s[20:21], exec, s[34:35]
; %bb.46:
	v_mov_b32_e32 v14, 0
	v_add_u32_e32 v13, v5, v10
	v_mov_b32_e32 v15, v14
	ds_write_b64 v13, v[14:15] offset:2112
; %bb.47:
	s_andn2_saveexec_b64 s[20:21], s[20:21]
	s_cbranch_execz .LBB120_49
; %bb.48:
	s_lshl_b64 s[34:35], s[40:41], 6
	v_lshl_add_u64 v[14:15], v[6:7], 0, s[34:35]
	global_load_dwordx2 v[14:15], v[14:15], off
	v_add_u32_e32 v13, v5, v10
	s_waitcnt vmcnt(0)
	ds_write_b64 v13, v[14:15] offset:2112
.LBB120_49:
	s_or_b64 exec, exec, s[20:21]
	v_add_u32_e32 v13, 16, v8
	v_cmp_le_i32_e64 s[20:21], s36, v13
	s_and_saveexec_b64 s[34:35], s[20:21]
	s_xor_b64 s[20:21], exec, s[34:35]
; %bb.50:
	v_mov_b32_e32 v14, 0
	v_add_u32_e32 v13, v5, v10
	v_mov_b32_e32 v15, v14
	ds_write_b64 v13, v[14:15] offset:4224
; %bb.51:
	s_andn2_saveexec_b64 s[20:21], s[20:21]
	s_cbranch_execz .LBB120_53
; %bb.52:
	s_lshl_b64 s[34:35], s[40:41], 7
	v_lshl_add_u64 v[14:15], v[6:7], 0, s[34:35]
	global_load_dwordx2 v[14:15], v[14:15], off
	v_add_u32_e32 v13, v5, v10
	s_waitcnt vmcnt(0)
	ds_write_b64 v13, v[14:15] offset:4224
.LBB120_53:
	s_or_b64 exec, exec, s[20:21]
	v_add_u32_e32 v13, 24, v8
	v_cmp_le_i32_e64 s[20:21], s36, v13
	s_and_saveexec_b64 s[34:35], s[20:21]
	s_xor_b64 s[20:21], exec, s[34:35]
; %bb.54:
	v_mov_b32_e32 v14, 0
	v_add_u32_e32 v5, v5, v10
	v_mov_b32_e32 v15, v14
	ds_write_b64 v5, v[14:15] offset:6336
                                        ; implicit-def: $vgpr5
; %bb.55:
	s_andn2_saveexec_b64 s[20:21], s[20:21]
	s_cbranch_execz .LBB120_57
; %bb.56:
	v_mov_b32_e32 v13, 0xc0
	v_mad_u64_u32 v[14:15], s[34:35], s40, v13, v[6:7]
	s_mul_i32 s34, s41, 0xc0
	s_nop 0
	v_add_u32_e32 v15, s34, v15
	global_load_dwordx2 v[14:15], v[14:15], off
	v_add_u32_e32 v5, v5, v10
	s_waitcnt vmcnt(0)
	ds_write_b64 v5, v[14:15] offset:6336
.LBB120_57:
	s_or_b64 exec, exec, s[20:21]
	v_mov_b32_e32 v5, 0
	v_lshl_add_u64 v[4:5], v[6:7], 0, v[4:5]
	s_lshl_b64 s[20:21], s[24:25], 3
	v_mov_b32_e32 v6, s21
	v_subrev_co_u32_e64 v4, s[20:21], s20, v4
	s_nop 1
	v_subb_co_u32_e64 v5, s[20:21], v5, v6, s[20:21]
	s_mov_b64 s[20:21], 0x108
	s_nop 0
	v_lshl_add_u64 v[4:5], v[4:5], 0, s[20:21]
	v_cndmask_b32_e32 v3, v5, v3, vcc
	v_cndmask_b32_e32 v2, v4, v2, vcc
.LBB120_58:
	v_mul_u32_u24_e32 v6, 0x420, v8
	v_add_u32_e32 v4, 0x2380, v12
	v_mul_u32_u24_e32 v5, 0x108, v1
	s_lshl_b64 s[20:21], s[40:41], 5
	v_add_u32_e32 v1, v10, v6
	s_waitcnt lgkmcnt(0)
	s_barrier
	s_and_saveexec_b64 s[34:35], s[8:9]
	s_cbranch_execnz .LBB120_67
; %bb.59:
	s_or_b64 exec, exec, s[34:35]
	v_add_u32_e32 v5, v10, v5
	s_and_saveexec_b64 s[8:9], s[10:11]
	s_cbranch_execnz .LBB120_68
.LBB120_60:
	s_or_b64 exec, exec, s[8:9]
	s_and_saveexec_b64 s[8:9], s[12:13]
	s_cbranch_execnz .LBB120_69
.LBB120_61:
	s_or_b64 exec, exec, s[8:9]
	s_and_saveexec_b64 s[8:9], s[14:15]
	s_cbranch_execz .LBB120_63
.LBB120_62:
	ds_read_b64 v[6:7], v11
	v_lshl_add_u32 v12, v9, 3, v23
	s_waitcnt lgkmcnt(0)
	ds_write_b64 v12, v[6:7] offset:24
.LBB120_63:
	s_or_b64 exec, exec, s[8:9]
	s_waitcnt lgkmcnt(0)
	s_barrier
	ds_read_b64 v[6:7], v1
	ds_read_b128 v[12:15], v4 offset:256
	ds_read2_b64 v[26:29], v5 offset1:33
	ds_read_b64 v[20:21], v11
	ds_read_b128 v[36:39], v4 offset:272
	v_cmp_eq_u32_e64 s[8:9], 1, v8
	s_waitcnt lgkmcnt(3)
	v_pk_mul_f32 v[30:31], v[12:13], v[6:7] op_sel:[1,1] op_sel_hi:[0,1]
	v_pk_fma_f32 v[40:41], v[12:13], v[6:7], v[30:31] neg_lo:[0,0,1] neg_hi:[0,0,1]
	v_pk_fma_f32 v[6:7], v[12:13], v[6:7], v[30:31] op_sel_hi:[1,0,1]
	s_waitcnt lgkmcnt(2)
	v_pk_mul_f32 v[12:13], v[14:15], v[26:27] op_sel:[1,1] op_sel_hi:[0,1]
	v_pk_fma_f32 v[30:31], v[14:15], v[26:27], v[12:13] neg_lo:[0,0,1] neg_hi:[0,0,1]
	v_pk_fma_f32 v[12:13], v[14:15], v[26:27], v[12:13] op_sel_hi:[1,0,1]
	v_mov_b32_e32 v41, v7
	v_mov_b32_e32 v31, v13
	s_waitcnt lgkmcnt(0)
	v_pk_mul_f32 v[12:13], v[36:37], v[28:29] op_sel:[1,1] op_sel_hi:[0,1]
	v_pk_add_f32 v[6:7], v[40:41], 0 op_sel_hi:[1,0]
	v_pk_fma_f32 v[14:15], v[36:37], v[28:29], v[12:13] neg_lo:[0,0,1] neg_hi:[0,0,1]
	v_pk_fma_f32 v[12:13], v[36:37], v[28:29], v[12:13] op_sel_hi:[1,0,1]
	v_pk_add_f32 v[6:7], v[6:7], v[30:31]
	v_mov_b32_e32 v15, v13
	v_pk_mul_f32 v[12:13], v[38:39], v[20:21] op_sel:[1,1] op_sel_hi:[0,1]
	v_pk_add_f32 v[6:7], v[6:7], v[14:15]
	v_pk_fma_f32 v[14:15], v[38:39], v[20:21], v[12:13] neg_lo:[0,0,1] neg_hi:[0,0,1]
	v_pk_fma_f32 v[12:13], v[38:39], v[20:21], v[12:13] op_sel_hi:[1,0,1]
	s_nop 0
	v_mov_b32_e32 v15, v13
	v_pk_add_f32 v[6:7], v[6:7], v[14:15]
	s_barrier
	ds_write_b64 v24, v[6:7]
	s_waitcnt lgkmcnt(0)
	s_barrier
	s_and_saveexec_b64 s[10:11], s[8:9]
	s_cbranch_execz .LBB120_65
; %bb.64:
	ds_read2_b64 v[12:15], v23 offset1:7
	ds_read2_b64 v[26:29], v23 offset0:1 offset1:2
	ds_read2_b64 v[34:37], v23 offset0:3 offset1:4
	s_waitcnt lgkmcnt(1)
	v_add_f32_e32 v1, v26, v12
	v_add_f32_e32 v5, v27, v13
	;; [unrolled: 1-line block ×4, first 2 shown]
	ds_read2_b64 v[26:29], v23 offset0:5 offset1:6
	s_waitcnt lgkmcnt(1)
	v_add_f32_e32 v1, v1, v34
	v_add_f32_e32 v5, v5, v35
	;; [unrolled: 1-line block ×4, first 2 shown]
	s_waitcnt lgkmcnt(0)
	v_add_f32_e32 v6, v1, v26
	v_add_f32_e32 v7, v5, v27
	v_pk_add_f32 v[6:7], v[6:7], v[28:29]
	s_nop 0
	v_pk_add_f32 v[34:35], v[6:7], v[14:15]
.LBB120_65:
	s_or_b64 exec, exec, s[10:11]
	s_lshl_b64 s[10:11], s[20:21], 3
	v_mov_b32_e32 v1, s11
	v_subrev_co_u32_e64 v20, s[10:11], s10, v2
	s_and_b64 vcc, exec, s[16:17]
	s_nop 0
	v_subb_co_u32_e64 v21, s[10:11], v3, v1, s[10:11]
	s_barrier
	s_cbranch_vccnz .LBB120_70
; %bb.66:
	s_lshl_b64 s[10:11], s[40:41], 6
	v_lshl_add_u64 v[2:3], v[20:21], 0, s[10:11]
	v_lshl_add_u64 v[6:7], v[2:3], 0, s[10:11]
	;; [unrolled: 1-line block ×3, first 2 shown]
	global_load_dwordx2 v[14:15], v[20:21], off
	global_load_dwordx2 v[26:27], v[2:3], off
	;; [unrolled: 1-line block ×4, first 2 shown]
	s_movk_i32 s10, 0x108
	v_mov_b32_e32 v1, 0x840
	v_mov_b32_e32 v2, 0x1080
	;; [unrolled: 1-line block ×3, first 2 shown]
	v_mul_u32_u24_e32 v5, 0x108, v8
	v_add_u32_e32 v6, 8, v8
	v_add_u32_e32 v7, 16, v8
	;; [unrolled: 1-line block ×3, first 2 shown]
	v_mad_u32_u24 v13, v8, s10, v10
	v_mad_u32_u24 v1, v8, s10, v1
	;; [unrolled: 1-line block ×4, first 2 shown]
	v_add_u32_e32 v3, v10, v1
	v_add_u32_e32 v25, v10, v2
	;; [unrolled: 1-line block ×3, first 2 shown]
	s_waitcnt vmcnt(3)
	ds_write_b64 v13, v[14:15]
	s_waitcnt vmcnt(2)
	ds_write_b64 v3, v[26:27]
	;; [unrolled: 2-line block ×4, first 2 shown]
	s_cbranch_execz .LBB120_71
	s_branch .LBB120_86
.LBB120_67:
	ds_read_b64 v[6:7], v1
	v_lshl_add_u32 v12, v9, 3, v23
	s_waitcnt lgkmcnt(0)
	ds_write_b64 v12, v[6:7]
	s_or_b64 exec, exec, s[34:35]
	v_add_u32_e32 v5, v10, v5
	s_and_saveexec_b64 s[8:9], s[10:11]
	s_cbranch_execz .LBB120_60
.LBB120_68:
	ds_read_b64 v[6:7], v5
	v_lshl_add_u32 v12, v9, 3, v23
	s_waitcnt lgkmcnt(0)
	ds_write_b64 v12, v[6:7] offset:8
	s_or_b64 exec, exec, s[8:9]
	s_and_saveexec_b64 s[8:9], s[12:13]
	s_cbranch_execz .LBB120_61
.LBB120_69:
	ds_read_b64 v[6:7], v5 offset:264
	v_lshl_add_u32 v12, v9, 3, v23
	s_waitcnt lgkmcnt(0)
	ds_write_b64 v12, v[6:7] offset:16
	s_or_b64 exec, exec, s[8:9]
	s_and_saveexec_b64 s[8:9], s[14:15]
	s_cbranch_execnz .LBB120_62
	s_branch .LBB120_63
.LBB120_70:
                                        ; implicit-def: $vgpr5
                                        ; implicit-def: $vgpr6
                                        ; implicit-def: $vgpr1
                                        ; implicit-def: $vgpr7
                                        ; implicit-def: $vgpr2
                                        ; implicit-def: $vgpr11
                                        ; implicit-def: $vgpr12
.LBB120_71:
	v_or_b32_e32 v1, 32, v0
	v_lshlrev_b32_e32 v0, 3, v0
	v_sub_co_u32_e32 v2, vcc, v20, v0
	s_ashr_i32 s25, s24, 31
	s_nop 0
	v_subbrev_co_u32_e32 v3, vcc, 0, v21, vcc
	s_movk_i32 s10, 0xfef8
	v_lshl_add_u64 v[2:3], s[24:25], 3, v[2:3]
	s_mov_b32 s11, -1
	v_mov_b32_e32 v6, 0
	v_lshl_add_u64 v[2:3], v[2:3], 0, s[10:11]
	v_cmp_gt_i32_e32 vcc, s24, v1
	v_cmp_gt_i32_e64 s[10:11], s24, v8
	v_mov_b32_e32 v7, v6
	v_cndmask_b32_e32 v3, v3, v21, vcc
	v_cndmask_b32_e32 v2, v2, v20, vcc
	s_and_saveexec_b64 s[12:13], s[10:11]
	s_cbranch_execz .LBB120_73
; %bb.72:
	global_load_dwordx2 v[6:7], v[2:3], off
.LBB120_73:
	s_or_b64 exec, exec, s[12:13]
	s_movk_i32 s10, 0x108
	v_mad_u32_u24 v1, v8, s10, v10
	s_waitcnt vmcnt(0)
	ds_write_b64 v1, v[6:7]
	v_add_u32_e32 v6, 8, v8
	v_mul_u32_u24_e32 v5, 0x108, v8
	v_cmp_le_i32_e64 s[10:11], s24, v6
	s_and_saveexec_b64 s[12:13], s[10:11]
	s_xor_b64 s[10:11], exec, s[12:13]
; %bb.74:
	v_mov_b32_e32 v12, 0
	v_add_u32_e32 v1, v5, v10
	v_mov_b32_e32 v13, v12
	ds_write_b64 v1, v[12:13] offset:2112
; %bb.75:
	s_andn2_saveexec_b64 s[10:11], s[10:11]
	s_cbranch_execz .LBB120_77
; %bb.76:
	s_lshl_b64 s[12:13], s[40:41], 6
	v_lshl_add_u64 v[12:13], v[2:3], 0, s[12:13]
	global_load_dwordx2 v[12:13], v[12:13], off
	v_add_u32_e32 v1, v5, v10
	s_waitcnt vmcnt(0)
	ds_write_b64 v1, v[12:13] offset:2112
.LBB120_77:
	s_or_b64 exec, exec, s[10:11]
	v_add_u32_e32 v7, 16, v8
	v_cmp_le_i32_e64 s[10:11], s24, v7
	s_and_saveexec_b64 s[12:13], s[10:11]
	s_xor_b64 s[10:11], exec, s[12:13]
; %bb.78:
	v_mov_b32_e32 v12, 0
	v_add_u32_e32 v1, v5, v10
	v_mov_b32_e32 v13, v12
	ds_write_b64 v1, v[12:13] offset:4224
; %bb.79:
	s_andn2_saveexec_b64 s[10:11], s[10:11]
	s_cbranch_execz .LBB120_81
; %bb.80:
	s_lshl_b64 s[12:13], s[40:41], 7
	v_lshl_add_u64 v[12:13], v[2:3], 0, s[12:13]
	global_load_dwordx2 v[12:13], v[12:13], off
	v_add_u32_e32 v1, v5, v10
	s_waitcnt vmcnt(0)
	ds_write_b64 v1, v[12:13] offset:4224
.LBB120_81:
	s_or_b64 exec, exec, s[10:11]
	v_add_u32_e32 v11, 24, v8
	v_cmp_le_i32_e64 s[10:11], s24, v11
                                        ; implicit-def: $vgpr12
	s_and_saveexec_b64 s[12:13], s[10:11]
	s_xor_b64 s[10:11], exec, s[12:13]
; %bb.82:
	v_add_u32_e32 v12, 0x18c0, v5
	v_mov_b32_e32 v14, 0
	v_add_u32_e32 v1, v10, v12
	v_mov_b32_e32 v15, v14
	ds_write_b64 v1, v[14:15]
; %bb.83:
	s_andn2_saveexec_b64 s[10:11], s[10:11]
	s_cbranch_execz .LBB120_85
; %bb.84:
	v_mov_b32_e32 v1, 0xc0
	v_mad_u64_u32 v[12:13], s[12:13], s40, v1, v[2:3]
	s_mul_i32 s12, s41, 0xc0
	s_nop 0
	v_add_u32_e32 v13, s12, v13
	global_load_dwordx2 v[14:15], v[12:13], off
	v_add_u32_e32 v12, 0x18c0, v5
	v_add_u32_e32 v1, v10, v12
	s_waitcnt vmcnt(0)
	ds_write_b64 v1, v[14:15]
.LBB120_85:
	s_or_b64 exec, exec, s[10:11]
	v_mov_b32_e32 v1, 0
	v_lshl_add_u64 v[0:1], v[2:3], 0, v[0:1]
	s_lshl_b64 s[10:11], s[24:25], 3
	v_mov_b32_e32 v2, s11
	v_subrev_co_u32_e64 v0, s[10:11], s10, v0
	s_nop 1
	v_subb_co_u32_e64 v1, s[10:11], v1, v2, s[10:11]
	s_mov_b64 s[10:11], 0x108
	s_nop 0
	v_lshl_add_u64 v[0:1], v[0:1], 0, s[10:11]
	v_cndmask_b32_e32 v21, v1, v21, vcc
	v_cndmask_b32_e32 v20, v0, v20, vcc
	v_add_u32_e32 v1, 0x840, v5
	v_add_u32_e32 v2, 0x1080, v5
.LBB120_86:
	v_lshlrev_b32_e32 v36, 3, v8
	v_add_u32_e32 v28, v10, v1
	v_lshlrev_b32_e32 v30, 3, v6
	v_add_u32_e32 v38, v10, v2
	;; [unrolled: 2-line block ×3, first 2 shown]
	v_lshlrev_b32_e32 v42, 3, v11
	v_lshl_add_u32 v0, v9, 3, v23
	s_waitcnt lgkmcnt(0)
	s_barrier
	v_add_u32_e32 v25, v10, v5
	ds_read2_b64 v[8:11], v0 offset1:1
	ds_read2_b64 v[0:3], v0 offset0:2 offset1:3
	ds_read_b128 v[12:15], v4 offset:256
	ds_read_b128 v[4:7], v4 offset:272
	ds_read_b64 v[26:27], v25
	ds_read_b64 v[28:29], v28
	ds_read_b64 v[30:31], v30 offset:9088
	ds_read_b64 v[36:37], v36 offset:9088
	ds_read_b64 v[38:39], v38
	ds_read2_b32 v[40:41], v40 offset1:1
	ds_read_b64 v[42:43], v42 offset:9088
	ds_read_b64 v[44:45], v44 offset:9088
	s_waitcnt lgkmcnt(4)
	v_pk_mul_f32 v[46:47], v[36:37], v[26:27] op_sel:[1,1] op_sel_hi:[0,1]
	v_pk_fma_f32 v[48:49], v[36:37], v[26:27], v[46:47] neg_lo:[0,0,1] neg_hi:[0,0,1]
	v_pk_fma_f32 v[26:27], v[36:37], v[26:27], v[46:47] op_sel_hi:[1,0,1]
	v_pk_mul_f32 v[36:37], v[30:31], v[28:29] op_sel:[1,1] op_sel_hi:[0,1]
	v_pk_fma_f32 v[46:47], v[30:31], v[28:29], v[36:37] neg_lo:[0,0,1] neg_hi:[0,0,1]
	v_pk_fma_f32 v[28:29], v[30:31], v[28:29], v[36:37] op_sel_hi:[1,0,1]
	v_mov_b32_e32 v49, v27
	v_mov_b32_e32 v47, v29
	s_waitcnt lgkmcnt(0)
	v_pk_mul_f32 v[28:29], v[44:45], v[38:39] op_sel:[1,1] op_sel_hi:[0,1]
	v_pk_add_f32 v[26:27], v[48:49], 0 op_sel_hi:[1,0]
	v_pk_fma_f32 v[30:31], v[44:45], v[38:39], v[28:29] neg_lo:[0,0,1] neg_hi:[0,0,1]
	v_pk_fma_f32 v[28:29], v[44:45], v[38:39], v[28:29] op_sel_hi:[1,0,1]
	v_pk_add_f32 v[26:27], v[26:27], v[46:47]
	v_mov_b32_e32 v31, v29
	v_pk_mul_f32 v[28:29], v[42:43], v[40:41] op_sel:[1,1] op_sel_hi:[0,1]
	v_pk_add_f32 v[26:27], v[26:27], v[30:31]
	v_pk_fma_f32 v[30:31], v[42:43], v[40:41], v[28:29] neg_lo:[0,0,1] neg_hi:[0,0,1]
	v_pk_fma_f32 v[28:29], v[42:43], v[40:41], v[28:29] op_sel_hi:[1,0,1]
	s_nop 0
	v_mov_b32_e32 v31, v29
	v_pk_add_f32 v[26:27], v[26:27], v[30:31]
	s_barrier
	ds_write_b64 v24, v[26:27]
	s_waitcnt lgkmcnt(0)
	s_barrier
	s_and_saveexec_b64 s[10:11], s[8:9]
	s_cbranch_execz .LBB120_88
; %bb.87:
	ds_read2_b64 v[26:29], v23 offset1:1
	ds_read2_b64 v[36:39], v23 offset0:2 offset1:3
	ds_read2_b64 v[40:43], v23 offset0:4 offset1:5
	s_waitcnt lgkmcnt(2)
	v_pk_add_f32 v[26:27], v[34:35], v[26:27]
	s_nop 0
	v_pk_add_f32 v[30:31], v[26:27], v[28:29]
	ds_read2_b64 v[26:29], v23 offset0:6 offset1:7
	s_waitcnt lgkmcnt(2)
	v_pk_add_f32 v[30:31], v[30:31], v[36:37]
	s_nop 0
	v_pk_add_f32 v[30:31], v[30:31], v[38:39]
	s_waitcnt lgkmcnt(1)
	v_pk_add_f32 v[30:31], v[30:31], v[40:41]
	s_nop 0
	v_pk_add_f32 v[30:31], v[30:31], v[42:43]
	;; [unrolled: 4-line block ×3, first 2 shown]
.LBB120_88:
	s_or_b64 exec, exec, s[10:11]
	v_pk_mul_f32 v[26:27], v[12:13], v[8:9] op_sel:[1,1] op_sel_hi:[0,1]
	v_pk_fma_f32 v[28:29], v[12:13], v[8:9], v[26:27] neg_lo:[0,0,1] neg_hi:[0,0,1]
	v_pk_fma_f32 v[8:9], v[12:13], v[8:9], v[26:27] op_sel_hi:[1,0,1]
	v_mov_b32_e32 v12, v11
	v_pk_mul_f32 v[12:13], v[14:15], v[12:13] op_sel:[1,0] op_sel_hi:[0,0]
	v_pk_fma_f32 v[26:27], v[14:15], v[10:11], v[12:13] neg_lo:[0,0,1] neg_hi:[0,0,1]
	v_pk_fma_f32 v[10:11], v[14:15], v[10:11], v[12:13] op_sel_hi:[1,0,1]
	v_mov_b32_e32 v29, v9
	v_mov_b32_e32 v27, v11
	v_pk_mul_f32 v[10:11], v[4:5], v[0:1] op_sel:[1,1] op_sel_hi:[0,1]
	v_pk_add_f32 v[8:9], v[28:29], 0 op_sel_hi:[1,0]
	v_pk_fma_f32 v[12:13], v[4:5], v[0:1], v[10:11] neg_lo:[0,0,1] neg_hi:[0,0,1]
	v_pk_fma_f32 v[0:1], v[4:5], v[0:1], v[10:11] op_sel_hi:[1,0,1]
	v_mov_b32_e32 v4, v3
	v_pk_add_f32 v[8:9], v[8:9], v[26:27]
	v_mov_b32_e32 v13, v1
	v_pk_mul_f32 v[4:5], v[6:7], v[4:5] op_sel:[1,0] op_sel_hi:[0,0]
	v_pk_add_f32 v[0:1], v[8:9], v[12:13]
	v_pk_fma_f32 v[8:9], v[6:7], v[2:3], v[4:5] neg_lo:[0,0,1] neg_hi:[0,0,1]
	v_pk_fma_f32 v[2:3], v[6:7], v[2:3], v[4:5] op_sel_hi:[1,0,1]
	s_nop 0
	v_mov_b32_e32 v9, v3
	v_pk_add_f32 v[0:1], v[0:1], v[8:9]
	s_barrier
	ds_write_b64 v24, v[0:1]
	s_waitcnt lgkmcnt(0)
	s_barrier
	s_and_saveexec_b64 s[8:9], s[6:7]
	s_cbranch_execz .LBB120_90
; %bb.89:
	ds_read2_b64 v[0:3], v23 offset1:1
	ds_read2_b64 v[4:7], v23 offset0:2 offset1:3
	ds_read2_b64 v[8:11], v23 offset0:4 offset1:5
	s_waitcnt lgkmcnt(2)
	v_pk_add_f32 v[0:1], v[34:35], v[0:1]
	s_nop 0
	v_pk_add_f32 v[12:13], v[0:1], v[2:3]
	ds_read2_b64 v[0:3], v23 offset0:6 offset1:7
	s_waitcnt lgkmcnt(2)
	v_pk_add_f32 v[4:5], v[12:13], v[4:5]
	s_nop 0
	v_pk_add_f32 v[4:5], v[4:5], v[6:7]
	s_waitcnt lgkmcnt(1)
	v_pk_add_f32 v[4:5], v[4:5], v[8:9]
	s_nop 0
	v_pk_add_f32 v[4:5], v[4:5], v[10:11]
	;; [unrolled: 4-line block ×3, first 2 shown]
.LBB120_90:
	s_or_b64 exec, exec, s[8:9]
	s_load_dwordx2 s[0:1], s[0:1], 0x68
	s_mul_hi_u32 s6, s33, s3
	s_mul_i32 s44, s44, s3
	s_add_i32 s6, s6, s44
	s_mul_i32 s3, s33, s3
	s_mul_i32 s6, s6, s52
	s_mul_hi_u32 s7, s3, s52
	s_add_i32 s7, s7, s6
	s_mul_i32 s6, s3, s52
	s_lshl_b64 s[6:7], s[6:7], 3
	s_waitcnt lgkmcnt(0)
	s_add_u32 s3, s0, s6
	s_mul_i32 s0, s33, s2
	s_addc_u32 s7, s1, s7
	s_ashr_i32 s1, s0, 31
	s_lshl_b64 s[0:1], s[0:1], 3
	s_add_u32 s6, s3, s0
	v_cmp_le_i32_e32 vcc, s24, v77
	s_addc_u32 s7, s7, s1
	s_and_b64 vcc, s[30:31], vcc
	s_cmp_lt_i32 s2, 1
	v_lshlrev_b32_e32 v36, 3, v77
	s_barrier
	s_cbranch_scc1 .LBB120_97
; %bb.91:
	s_mul_i32 s0, s48, s27
	s_mul_hi_u32 s1, s48, s26
	s_add_i32 s0, s1, s0
	s_mul_i32 s1, s49, s26
	s_add_i32 s1, s0, s1
	s_mul_i32 s0, s48, s26
	s_lshl_b64 s[0:1], s[0:1], 3
	v_mov_b32_e32 v0, s1
	v_subrev_co_u32_e64 v38, s[0:1], s0, v16
	v_lshlrev_b32_e32 v5, 2, v76
	s_nop 0
	v_subb_co_u32_e64 v39, s[0:1], v17, v0, s[0:1]
	s_lshl_b64 s[0:1], s[28:29], 3
	s_nop 0
	v_mov_b32_e32 v0, s1
	v_subrev_co_u32_e64 v2, s[0:1], s0, v20
	s_ashr_i32 s25, s24, 31
	s_nop 0
	v_subb_co_u32_e64 v3, s[0:1], v21, v0, s[0:1]
	v_lshlrev_b64 v[0:1], 3, v[18:19]
	v_sub_co_u32_e64 v0, s[0:1], v2, v0
	v_mov_b32_e32 v41, 0
	s_nop 0
	v_subb_co_u32_e64 v1, s[0:1], v3, v1, s[0:1]
	v_mad_u64_u32 v[2:3], s[0:1], s40, v5, 0
	v_mov_b32_e32 v4, v3
	v_mad_u64_u32 v[4:5], s[0:1], s41, v5, v[4:5]
	v_mov_b32_e32 v3, v4
	v_lshl_add_u64 v[0:1], v[2:3], 3, v[0:1]
	s_movk_i32 s0, 0xfef8
	v_lshl_add_u64 v[2:3], s[24:25], 3, v[0:1]
	s_mov_b32 s1, -1
	v_lshl_add_u64 v[2:3], v[2:3], 0, s[0:1]
	v_mov_b32_e32 v37, v41
	s_movk_i32 s0, 0xff00
	v_lshl_add_u64 v[0:1], v[0:1], 0, v[36:37]
	s_mov_b32 s1, -1
	v_lshl_add_u64 v[0:1], v[0:1], 0, s[0:1]
	v_cndmask_b32_e32 v43, v1, v3, vcc
	v_and_b32_e32 v1, 48, v77
	v_lshrrev_b32_e32 v6, 4, v22
	v_and_b32_e32 v7, 15, v77
	v_cndmask_b32_e32 v42, v0, v2, vcc
	v_mov_b32_e32 v0, 0x2180
	s_movk_i32 s3, 0x218
	v_lshlrev_b32_e32 v1, 3, v1
	v_lshl_add_u32 v78, v76, 5, v0
	v_lshlrev_b32_e32 v0, 5, v6
	v_mad_u32_u24 v82, v7, s3, v1
	v_or_b32_e32 v1, 0x78, v36
	v_mad_u32_u24 v81, v7, s3, v0
	v_mad_u32_u24 v83, v7, s3, v1
	s_mul_i32 s3, s41, 24
	s_mul_hi_u32 s14, s40, 24
	s_add_i32 s15, s14, s3
	s_mul_i32 s3, s41, 0x90
	s_mul_hi_u32 s16, s40, 0x90
	s_add_i32 s17, s16, s3
	s_mul_i32 s3, s41, 0x98
	s_mul_hi_u32 s20, s40, 0x98
	s_add_i32 s21, s20, s3
	s_mul_i32 s3, s41, 0x110
	s_mul_hi_u32 s24, s40, 0x110
	s_add_i32 s25, s24, s3
	s_mul_i32 s3, s41, 0x118
	s_mul_hi_u32 s26, s40, 0x118
	s_add_i32 s27, s26, s3
	s_mul_i32 s3, s41, 0x190
	s_mul_hi_u32 s28, s40, 0x190
	s_add_i32 s29, s28, s3
	s_mul_i32 s3, s41, 0x198
	s_mul_hi_u32 s30, s40, 0x198
	s_add_i32 s31, s30, s3
	s_mul_i32 s3, s41, 0x188
	s_mul_hi_u32 s33, s40, 0x188
	s_add_i32 s35, s33, s3
	s_mul_i32 s3, s41, 0x180
	s_mul_hi_u32 s33, s40, 0x180
	s_add_i32 s37, s33, s3
	s_mul_i32 s3, s41, 0x108
	s_mul_hi_u32 s33, s40, 0x108
	s_movk_i32 s0, 0x860
	v_mul_i32_i24_e32 v0, 0xffffffe8, v6
	s_add_i32 s39, s33, s3
	s_mul_i32 s3, s41, 0x88
	s_mul_hi_u32 s33, s40, 0x88
	v_add_u32_e32 v37, 0x2180, v36
	v_add_u32_e32 v79, 0x2380, v36
	v_mad_u32_u24 v80, v76, s0, v36
	v_cmp_gt_u32_e64 s[0:1], 64, v22
	s_lshl_b64 s[8:9], s[40:41], 3
	s_lshl_b64 s[10:11], s[40:41], 9
	;; [unrolled: 1-line block ×3, first 2 shown]
	s_mul_i32 s14, s40, 24
	s_mul_i32 s16, s40, 0x90
	;; [unrolled: 1-line block ×10, first 2 shown]
	s_add_i32 s43, s33, s3
	s_mul_i32 s42, s40, 0x88
	s_lshl_b64 s[40:41], s[40:41], 7
	s_mov_b32 s3, 0
	v_add_u32_e32 v84, v81, v0
	s_branch .LBB120_93
.LBB120_92:                             ;   in Loop: Header=BB120_93 Depth=1
	s_or_b64 exec, exec, s[44:45]
	v_mul_f32_e32 v40, v5, v51
	v_fma_f32 v40, v4, v50, -v40
	v_add_f32_e32 v34, v34, v40
	v_mul_f32_e32 v40, v7, v49
	v_mul_f32_e32 v5, v5, v50
	v_fma_f32 v40, v6, v48, -v40
	v_mul_f32_e32 v7, v7, v48
	v_add_f32_e32 v34, v34, v40
	v_mul_f32_e32 v40, v1, v47
	v_fmac_f32_e32 v5, v4, v51
	v_fma_f32 v40, v0, v46, -v40
	v_mul_f32_e32 v1, v1, v46
	v_add_f32_e32 v4, v35, v5
	v_fmac_f32_e32 v7, v6, v49
	v_add_f32_e32 v34, v34, v40
	v_mul_f32_e32 v40, v3, v45
	v_mul_f32_e32 v3, v3, v44
	v_add_f32_e32 v4, v4, v7
	v_fmac_f32_e32 v1, v0, v47
	v_add_f32_e32 v0, v4, v1
	v_fmac_f32_e32 v3, v2, v45
	v_fma_f32 v40, v2, v44, -v40
	v_add_f32_e32 v1, v0, v3
	v_mul_f32_e32 v0, v13, v59
	v_add_f32_e32 v34, v34, v40
	v_fma_f32 v0, v12, v58, -v0
	v_mul_f32_e32 v6, v13, v58
	v_mul_f32_e32 v2, v15, v57
	v_add_f32_e32 v0, v34, v0
	v_fma_f32 v2, v14, v56, -v2
	v_mul_f32_e32 v7, v15, v56
	v_fmac_f32_e32 v6, v12, v59
	v_add_f32_e32 v0, v0, v2
	v_mul_f32_e32 v2, v9, v53
	v_mul_f32_e32 v3, v9, v52
	v_add_f32_e32 v1, v1, v6
	v_fmac_f32_e32 v7, v14, v57
	v_fma_f32 v2, v8, v52, -v2
	v_add_f32_e32 v1, v1, v7
	v_fmac_f32_e32 v3, v8, v53
	v_mul_f32_e32 v4, v11, v55
	v_mul_f32_e32 v5, v11, v54
	v_pk_add_f32 v[0:1], v[0:1], v[2:3]
	v_mov_b32_e32 v2, v67
	v_fma_f32 v4, v10, v54, -v4
	v_fmac_f32_e32 v5, v10, v55
	v_pk_mul_f32 v[2:3], v[16:17], v[2:3] op_sel:[1,0] op_sel_hi:[0,0]
	v_pk_add_f32 v[0:1], v[0:1], v[4:5]
	v_pk_fma_f32 v[4:5], v[16:17], v[66:67], v[2:3] neg_lo:[0,0,1] neg_hi:[0,0,1]
	v_pk_fma_f32 v[2:3], v[16:17], v[66:67], v[2:3] op_sel_hi:[1,0,1]
	s_add_i32 s3, s3, 64
	v_mov_b32_e32 v2, v65
	v_mov_b32_e32 v5, v3
	v_pk_mul_f32 v[2:3], v[18:19], v[2:3] op_sel:[1,0] op_sel_hi:[0,0]
	v_pk_add_f32 v[0:1], v[0:1], v[4:5]
	v_pk_fma_f32 v[4:5], v[18:19], v[64:65], v[2:3] neg_lo:[0,0,1] neg_hi:[0,0,1]
	v_pk_fma_f32 v[2:3], v[18:19], v[64:65], v[2:3] op_sel_hi:[1,0,1]
	s_add_i32 s2, s2, -1
	v_mov_b32_e32 v2, v63
	v_mov_b32_e32 v5, v3
	v_pk_mul_f32 v[2:3], v[20:21], v[2:3] op_sel:[1,0] op_sel_hi:[0,0]
	v_pk_add_f32 v[0:1], v[0:1], v[4:5]
	v_pk_fma_f32 v[4:5], v[20:21], v[62:63], v[2:3] neg_lo:[0,0,1] neg_hi:[0,0,1]
	v_pk_fma_f32 v[2:3], v[20:21], v[62:63], v[2:3] op_sel_hi:[1,0,1]
	s_cmp_eq_u32 s2, 0
	v_mov_b32_e32 v2, v61
	v_mov_b32_e32 v5, v3
	v_pk_mul_f32 v[2:3], v[22:23], v[2:3] op_sel:[1,0] op_sel_hi:[0,0]
	v_pk_add_f32 v[0:1], v[0:1], v[4:5]
	v_pk_fma_f32 v[4:5], v[22:23], v[60:61], v[2:3] neg_lo:[0,0,1] neg_hi:[0,0,1]
	v_pk_fma_f32 v[2:3], v[22:23], v[60:61], v[2:3] op_sel_hi:[1,0,1]
	v_lshl_add_u64 v[42:43], v[42:43], 0, s[10:11]
	v_mov_b32_e32 v2, v75
	v_mov_b32_e32 v5, v3
	v_pk_mul_f32 v[2:3], v[24:25], v[2:3] op_sel:[1,0] op_sel_hi:[0,0]
	v_pk_add_f32 v[0:1], v[0:1], v[4:5]
	v_pk_fma_f32 v[4:5], v[24:25], v[74:75], v[2:3] neg_lo:[0,0,1] neg_hi:[0,0,1]
	v_pk_fma_f32 v[2:3], v[24:25], v[74:75], v[2:3] op_sel_hi:[1,0,1]
	s_nop 0
	v_mov_b32_e32 v2, v73
	v_mov_b32_e32 v5, v3
	v_pk_mul_f32 v[2:3], v[26:27], v[2:3] op_sel:[1,0] op_sel_hi:[0,0]
	v_pk_fma_f32 v[6:7], v[26:27], v[72:73], v[2:3] neg_lo:[0,0,1] neg_hi:[0,0,1]
	v_pk_fma_f32 v[2:3], v[26:27], v[72:73], v[2:3] op_sel_hi:[1,0,1]
	v_pk_add_f32 v[0:1], v[0:1], v[4:5]
	v_mov_b32_e32 v2, v71
	v_mov_b32_e32 v7, v3
	v_pk_mul_f32 v[2:3], v[28:29], v[2:3] op_sel:[1,0] op_sel_hi:[0,0]
	v_pk_fma_f32 v[8:9], v[28:29], v[70:71], v[2:3] neg_lo:[0,0,1] neg_hi:[0,0,1]
	v_pk_fma_f32 v[2:3], v[28:29], v[70:71], v[2:3] op_sel_hi:[1,0,1]
	v_pk_add_f32 v[0:1], v[0:1], v[6:7]
	;; [unrolled: 6-line block ×3, first 2 shown]
	v_mov_b32_e32 v11, v3
	v_pk_add_f32 v[34:35], v[0:1], v[10:11]
	s_barrier
	s_cbranch_scc1 .LBB120_97
.LBB120_93:                             ; =>This Inner Loop Header: Depth=1
	s_and_saveexec_b64 s[44:45], s[18:19]
	s_cbranch_execz .LBB120_95
; %bb.94:                               ;   in Loop: Header=BB120_93 Depth=1
	s_mul_i32 s33, s49, s3
	s_mul_hi_u32 s46, s48, s3
	s_add_i32 s47, s46, s33
	s_mul_i32 s46, s48, s3
	v_lshl_add_u64 v[0:1], s[46:47], 3, v[38:39]
	global_load_dwordx2 v[0:1], v[0:1], off
	s_waitcnt vmcnt(0)
	ds_write_b64 v37, v[0:1]
.LBB120_95:                             ;   in Loop: Header=BB120_93 Depth=1
	s_or_b64 exec, exec, s[44:45]
	v_lshl_add_u64 v[0:1], v[42:43], 0, s[8:9]
	s_waitcnt lgkmcnt(0)
	s_barrier
	global_load_dwordx2 v[50:51], v[42:43], off
	global_load_dwordx2 v[48:49], v[0:1], off
	v_lshl_add_u64 v[0:1], v[42:43], 0, s[12:13]
	global_load_dwordx2 v[46:47], v[0:1], off
	v_lshl_add_u64 v[0:1], v[42:43], 0, s[14:15]
	global_load_dwordx2 v[44:45], v[0:1], off
	ds_read_b64 v[8:9], v79
	ds_read_b128 v[4:7], v78
	ds_read_b128 v[0:3], v78 offset:16
	v_lshl_add_u64 v[10:11], v[42:43], 0, s[40:41]
	v_lshl_add_u64 v[70:71], v[42:43], 0, s[36:37]
	s_waitcnt vmcnt(3) lgkmcnt(2)
	v_mul_f32_e32 v12, v9, v51
	v_mul_f32_e32 v13, v9, v50
	s_waitcnt vmcnt(2)
	v_mul_f32_e32 v14, v9, v49
	v_mul_f32_e32 v15, v9, v48
	s_waitcnt vmcnt(1)
	;; [unrolled: 3-line block ×3, first 2 shown]
	v_mul_f32_e32 v18, v9, v45
	v_mul_f32_e32 v19, v8, v45
	v_fma_f32 v12, v8, v50, -v12
	v_fmac_f32_e32 v13, v8, v51
	v_fma_f32 v14, v8, v48, -v14
	v_fmac_f32_e32 v15, v8, v49
	;; [unrolled: 2-line block ×4, first 2 shown]
	v_lshl_add_u64 v[8:9], v[42:43], 0, s[42:43]
	ds_write2_b64 v80, v[12:13], v[14:15] offset1:67
	ds_write2_b64 v80, v[16:17], v[18:19] offset0:134 offset1:201
	s_waitcnt lgkmcnt(0)
	s_barrier
	ds_read2_b64 v[24:27], v81 offset1:1
	ds_read2_b64 v[28:31], v81 offset0:2 offset1:3
	s_waitcnt lgkmcnt(0)
	s_barrier
	global_load_dwordx2 v[58:59], v[10:11], off
	global_load_dwordx2 v[56:57], v[8:9], off
	v_lshl_add_u64 v[8:9], v[42:43], 0, s[16:17]
	global_load_dwordx2 v[52:53], v[8:9], off
	v_lshl_add_u64 v[8:9], v[42:43], 0, s[20:21]
	global_load_dwordx2 v[54:55], v[8:9], off
	ds_read_b64 v[16:17], v79
	v_lshl_add_u64 v[18:19], v[42:43], 0, s[22:23]
	ds_read_b128 v[12:15], v78 offset:128
	ds_read_b128 v[8:11], v78 offset:144
	v_pk_add_f32 v[24:25], v[24:25], 0 op_sel_hi:[1,0]
	s_waitcnt vmcnt(3) lgkmcnt(2)
	v_mul_f32_e32 v20, v17, v59
	v_mul_f32_e32 v21, v17, v58
	s_waitcnt vmcnt(2)
	v_mul_f32_e32 v22, v17, v57
	v_mul_f32_e32 v23, v17, v56
	s_waitcnt vmcnt(1)
	;; [unrolled: 3-line block ×3, first 2 shown]
	v_mul_f32_e32 v62, v17, v55
	v_mul_f32_e32 v63, v16, v55
	v_fma_f32 v20, v16, v58, -v20
	v_fmac_f32_e32 v21, v16, v59
	v_fma_f32 v22, v16, v56, -v22
	v_fmac_f32_e32 v23, v16, v57
	;; [unrolled: 2-line block ×4, first 2 shown]
	v_lshl_add_u64 v[16:17], v[42:43], 0, s[38:39]
	ds_write2_b64 v80, v[20:21], v[22:23] offset1:67
	ds_write2_b64 v80, v[60:61], v[62:63] offset0:134 offset1:201
	s_waitcnt lgkmcnt(0)
	s_barrier
	ds_read2_b64 v[86:89], v81 offset1:1
	ds_read2_b64 v[90:93], v81 offset0:2 offset1:3
	s_waitcnt lgkmcnt(0)
	s_barrier
	global_load_dwordx2 v[66:67], v[18:19], off
	global_load_dwordx2 v[64:65], v[16:17], off
	v_lshl_add_u64 v[16:17], v[42:43], 0, s[24:25]
	global_load_dwordx2 v[62:63], v[16:17], off
	v_lshl_add_u64 v[16:17], v[42:43], 0, s[26:27]
	global_load_dwordx2 v[60:61], v[16:17], off
	ds_read_b64 v[68:69], v79
	ds_read_b128 v[16:19], v78 offset:256
	ds_read_b128 v[20:23], v78 offset:272
	v_pk_add_f32 v[24:25], v[24:25], v[26:27]
	s_waitcnt vmcnt(3) lgkmcnt(2)
	v_mul_f32_e32 v40, v69, v67
	v_mul_f32_e32 v73, v69, v66
	s_waitcnt vmcnt(2)
	v_mul_f32_e32 v74, v69, v65
	v_mul_f32_e32 v75, v69, v64
	s_waitcnt vmcnt(1)
	;; [unrolled: 3-line block ×3, first 2 shown]
	v_mul_f32_e32 v96, v69, v61
	v_mul_f32_e32 v97, v68, v61
	v_fma_f32 v72, v68, v66, -v40
	v_fma_f32 v74, v68, v64, -v74
	;; [unrolled: 1-line block ×4, first 2 shown]
	v_fmac_f32_e32 v73, v68, v67
	v_fmac_f32_e32 v75, v68, v65
	;; [unrolled: 1-line block ×4, first 2 shown]
	v_lshl_add_u64 v[68:69], v[42:43], 0, s[34:35]
	ds_write2_b64 v80, v[72:73], v[74:75] offset1:67
	ds_write2_b64 v80, v[94:95], v[96:97] offset0:134 offset1:201
	s_waitcnt lgkmcnt(0)
	s_barrier
	ds_read2_b64 v[94:97], v81 offset1:1
	ds_read2_b64 v[98:101], v81 offset0:2 offset1:3
	s_waitcnt lgkmcnt(0)
	s_barrier
	global_load_dwordx2 v[74:75], v[70:71], off
	global_load_dwordx2 v[72:73], v[68:69], off
	v_lshl_add_u64 v[68:69], v[42:43], 0, s[28:29]
	global_load_dwordx2 v[70:71], v[68:69], off
	v_lshl_add_u64 v[68:69], v[42:43], 0, s[30:31]
	global_load_dwordx2 v[68:69], v[68:69], off
	v_pk_add_f32 v[24:25], v[24:25], v[28:29]
	s_nop 0
	v_pk_add_f32 v[102:103], v[24:25], v[30:31]
	v_pk_add_f32 v[24:25], v[86:87], 0 op_sel_hi:[1,0]
	s_nop 0
	v_pk_add_f32 v[24:25], v[24:25], v[88:89]
	v_pk_add_f32 v[88:89], v[94:95], 0 op_sel_hi:[1,0]
	v_pk_add_f32 v[24:25], v[24:25], v[90:91]
	v_pk_add_f32 v[88:89], v[88:89], v[96:97]
	v_pk_add_f32 v[104:105], v[24:25], v[92:93]
	ds_read_b64 v[86:87], v79
	ds_read_b128 v[24:27], v78 offset:384
	ds_read_b128 v[28:31], v78 offset:400
	v_pk_add_f32 v[88:89], v[88:89], v[98:99]
	s_waitcnt vmcnt(3) lgkmcnt(2)
	v_mul_f32_e32 v40, v87, v75
	v_pk_add_f32 v[94:95], v[88:89], v[100:101]
	v_mul_f32_e32 v89, v87, v74
	s_waitcnt vmcnt(2)
	v_mul_f32_e32 v85, v87, v73
	v_mul_f32_e32 v91, v87, v72
	s_waitcnt vmcnt(1)
	v_mul_f32_e32 v92, v87, v71
	;; [unrolled: 3-line block ×3, first 2 shown]
	v_mul_f32_e32 v97, v86, v69
	v_fma_f32 v88, v86, v74, -v40
	v_fma_f32 v90, v86, v72, -v85
	v_fmac_f32_e32 v89, v86, v75
	v_fmac_f32_e32 v91, v86, v73
	v_fma_f32 v92, v86, v70, -v92
	v_fmac_f32_e32 v93, v86, v71
	v_fma_f32 v96, v86, v68, -v96
	v_fmac_f32_e32 v97, v87, v68
	ds_write2_b64 v80, v[88:89], v[90:91] offset1:67
	ds_write2_b64 v80, v[92:93], v[96:97] offset0:134 offset1:201
	s_waitcnt lgkmcnt(0)
	s_barrier
	ds_read2_b64 v[86:89], v81 offset1:1
	ds_read2_b64 v[90:93], v81 offset0:2 offset1:3
	s_waitcnt lgkmcnt(0)
	s_barrier
	v_pk_add_f32 v[86:87], v[86:87], 0 op_sel_hi:[1,0]
	ds_write2_b64 v84, v[102:103], v[104:105] offset1:16
	v_pk_add_f32 v[86:87], v[86:87], v[88:89]
	s_nop 0
	v_pk_add_f32 v[86:87], v[86:87], v[90:91]
	s_nop 0
	v_pk_add_f32 v[86:87], v[86:87], v[92:93]
	ds_write2_b64 v84, v[94:95], v[86:87] offset0:32 offset1:48
	s_waitcnt lgkmcnt(0)
	s_barrier
	s_and_saveexec_b64 s[44:45], s[0:1]
	s_cbranch_execz .LBB120_92
; %bb.96:                               ;   in Loop: Header=BB120_93 Depth=1
	ds_read_b64 v[94:95], v82
	ds_read2_b64 v[86:89], v82 offset0:1 offset1:2
	ds_read2_b64 v[90:93], v82 offset0:3 offset1:4
	s_waitcnt lgkmcnt(1)
	v_add_f32_e32 v40, v86, v94
	v_add_f32_e32 v85, v87, v95
	;; [unrolled: 1-line block ×4, first 2 shown]
	ds_read2_b64 v[86:89], v82 offset0:5 offset1:6
	s_waitcnt lgkmcnt(1)
	v_add_f32_e32 v40, v40, v90
	v_add_f32_e32 v85, v85, v91
	;; [unrolled: 1-line block ×4, first 2 shown]
	ds_read2_b64 v[90:93], v82 offset0:7 offset1:8
	s_waitcnt lgkmcnt(1)
	v_pk_add_f32 v[86:87], v[94:95], v[86:87]
	ds_read2_b64 v[94:97], v82 offset0:9 offset1:10
	v_pk_add_f32 v[86:87], v[86:87], v[88:89]
	v_add_u32_e32 v40, s3, v77
	s_waitcnt lgkmcnt(1)
	v_pk_add_f32 v[86:87], v[86:87], v[90:91]
	v_lshl_add_u64 v[98:99], v[40:41], 3, s[6:7]
	v_pk_add_f32 v[90:91], v[86:87], v[92:93]
	ds_read2_b64 v[86:89], v82 offset0:11 offset1:12
	s_waitcnt lgkmcnt(1)
	v_pk_add_f32 v[94:95], v[90:91], v[94:95]
	ds_read2_b64 v[90:93], v82 offset0:13 offset1:14
	v_pk_add_f32 v[94:95], v[94:95], v[96:97]
	ds_read_b64 v[96:97], v83
	s_waitcnt lgkmcnt(2)
	v_pk_add_f32 v[86:87], v[94:95], v[86:87]
	s_nop 0
	v_pk_add_f32 v[86:87], v[86:87], v[88:89]
	s_waitcnt lgkmcnt(1)
	v_pk_add_f32 v[86:87], v[86:87], v[90:91]
	s_nop 0
	v_pk_add_f32 v[86:87], v[86:87], v[92:93]
	s_waitcnt lgkmcnt(0)
	v_pk_add_f32 v[86:87], v[86:87], v[96:97]
	global_store_dwordx2 v[98:99], v[86:87], off
	s_branch .LBB120_92
.LBB120_97:
	s_movk_i32 s0, 0x218
	v_mad_u32_u24 v0, v76, s0, v36
	s_nor_b64 s[0:1], s[4:5], vcc
	ds_write_b64 v0, v[34:35]
	s_waitcnt lgkmcnt(0)
	s_barrier
	s_and_saveexec_b64 s[2:3], s[0:1]
	s_cbranch_execz .LBB120_99
; %bb.98:
	ds_read2_b64 v[0:3], v36 offset1:67
	ds_read2_b64 v[4:7], v36 offset0:134 offset1:201
	v_lshl_add_u64 v[8:9], v[32:33], 3, s[6:7]
	s_waitcnt lgkmcnt(1)
	v_pk_add_f32 v[0:1], v[2:3], v[0:1]
	s_waitcnt lgkmcnt(0)
	v_pk_add_f32 v[0:1], v[4:5], v[0:1]
	s_nop 0
	v_pk_add_f32 v[0:1], v[0:1], v[6:7]
	global_store_dwordx2 v[8:9], v[0:1], off
.LBB120_99:
	s_endpgm
	.section	.rodata,"a",@progbits
	.p2align	6, 0x0
	.amdhsa_kernel _ZL26rocblas_hemvn_kernel_lowerILb0ELi64ELi4ELi33ELi32ELi16El19rocblas_complex_numIfEPKS1_PS1_EviT6_lT7_lT5_lS6_lS7_lS5_lT8_i
		.amdhsa_group_segment_fixed_size 9600
		.amdhsa_private_segment_fixed_size 0
		.amdhsa_kernarg_size 376
		.amdhsa_user_sgpr_count 2
		.amdhsa_user_sgpr_dispatch_ptr 0
		.amdhsa_user_sgpr_queue_ptr 0
		.amdhsa_user_sgpr_kernarg_segment_ptr 1
		.amdhsa_user_sgpr_dispatch_id 0
		.amdhsa_user_sgpr_kernarg_preload_length 0
		.amdhsa_user_sgpr_kernarg_preload_offset 0
		.amdhsa_user_sgpr_private_segment_size 0
		.amdhsa_uses_dynamic_stack 0
		.amdhsa_enable_private_segment 0
		.amdhsa_system_sgpr_workgroup_id_x 1
		.amdhsa_system_sgpr_workgroup_id_y 0
		.amdhsa_system_sgpr_workgroup_id_z 1
		.amdhsa_system_sgpr_workgroup_info 0
		.amdhsa_system_vgpr_workitem_id 1
		.amdhsa_next_free_vgpr 106
		.amdhsa_next_free_sgpr 53
		.amdhsa_accum_offset 108
		.amdhsa_reserve_vcc 1
		.amdhsa_float_round_mode_32 0
		.amdhsa_float_round_mode_16_64 0
		.amdhsa_float_denorm_mode_32 3
		.amdhsa_float_denorm_mode_16_64 3
		.amdhsa_dx10_clamp 1
		.amdhsa_ieee_mode 1
		.amdhsa_fp16_overflow 0
		.amdhsa_tg_split 0
		.amdhsa_exception_fp_ieee_invalid_op 0
		.amdhsa_exception_fp_denorm_src 0
		.amdhsa_exception_fp_ieee_div_zero 0
		.amdhsa_exception_fp_ieee_overflow 0
		.amdhsa_exception_fp_ieee_underflow 0
		.amdhsa_exception_fp_ieee_inexact 0
		.amdhsa_exception_int_div_zero 0
	.end_amdhsa_kernel
	.section	.text._ZL26rocblas_hemvn_kernel_lowerILb0ELi64ELi4ELi33ELi32ELi16El19rocblas_complex_numIfEPKS1_PS1_EviT6_lT7_lT5_lS6_lS7_lS5_lT8_i,"axG",@progbits,_ZL26rocblas_hemvn_kernel_lowerILb0ELi64ELi4ELi33ELi32ELi16El19rocblas_complex_numIfEPKS1_PS1_EviT6_lT7_lT5_lS6_lS7_lS5_lT8_i,comdat
.Lfunc_end120:
	.size	_ZL26rocblas_hemvn_kernel_lowerILb0ELi64ELi4ELi33ELi32ELi16El19rocblas_complex_numIfEPKS1_PS1_EviT6_lT7_lT5_lS6_lS7_lS5_lT8_i, .Lfunc_end120-_ZL26rocblas_hemvn_kernel_lowerILb0ELi64ELi4ELi33ELi32ELi16El19rocblas_complex_numIfEPKS1_PS1_EviT6_lT7_lT5_lS6_lS7_lS5_lT8_i
                                        ; -- End function
	.set _ZL26rocblas_hemvn_kernel_lowerILb0ELi64ELi4ELi33ELi32ELi16El19rocblas_complex_numIfEPKS1_PS1_EviT6_lT7_lT5_lS6_lS7_lS5_lT8_i.num_vgpr, 106
	.set _ZL26rocblas_hemvn_kernel_lowerILb0ELi64ELi4ELi33ELi32ELi16El19rocblas_complex_numIfEPKS1_PS1_EviT6_lT7_lT5_lS6_lS7_lS5_lT8_i.num_agpr, 0
	.set _ZL26rocblas_hemvn_kernel_lowerILb0ELi64ELi4ELi33ELi32ELi16El19rocblas_complex_numIfEPKS1_PS1_EviT6_lT7_lT5_lS6_lS7_lS5_lT8_i.numbered_sgpr, 53
	.set _ZL26rocblas_hemvn_kernel_lowerILb0ELi64ELi4ELi33ELi32ELi16El19rocblas_complex_numIfEPKS1_PS1_EviT6_lT7_lT5_lS6_lS7_lS5_lT8_i.num_named_barrier, 0
	.set _ZL26rocblas_hemvn_kernel_lowerILb0ELi64ELi4ELi33ELi32ELi16El19rocblas_complex_numIfEPKS1_PS1_EviT6_lT7_lT5_lS6_lS7_lS5_lT8_i.private_seg_size, 0
	.set _ZL26rocblas_hemvn_kernel_lowerILb0ELi64ELi4ELi33ELi32ELi16El19rocblas_complex_numIfEPKS1_PS1_EviT6_lT7_lT5_lS6_lS7_lS5_lT8_i.uses_vcc, 1
	.set _ZL26rocblas_hemvn_kernel_lowerILb0ELi64ELi4ELi33ELi32ELi16El19rocblas_complex_numIfEPKS1_PS1_EviT6_lT7_lT5_lS6_lS7_lS5_lT8_i.uses_flat_scratch, 0
	.set _ZL26rocblas_hemvn_kernel_lowerILb0ELi64ELi4ELi33ELi32ELi16El19rocblas_complex_numIfEPKS1_PS1_EviT6_lT7_lT5_lS6_lS7_lS5_lT8_i.has_dyn_sized_stack, 0
	.set _ZL26rocblas_hemvn_kernel_lowerILb0ELi64ELi4ELi33ELi32ELi16El19rocblas_complex_numIfEPKS1_PS1_EviT6_lT7_lT5_lS6_lS7_lS5_lT8_i.has_recursion, 0
	.set _ZL26rocblas_hemvn_kernel_lowerILb0ELi64ELi4ELi33ELi32ELi16El19rocblas_complex_numIfEPKS1_PS1_EviT6_lT7_lT5_lS6_lS7_lS5_lT8_i.has_indirect_call, 0
	.section	.AMDGPU.csdata,"",@progbits
; Kernel info:
; codeLenInByte = 7560
; TotalNumSgprs: 59
; NumVgprs: 106
; NumAgprs: 0
; TotalNumVgprs: 106
; ScratchSize: 0
; MemoryBound: 1
; FloatMode: 240
; IeeeMode: 1
; LDSByteSize: 9600 bytes/workgroup (compile time only)
; SGPRBlocks: 7
; VGPRBlocks: 13
; NumSGPRsForWavesPerEU: 59
; NumVGPRsForWavesPerEU: 106
; AccumOffset: 108
; Occupancy: 4
; WaveLimiterHint : 0
; COMPUTE_PGM_RSRC2:SCRATCH_EN: 0
; COMPUTE_PGM_RSRC2:USER_SGPR: 2
; COMPUTE_PGM_RSRC2:TRAP_HANDLER: 0
; COMPUTE_PGM_RSRC2:TGID_X_EN: 1
; COMPUTE_PGM_RSRC2:TGID_Y_EN: 0
; COMPUTE_PGM_RSRC2:TGID_Z_EN: 1
; COMPUTE_PGM_RSRC2:TIDIG_COMP_CNT: 1
; COMPUTE_PGM_RSRC3_GFX90A:ACCUM_OFFSET: 26
; COMPUTE_PGM_RSRC3_GFX90A:TG_SPLIT: 0
	.section	.text._ZL26rocblas_hemvn_kernel_lowerILb0ELi64ELi4ELi33ELi32ELi16Ei19rocblas_complex_numIfEPKS1_PS1_EviT6_lT7_lT5_lS6_lS7_lS5_lT8_i,"axG",@progbits,_ZL26rocblas_hemvn_kernel_lowerILb0ELi64ELi4ELi33ELi32ELi16Ei19rocblas_complex_numIfEPKS1_PS1_EviT6_lT7_lT5_lS6_lS7_lS5_lT8_i,comdat
	.globl	_ZL26rocblas_hemvn_kernel_lowerILb0ELi64ELi4ELi33ELi32ELi16Ei19rocblas_complex_numIfEPKS1_PS1_EviT6_lT7_lT5_lS6_lS7_lS5_lT8_i ; -- Begin function _ZL26rocblas_hemvn_kernel_lowerILb0ELi64ELi4ELi33ELi32ELi16Ei19rocblas_complex_numIfEPKS1_PS1_EviT6_lT7_lT5_lS6_lS7_lS5_lT8_i
	.p2align	8
	.type	_ZL26rocblas_hemvn_kernel_lowerILb0ELi64ELi4ELi33ELi32ELi16Ei19rocblas_complex_numIfEPKS1_PS1_EviT6_lT7_lT5_lS6_lS7_lS5_lT8_i,@function
_ZL26rocblas_hemvn_kernel_lowerILb0ELi64ELi4ELi33ELi32ELi16Ei19rocblas_complex_numIfEPKS1_PS1_EviT6_lT7_lT5_lS6_lS7_lS5_lT8_i: ; @_ZL26rocblas_hemvn_kernel_lowerILb0ELi64ELi4ELi33ELi32ELi16Ei19rocblas_complex_numIfEPKS1_PS1_EviT6_lT7_lT5_lS6_lS7_lS5_lT8_i
; %bb.0:
	s_load_dwordx2 s[6:7], s[0:1], 0x84
	s_add_u32 s4, s0, 0x78
	s_addc_u32 s5, s1, 0
	s_waitcnt lgkmcnt(0)
	s_lshr_b32 s8, s6, 16
	s_and_b32 s6, s6, 0xffff
	s_and_b32 s7, s7, 0xffff
	s_mul_i32 s6, s8, s6
	s_mul_i32 s6, s6, s7
	s_cmpk_lg_i32 s6, 0x100
	s_cbranch_scc1 .LBB121_99
; %bb.1:
	s_load_dwordx2 s[6:7], s[0:1], 0x4
	s_mov_b64 s[8:9], -1
	s_waitcnt lgkmcnt(0)
	s_or_b32 s6, s6, s7
	s_bitset0_b32 s6, 31
	s_cmp_lg_u32 s6, 0
	s_cselect_b64 s[6:7], -1, 0
	s_and_b64 vcc, exec, s[6:7]
	s_cbranch_vccnz .LBB121_3
; %bb.2:
	s_load_dwordx2 s[8:9], s[0:1], 0x58
	s_waitcnt lgkmcnt(0)
	v_cmp_neq_f32_e64 s[10:11], s8, 1.0
	v_cmp_neq_f32_e64 s[8:9], s9, 0
	s_or_b64 s[8:9], s[10:11], s[8:9]
.LBB121_3:
	s_andn2_b64 vcc, exec, s[8:9]
	s_cbranch_vccnz .LBB121_99
; %bb.4:
	s_andn2_b64 vcc, exec, s[6:7]
	s_cbranch_vccnz .LBB121_99
; %bb.5:
	s_load_dwordx2 s[6:7], s[0:1], 0x40
	s_load_dwordx2 s[12:13], s[0:1], 0x50
	s_load_dword s33, s[0:1], 0x48
	s_load_dword s39, s[4:5], 0x0
	;; [unrolled: 1-line block ×3, first 2 shown]
	s_load_dwordx4 s[8:11], s[0:1], 0x30
	s_waitcnt lgkmcnt(0)
	s_mul_i32 s4, s13, s3
	s_mul_hi_u32 s5, s12, s3
	s_add_i32 s5, s5, s4
	s_mul_i32 s4, s12, s3
	s_lshl_b64 s[4:5], s[4:5], 3
	s_add_u32 s10, s10, s4
	s_addc_u32 s11, s11, s5
	s_lshl_b64 s[4:5], s[6:7], 3
	s_add_u32 s4, s10, s4
	s_addc_u32 s5, s11, s5
	s_ashr_i32 s40, s38, 31
	s_lshr_b32 s7, s40, 26
	v_and_b32_e32 v34, 0x3ff, v0
	s_lshl_b32 s26, s2, 6
	s_add_i32 s7, s38, s7
	s_andn2_b32 s7, s7, 63
	v_add_u32_e32 v32, s26, v34
	v_bfe_u32 v33, v0, 10, 10
	s_add_i32 s6, s39, -1
	s_sub_i32 s7, s38, s7
	v_mul_lo_u32 v0, s33, v32
	s_cmp_eq_u32 s2, s6
	v_ashrrev_i32_e32 v1, 31, v0
	s_cselect_b32 s24, s7, 0
	v_lshl_add_u64 v[16:17], v[0:1], 3, s[4:5]
	v_cmp_ne_u32_e64 s[4:5], 0, v33
	v_cmp_eq_u32_e64 s[18:19], 0, v33
	s_and_saveexec_b64 s[6:7], s[18:19]
	s_cbranch_execz .LBB121_10
; %bb.6:
	s_cmp_lg_u32 s24, 0
	s_cselect_b64 s[10:11], -1, 0
	v_cmp_le_i32_e32 vcc, s24, v34
	v_mov_b32_e32 v0, 0x2380
	s_and_b64 s[10:11], s[10:11], vcc
	v_lshl_add_u32 v0, v34, 3, v0
	s_and_saveexec_b64 s[12:13], s[10:11]
	s_xor_b64 s[10:11], exec, s[12:13]
; %bb.7:
	v_mov_b32_e32 v2, 0
	v_mov_b32_e32 v3, v2
	ds_write_b64 v0, v[2:3]
                                        ; implicit-def: $vgpr0
; %bb.8:
	s_andn2_saveexec_b64 s[10:11], s[10:11]
	s_cbranch_execz .LBB121_10
; %bb.9:
	global_load_dwordx2 v[2:3], v[16:17], off
	s_waitcnt vmcnt(0)
	ds_write_b64 v0, v[2:3]
.LBB121_10:
	s_or_b64 exec, exec, s[6:7]
	s_load_dwordx4 s[12:15], s[0:1], 0x18
	s_load_dword s22, s[0:1], 0x28
	s_mul_i32 s6, s9, s3
	s_mul_hi_u32 s7, s8, s3
	s_add_i32 s7, s7, s6
	s_mul_i32 s6, s8, s3
	s_lshl_b64 s[6:7], s[6:7], 3
	s_waitcnt lgkmcnt(0)
	s_add_u32 s8, s12, s6
	s_addc_u32 s9, s13, s7
	s_lshl_b64 s[6:7], s[14:15], 3
	s_add_u32 s8, s8, s6
	s_addc_u32 s9, s9, s7
	s_ashr_i32 s27, s26, 31
	v_lshl_add_u32 v22, v33, 6, v34
	s_lshl_b64 s[6:7], s[26:27], 3
	v_and_b32_e32 v2, 31, v34
	v_lshrrev_b32_e32 v8, 5, v22
	s_add_u32 s6, s8, s6
	s_mul_i32 s28, s22, s26
	s_addc_u32 s7, s9, s7
	v_mad_u64_u32 v[18:19], s[8:9], s22, v8, v[2:3]
	s_ashr_i32 s29, s28, 31
	v_ashrrev_i32_e32 v19, 31, v18
	s_cmp_lg_u32 s24, 0
	v_lshl_add_u64 v[0:1], v[18:19], 3, s[6:7]
	s_cselect_b64 s[30:31], -1, 0
	s_cmp_eq_u32 s24, 0
	v_lshl_add_u64 v[4:5], s[28:29], 3, v[0:1]
	s_cselect_b64 s[20:21], -1, 0
	s_mov_b64 s[6:7], -1
	s_and_b64 vcc, exec, s[30:31]
	s_cbranch_vccnz .LBB121_12
; %bb.11:
	s_lshl_b32 s6, s22, 3
	s_ashr_i32 s7, s6, 31
	s_ashr_i32 s23, s22, 31
	v_lshl_add_u64 v[0:1], s[6:7], 3, v[4:5]
	s_lshl_b64 s[6:7], s[22:23], 6
	v_lshl_add_u64 v[6:7], v[0:1], 0, s[6:7]
	v_lshl_add_u64 v[10:11], v[6:7], 0, s[6:7]
	global_load_dwordx2 v[12:13], v[4:5], off
	global_load_dwordx2 v[14:15], v[0:1], off
	;; [unrolled: 1-line block ×4, first 2 shown]
	v_mul_u32_u24_e32 v0, 0x108, v8
	v_lshl_add_u32 v0, v2, 3, v0
	s_mov_b64 s[6:7], 0
	s_waitcnt vmcnt(3)
	ds_write_b64 v0, v[12:13]
	s_waitcnt vmcnt(2)
	ds_write_b64 v0, v[14:15] offset:2112
	s_waitcnt vmcnt(1)
	ds_write_b64 v0, v[20:21] offset:4224
	;; [unrolled: 2-line block ×3, first 2 shown]
.LBB121_12:
	s_andn2_b64 vcc, exec, s[6:7]
	v_lshlrev_b32_e32 v0, 3, v2
	s_cbranch_vccnz .LBB121_28
; %bb.13:
	v_sub_co_u32_e32 v6, vcc, v4, v0
	s_ashr_i32 s25, s24, 31
	s_nop 0
	v_subbrev_co_u32_e32 v7, vcc, 0, v5, vcc
	v_lshl_add_u64 v[6:7], s[24:25], 3, v[6:7]
	v_mov_b32_e32 v10, 0
	v_lshl_add_u64 v[6:7], v[6:7], 0, -8
	v_cmp_gt_i32_e32 vcc, s24, v2
	v_cmp_gt_i32_e64 s[6:7], s24, v8
	v_mov_b32_e32 v11, v10
	v_cndmask_b32_e32 v7, v7, v5, vcc
	v_cndmask_b32_e32 v6, v6, v4, vcc
	s_and_saveexec_b64 s[8:9], s[6:7]
	s_cbranch_execz .LBB121_15
; %bb.14:
	global_load_dwordx2 v[10:11], v[6:7], off
.LBB121_15:
	s_or_b64 exec, exec, s[8:9]
	s_movk_i32 s6, 0x108
	v_mad_u32_u24 v3, v8, s6, v0
	s_waitcnt vmcnt(0)
	ds_write_b64 v3, v[10:11]
	v_add_u32_e32 v3, 8, v8
	v_mul_u32_u24_e32 v1, 0x108, v8
	v_cmp_le_i32_e64 s[6:7], s24, v3
	s_and_saveexec_b64 s[8:9], s[6:7]
	s_xor_b64 s[6:7], exec, s[8:9]
; %bb.16:
	v_mov_b32_e32 v10, 0
	v_add_u32_e32 v3, v1, v0
	v_mov_b32_e32 v11, v10
	ds_write_b64 v3, v[10:11] offset:2112
; %bb.17:
	s_andn2_saveexec_b64 s[6:7], s[6:7]
	s_cbranch_execz .LBB121_19
; %bb.18:
	s_lshl_b32 s8, s22, 3
	s_ashr_i32 s9, s8, 31
	v_lshl_add_u64 v[10:11], s[8:9], 3, v[6:7]
	global_load_dwordx2 v[10:11], v[10:11], off
	v_add_u32_e32 v3, v1, v0
	s_waitcnt vmcnt(0)
	ds_write_b64 v3, v[10:11] offset:2112
.LBB121_19:
	s_or_b64 exec, exec, s[6:7]
	v_add_u32_e32 v3, 16, v8
	v_cmp_le_i32_e64 s[6:7], s24, v3
	s_and_saveexec_b64 s[8:9], s[6:7]
	s_xor_b64 s[6:7], exec, s[8:9]
; %bb.20:
	v_mov_b32_e32 v10, 0
	v_add_u32_e32 v3, v1, v0
	v_mov_b32_e32 v11, v10
	ds_write_b64 v3, v[10:11] offset:4224
; %bb.21:
	s_andn2_saveexec_b64 s[6:7], s[6:7]
	s_cbranch_execz .LBB121_23
; %bb.22:
	s_lshl_b32 s8, s22, 4
	s_ashr_i32 s9, s8, 31
	v_lshl_add_u64 v[10:11], s[8:9], 3, v[6:7]
	global_load_dwordx2 v[10:11], v[10:11], off
	v_add_u32_e32 v3, v1, v0
	s_waitcnt vmcnt(0)
	ds_write_b64 v3, v[10:11] offset:4224
.LBB121_23:
	s_or_b64 exec, exec, s[6:7]
	v_add_u32_e32 v3, 24, v8
	v_cmp_le_i32_e64 s[6:7], s24, v3
	s_and_saveexec_b64 s[8:9], s[6:7]
	s_xor_b64 s[6:7], exec, s[8:9]
; %bb.24:
	v_mov_b32_e32 v10, 0
	v_add_u32_e32 v1, v1, v0
	v_mov_b32_e32 v11, v10
	ds_write_b64 v1, v[10:11] offset:6336
                                        ; implicit-def: $vgpr1
; %bb.25:
	s_andn2_saveexec_b64 s[6:7], s[6:7]
	s_cbranch_execz .LBB121_27
; %bb.26:
	s_mul_i32 s8, s22, 24
	s_ashr_i32 s9, s8, 31
	v_lshl_add_u64 v[10:11], s[8:9], 3, v[6:7]
	global_load_dwordx2 v[10:11], v[10:11], off
	v_add_u32_e32 v1, v1, v0
	s_waitcnt vmcnt(0)
	ds_write_b64 v1, v[10:11] offset:6336
.LBB121_27:
	s_or_b64 exec, exec, s[6:7]
	v_mov_b32_e32 v1, 0
	v_lshl_add_u64 v[6:7], v[6:7], 0, v[0:1]
	s_lshl_b64 s[6:7], s[24:25], 3
	v_mov_b32_e32 v1, s7
	v_subrev_co_u32_e64 v6, s[6:7], s6, v6
	s_nop 1
	v_subb_co_u32_e64 v7, s[6:7], v7, v1, s[6:7]
	v_lshl_add_u64 v[6:7], v[6:7], 0, 8
	v_cndmask_b32_e32 v5, v7, v5, vcc
	v_cndmask_b32_e32 v4, v6, v4, vcc
.LBB121_28:
	v_lshlrev_b32_e32 v9, 2, v8
	v_lshl_or_b32 v1, v2, 8, v0
	v_cmp_lt_u32_e64 s[8:9], v9, v2
	s_waitcnt lgkmcnt(0)
	s_barrier
	s_and_saveexec_b64 s[6:7], s[8:9]
	s_cbranch_execz .LBB121_30
; %bb.29:
	s_movk_i32 s10, 0x420
	v_mad_u32_u24 v3, v8, s10, v0
	ds_read_b64 v[6:7], v3
	v_lshl_add_u32 v3, v9, 3, v1
	s_waitcnt lgkmcnt(0)
	ds_write_b64 v3, v[6:7]
.LBB121_30:
	s_or_b64 exec, exec, s[6:7]
	v_or_b32_e32 v3, 1, v9
	v_cmp_lt_u32_e64 s[10:11], v3, v2
	s_and_saveexec_b64 s[6:7], s[10:11]
	s_cbranch_execz .LBB121_32
; %bb.31:
	s_movk_i32 s12, 0x108
	v_mad_u32_u24 v6, v3, s12, v0
	ds_read_b64 v[6:7], v6
	v_lshl_add_u32 v10, v9, 3, v1
	s_waitcnt lgkmcnt(0)
	ds_write_b64 v10, v[6:7] offset:8
.LBB121_32:
	s_or_b64 exec, exec, s[6:7]
	v_or_b32_e32 v6, 2, v9
	v_cmp_lt_u32_e64 s[12:13], v6, v2
	s_and_saveexec_b64 s[6:7], s[12:13]
	s_cbranch_execz .LBB121_34
; %bb.33:
	s_movk_i32 s14, 0x108
	v_mad_u32_u24 v6, v6, s14, v0
	ds_read_b64 v[6:7], v6
	v_lshl_add_u32 v10, v9, 3, v1
	s_waitcnt lgkmcnt(0)
	ds_write_b64 v10, v[6:7] offset:16
.LBB121_34:
	s_or_b64 exec, exec, s[6:7]
	v_or_b32_e32 v7, 3, v9
	v_cmp_lt_u32_e64 s[14:15], v7, v2
	v_cmp_ge_u32_e32 vcc, v7, v2
                                        ; implicit-def: $vgpr6
	s_and_saveexec_b64 s[6:7], vcc
	s_xor_b64 s[6:7], exec, s[6:7]
; %bb.35:
	v_mul_u32_u24_e32 v6, 0x108, v7
                                        ; implicit-def: $vgpr1
                                        ; implicit-def: $vgpr7
; %bb.36:
	s_andn2_saveexec_b64 s[6:7], s[6:7]
	s_cbranch_execz .LBB121_38
; %bb.37:
	s_movk_i32 s16, 0x108
	v_mad_u32_u24 v6, v7, s16, v0
	ds_read_b64 v[10:11], v6
	v_lshl_add_u32 v1, v9, 3, v1
	v_mul_u32_u24_e32 v6, 0x108, v7
	s_waitcnt lgkmcnt(0)
	ds_write_b64 v1, v[10:11] offset:24
.LBB121_38:
	s_or_b64 exec, exec, s[6:7]
	s_movk_i32 s6, 0x420
	v_mad_u32_u24 v1, v8, s6, v0
	s_movk_i32 s6, 0x108
	v_mad_u32_u24 v7, v3, s6, v0
	s_waitcnt lgkmcnt(0)
	s_barrier
	v_lshlrev_b32_e32 v11, 3, v9
	ds_read2_b64 v[12:15], v7 offset1:33
	v_add_u32_e32 v10, v0, v6
	ds_read_b64 v[6:7], v1
	ds_read_b128 v[26:29], v11 offset:9088
	v_mul_u32_u24_e32 v20, 33, v2
	v_lshlrev_b32_e32 v23, 3, v20
	ds_read_b64 v[20:21], v10
	ds_read_b128 v[38:41], v11 offset:9104
	v_lshl_add_u32 v24, v8, 3, v23
	s_waitcnt lgkmcnt(2)
	v_pk_mul_f32 v[30:31], v[26:27], v[6:7] op_sel:[1,1] op_sel_hi:[0,1]
	v_pk_fma_f32 v[36:37], v[26:27], v[6:7], v[30:31] neg_lo:[0,0,1] neg_hi:[0,0,1]
	v_pk_fma_f32 v[6:7], v[26:27], v[6:7], v[30:31] op_sel_hi:[1,0,1]
	v_pk_mul_f32 v[26:27], v[28:29], v[12:13] op_sel:[1,1] op_sel_hi:[0,1]
	v_pk_fma_f32 v[30:31], v[28:29], v[12:13], v[26:27] neg_lo:[0,0,1] neg_hi:[0,0,1]
	v_pk_fma_f32 v[12:13], v[28:29], v[12:13], v[26:27] op_sel_hi:[1,0,1]
	v_mov_b32_e32 v37, v7
	v_mov_b32_e32 v31, v13
	s_waitcnt lgkmcnt(0)
	v_pk_mul_f32 v[12:13], v[38:39], v[14:15] op_sel:[1,1] op_sel_hi:[0,1]
	v_pk_fma_f32 v[26:27], v[38:39], v[14:15], v[12:13] neg_lo:[0,0,1] neg_hi:[0,0,1]
	v_pk_fma_f32 v[12:13], v[38:39], v[14:15], v[12:13] op_sel_hi:[1,0,1]
	v_pk_add_f32 v[6:7], v[36:37], 0 op_sel_hi:[1,0]
	v_mov_b32_e32 v27, v13
	v_pk_mul_f32 v[12:13], v[40:41], v[20:21] op_sel:[1,1] op_sel_hi:[0,1]
	v_pk_add_f32 v[6:7], v[6:7], v[30:31]
	v_pk_fma_f32 v[14:15], v[40:41], v[20:21], v[12:13] neg_lo:[0,0,1] neg_hi:[0,0,1]
	v_pk_fma_f32 v[12:13], v[40:41], v[20:21], v[12:13] op_sel_hi:[1,0,1]
	v_mov_b32_e32 v36, 0
	v_pk_add_f32 v[6:7], v[6:7], v[26:27]
	v_mov_b32_e32 v15, v13
	v_mov_b32_e32 v37, v36
	v_pk_add_f32 v[6:7], v[6:7], v[14:15]
	v_cmp_gt_u32_e64 s[6:7], 32, v22
	s_barrier
	ds_write_b64 v24, v[6:7]
	s_waitcnt lgkmcnt(0)
	s_barrier
	s_and_saveexec_b64 s[16:17], s[6:7]
	s_cbranch_execz .LBB121_40
; %bb.39:
	ds_read2_b64 v[12:15], v23 offset1:7
	ds_read2_b64 v[26:29], v23 offset0:1 offset1:2
	ds_read2_b64 v[36:39], v23 offset0:3 offset1:4
	s_waitcnt lgkmcnt(1)
	v_add_f32_e32 v1, v26, v12
	v_add_f32_e32 v6, v27, v13
	;; [unrolled: 1-line block ×4, first 2 shown]
	ds_read2_b64 v[26:29], v23 offset0:5 offset1:6
	s_waitcnt lgkmcnt(1)
	v_add_f32_e32 v1, v1, v36
	v_add_f32_e32 v6, v6, v37
	;; [unrolled: 1-line block ×4, first 2 shown]
	s_waitcnt lgkmcnt(0)
	v_add_f32_e32 v1, v1, v26
	v_add_f32_e32 v7, v6, v27
	;; [unrolled: 1-line block ×4, first 2 shown]
	v_pk_add_f32 v[36:37], v[6:7], v[14:15]
.LBB121_40:
	s_or_b64 exec, exec, s[16:17]
	s_lshl_b32 s34, s22, 5
	s_ashr_i32 s35, s34, 31
	v_cndmask_b32_e64 v1, 0, 1, s[20:21]
	v_lshl_add_u64 v[6:7], s[34:35], 3, v[4:5]
	s_mov_b64 s[36:37], 0x100
	v_cmp_ne_u32_e64 s[16:17], 1, v1
	s_andn2_b64 vcc, exec, s[20:21]
	s_mov_b64 s[20:21], -1
	s_barrier
	s_cbranch_vccnz .LBB121_42
; %bb.41:
	s_lshl_b32 s20, s22, 3
	s_ashr_i32 s21, s20, 31
	s_ashr_i32 s23, s22, 31
	v_lshl_add_u64 v[4:5], s[20:21], 3, v[6:7]
	s_lshl_b64 s[20:21], s[22:23], 6
	v_lshl_add_u64 v[12:13], v[4:5], 0, s[20:21]
	v_lshl_add_u64 v[14:15], v[12:13], 0, s[20:21]
	global_load_dwordx2 v[20:21], v[6:7], off offset:256
	global_load_dwordx2 v[26:27], v[4:5], off offset:256
	;; [unrolled: 1-line block ×4, first 2 shown]
	s_movk_i32 s20, 0x108
	v_mad_u32_u24 v1, v8, s20, v0
	s_mov_b64 s[20:21], 0
	s_waitcnt vmcnt(3)
	ds_write_b64 v1, v[20:21]
	s_waitcnt vmcnt(2)
	ds_write_b64 v1, v[26:27] offset:2112
	s_waitcnt vmcnt(1)
	ds_write_b64 v1, v[28:29] offset:4224
	;; [unrolled: 2-line block ×3, first 2 shown]
.LBB121_42:
	s_andn2_b64 vcc, exec, s[20:21]
	v_lshl_add_u64 v[4:5], v[6:7], 0, s[36:37]
	s_cbranch_vccnz .LBB121_58
; %bb.43:
	v_sub_co_u32_e32 v6, vcc, v6, v0
	s_ashr_i32 s25, s24, 31
	s_nop 0
	v_subbrev_co_u32_e32 v7, vcc, 0, v7, vcc
	v_or_b32_e32 v1, 32, v2
	v_lshl_add_u64 v[6:7], s[24:25], 3, v[6:7]
	v_mov_b32_e32 v12, 0
	v_lshl_add_u64 v[6:7], v[6:7], 0, -8
	v_cmp_gt_i32_e32 vcc, s24, v1
	s_sub_i32 s23, s24, 32
	v_cmp_gt_i32_e64 s[20:21], s23, v8
	v_cndmask_b32_e32 v7, v7, v5, vcc
	v_cndmask_b32_e32 v6, v6, v4, vcc
	v_mov_b32_e32 v13, v12
	s_and_saveexec_b64 s[36:37], s[20:21]
	s_cbranch_execz .LBB121_45
; %bb.44:
	global_load_dwordx2 v[12:13], v[6:7], off
.LBB121_45:
	s_or_b64 exec, exec, s[36:37]
	s_movk_i32 s20, 0x108
	v_mad_u32_u24 v14, v8, s20, v0
	s_waitcnt vmcnt(0)
	ds_write_b64 v14, v[12:13]
	v_add_u32_e32 v12, 8, v8
	v_mul_u32_u24_e32 v1, 0x108, v8
	v_cmp_le_i32_e64 s[20:21], s23, v12
	s_and_saveexec_b64 s[36:37], s[20:21]
	s_xor_b64 s[20:21], exec, s[36:37]
; %bb.46:
	v_mov_b32_e32 v14, 0
	v_add_u32_e32 v12, v1, v0
	v_mov_b32_e32 v15, v14
	ds_write_b64 v12, v[14:15] offset:2112
; %bb.47:
	s_andn2_saveexec_b64 s[20:21], s[20:21]
	s_cbranch_execz .LBB121_49
; %bb.48:
	s_lshl_b32 s36, s22, 3
	s_ashr_i32 s37, s36, 31
	v_lshl_add_u64 v[12:13], s[36:37], 3, v[6:7]
	global_load_dwordx2 v[12:13], v[12:13], off
	v_add_u32_e32 v14, v1, v0
	s_waitcnt vmcnt(0)
	ds_write_b64 v14, v[12:13] offset:2112
.LBB121_49:
	s_or_b64 exec, exec, s[20:21]
	v_add_u32_e32 v12, 16, v8
	v_cmp_le_i32_e64 s[20:21], s23, v12
	s_and_saveexec_b64 s[36:37], s[20:21]
	s_xor_b64 s[20:21], exec, s[36:37]
; %bb.50:
	v_mov_b32_e32 v14, 0
	v_add_u32_e32 v12, v1, v0
	v_mov_b32_e32 v15, v14
	ds_write_b64 v12, v[14:15] offset:4224
; %bb.51:
	s_andn2_saveexec_b64 s[20:21], s[20:21]
	s_cbranch_execz .LBB121_53
; %bb.52:
	s_lshl_b32 s36, s22, 4
	s_ashr_i32 s37, s36, 31
	v_lshl_add_u64 v[12:13], s[36:37], 3, v[6:7]
	global_load_dwordx2 v[12:13], v[12:13], off
	v_add_u32_e32 v14, v1, v0
	s_waitcnt vmcnt(0)
	ds_write_b64 v14, v[12:13] offset:4224
.LBB121_53:
	s_or_b64 exec, exec, s[20:21]
	v_add_u32_e32 v12, 24, v8
	v_cmp_le_i32_e64 s[20:21], s23, v12
	s_and_saveexec_b64 s[36:37], s[20:21]
	s_xor_b64 s[20:21], exec, s[36:37]
; %bb.54:
	v_mov_b32_e32 v12, 0
	v_add_u32_e32 v1, v1, v0
	v_mov_b32_e32 v13, v12
	ds_write_b64 v1, v[12:13] offset:6336
                                        ; implicit-def: $vgpr1
; %bb.55:
	s_andn2_saveexec_b64 s[20:21], s[20:21]
	s_cbranch_execz .LBB121_57
; %bb.56:
	s_mul_i32 s36, s22, 24
	s_ashr_i32 s37, s36, 31
	v_lshl_add_u64 v[12:13], s[36:37], 3, v[6:7]
	global_load_dwordx2 v[12:13], v[12:13], off
	v_add_u32_e32 v1, v1, v0
	s_waitcnt vmcnt(0)
	ds_write_b64 v1, v[12:13] offset:6336
.LBB121_57:
	s_or_b64 exec, exec, s[20:21]
	v_mov_b32_e32 v1, 0
	v_lshl_add_u64 v[6:7], v[6:7], 0, v[0:1]
	s_lshl_b64 s[20:21], s[24:25], 3
	v_mov_b32_e32 v1, s21
	v_subrev_co_u32_e64 v6, s[20:21], s20, v6
	s_nop 1
	v_subb_co_u32_e64 v7, s[20:21], v7, v1, s[20:21]
	s_mov_b64 s[20:21], 0x108
	s_nop 0
	v_lshl_add_u64 v[6:7], v[6:7], 0, s[20:21]
	v_cndmask_b32_e32 v5, v7, v5, vcc
	v_cndmask_b32_e32 v4, v6, v4, vcc
.LBB121_58:
	v_mul_u32_u24_e32 v1, 0x420, v8
	v_add_u32_e32 v6, 0x2380, v11
	v_mul_u32_u24_e32 v3, 0x108, v3
	v_add_u32_e32 v1, v0, v1
	s_waitcnt lgkmcnt(0)
	s_barrier
	s_and_saveexec_b64 s[20:21], s[8:9]
	s_cbranch_execnz .LBB121_67
; %bb.59:
	s_or_b64 exec, exec, s[20:21]
	v_add_u32_e32 v3, v0, v3
	s_and_saveexec_b64 s[8:9], s[10:11]
	s_cbranch_execnz .LBB121_68
.LBB121_60:
	s_or_b64 exec, exec, s[8:9]
	s_and_saveexec_b64 s[8:9], s[12:13]
	s_cbranch_execnz .LBB121_69
.LBB121_61:
	s_or_b64 exec, exec, s[8:9]
	s_and_saveexec_b64 s[8:9], s[14:15]
	s_cbranch_execz .LBB121_63
.LBB121_62:
	ds_read_b64 v[12:13], v10
	v_lshl_add_u32 v7, v9, 3, v23
	s_waitcnt lgkmcnt(0)
	ds_write_b64 v7, v[12:13] offset:24
.LBB121_63:
	s_or_b64 exec, exec, s[8:9]
	s_waitcnt lgkmcnt(0)
	s_barrier
	ds_read_b64 v[20:21], v1
	ds_read_b128 v[12:15], v6 offset:256
	ds_read2_b64 v[26:29], v3 offset1:33
	ds_read_b64 v[10:11], v10
	ds_read_b128 v[38:41], v6 offset:272
	v_cmp_eq_u32_e64 s[8:9], 1, v8
	s_waitcnt lgkmcnt(3)
	v_pk_mul_f32 v[30:31], v[12:13], v[20:21] op_sel:[1,1] op_sel_hi:[0,1]
	v_pk_fma_f32 v[42:43], v[12:13], v[20:21], v[30:31] neg_lo:[0,0,1] neg_hi:[0,0,1]
	v_pk_fma_f32 v[12:13], v[12:13], v[20:21], v[30:31] op_sel_hi:[1,0,1]
	s_waitcnt lgkmcnt(2)
	v_pk_mul_f32 v[20:21], v[14:15], v[26:27] op_sel:[1,1] op_sel_hi:[0,1]
	v_pk_fma_f32 v[30:31], v[14:15], v[26:27], v[20:21] neg_lo:[0,0,1] neg_hi:[0,0,1]
	v_pk_fma_f32 v[14:15], v[14:15], v[26:27], v[20:21] op_sel_hi:[1,0,1]
	v_mov_b32_e32 v43, v13
	v_mov_b32_e32 v31, v15
	s_waitcnt lgkmcnt(0)
	v_pk_mul_f32 v[14:15], v[38:39], v[28:29] op_sel:[1,1] op_sel_hi:[0,1]
	v_pk_add_f32 v[12:13], v[42:43], 0 op_sel_hi:[1,0]
	v_pk_fma_f32 v[20:21], v[38:39], v[28:29], v[14:15] neg_lo:[0,0,1] neg_hi:[0,0,1]
	v_pk_fma_f32 v[14:15], v[38:39], v[28:29], v[14:15] op_sel_hi:[1,0,1]
	v_pk_add_f32 v[12:13], v[12:13], v[30:31]
	v_mov_b32_e32 v21, v15
	v_pk_mul_f32 v[14:15], v[40:41], v[10:11] op_sel:[1,1] op_sel_hi:[0,1]
	v_pk_add_f32 v[12:13], v[12:13], v[20:21]
	v_pk_fma_f32 v[20:21], v[40:41], v[10:11], v[14:15] neg_lo:[0,0,1] neg_hi:[0,0,1]
	v_pk_fma_f32 v[10:11], v[40:41], v[10:11], v[14:15] op_sel_hi:[1,0,1]
	s_nop 0
	v_mov_b32_e32 v21, v11
	v_pk_add_f32 v[10:11], v[12:13], v[20:21]
	s_barrier
	ds_write_b64 v24, v[10:11]
	s_waitcnt lgkmcnt(0)
	s_barrier
	s_and_saveexec_b64 s[10:11], s[8:9]
	s_cbranch_execz .LBB121_65
; %bb.64:
	ds_read2_b64 v[10:13], v23 offset1:7
	ds_read2_b64 v[26:29], v23 offset0:1 offset1:2
	ds_read2_b64 v[36:39], v23 offset0:3 offset1:4
	s_waitcnt lgkmcnt(1)
	v_add_f32_e32 v1, v26, v10
	v_add_f32_e32 v3, v27, v11
	;; [unrolled: 1-line block ×4, first 2 shown]
	ds_read2_b64 v[26:29], v23 offset0:5 offset1:6
	s_waitcnt lgkmcnt(1)
	v_add_f32_e32 v1, v1, v36
	v_add_f32_e32 v3, v3, v37
	;; [unrolled: 1-line block ×4, first 2 shown]
	s_waitcnt lgkmcnt(0)
	v_add_f32_e32 v10, v1, v26
	v_add_f32_e32 v11, v3, v27
	v_pk_add_f32 v[10:11], v[10:11], v[28:29]
	s_nop 0
	v_pk_add_f32 v[36:37], v[10:11], v[12:13]
.LBB121_65:
	s_or_b64 exec, exec, s[10:11]
	s_lshl_b64 s[10:11], s[34:35], 3
	v_mov_b32_e32 v1, s11
	v_subrev_co_u32_e64 v20, s[10:11], s10, v4
	s_and_b64 vcc, exec, s[16:17]
	s_nop 0
	v_subb_co_u32_e64 v21, s[10:11], v5, v1, s[10:11]
	s_barrier
	s_cbranch_vccnz .LBB121_70
; %bb.66:
	s_lshl_b32 s10, s22, 3
	s_ashr_i32 s11, s10, 31
	s_ashr_i32 s23, s22, 31
	v_lshl_add_u64 v[4:5], s[10:11], 3, v[20:21]
	s_lshl_b64 s[10:11], s[22:23], 6
	v_lshl_add_u64 v[10:11], v[4:5], 0, s[10:11]
	v_lshl_add_u64 v[12:13], v[10:11], 0, s[10:11]
	global_load_dwordx2 v[14:15], v[20:21], off
	global_load_dwordx2 v[26:27], v[4:5], off
	;; [unrolled: 1-line block ×4, first 2 shown]
	s_movk_i32 s10, 0x108
	v_mov_b32_e32 v1, 0x840
	v_mov_b32_e32 v3, 0x1080
	v_mov_b32_e32 v11, 0x18c0
	v_mul_u32_u24_e32 v4, 0x108, v8
	v_add_u32_e32 v5, 8, v8
	v_add_u32_e32 v7, 16, v8
	;; [unrolled: 1-line block ×3, first 2 shown]
	v_mad_u32_u24 v12, v8, s10, v0
	v_mad_u32_u24 v1, v8, s10, v1
	;; [unrolled: 1-line block ×4, first 2 shown]
	v_add_u32_e32 v13, v0, v1
	v_add_u32_e32 v25, v0, v3
	;; [unrolled: 1-line block ×3, first 2 shown]
	s_waitcnt vmcnt(3)
	ds_write_b64 v12, v[14:15]
	s_waitcnt vmcnt(2)
	ds_write_b64 v13, v[26:27]
	;; [unrolled: 2-line block ×4, first 2 shown]
	s_cbranch_execz .LBB121_71
	s_branch .LBB121_86
.LBB121_67:
	ds_read_b64 v[12:13], v1
	v_lshl_add_u32 v7, v9, 3, v23
	s_waitcnt lgkmcnt(0)
	ds_write_b64 v7, v[12:13]
	s_or_b64 exec, exec, s[20:21]
	v_add_u32_e32 v3, v0, v3
	s_and_saveexec_b64 s[8:9], s[10:11]
	s_cbranch_execz .LBB121_60
.LBB121_68:
	ds_read_b64 v[12:13], v3
	v_lshl_add_u32 v7, v9, 3, v23
	s_waitcnt lgkmcnt(0)
	ds_write_b64 v7, v[12:13] offset:8
	s_or_b64 exec, exec, s[8:9]
	s_and_saveexec_b64 s[8:9], s[12:13]
	s_cbranch_execz .LBB121_61
.LBB121_69:
	ds_read_b64 v[12:13], v3 offset:264
	v_lshl_add_u32 v7, v9, 3, v23
	s_waitcnt lgkmcnt(0)
	ds_write_b64 v7, v[12:13] offset:16
	s_or_b64 exec, exec, s[8:9]
	s_and_saveexec_b64 s[8:9], s[14:15]
	s_cbranch_execnz .LBB121_62
	s_branch .LBB121_63
.LBB121_70:
                                        ; implicit-def: $vgpr4
                                        ; implicit-def: $vgpr5
                                        ; implicit-def: $vgpr1
                                        ; implicit-def: $vgpr7
                                        ; implicit-def: $vgpr3
                                        ; implicit-def: $vgpr10
                                        ; implicit-def: $vgpr11
.LBB121_71:
	v_or_b32_e32 v1, 32, v2
	v_sub_co_u32_e32 v2, vcc, v20, v0
	s_ashr_i32 s25, s24, 31
	s_nop 0
	v_subbrev_co_u32_e32 v3, vcc, 0, v21, vcc
	s_movk_i32 s10, 0xfef8
	v_lshl_add_u64 v[2:3], s[24:25], 3, v[2:3]
	s_mov_b32 s11, -1
	v_mov_b32_e32 v10, 0
	v_lshl_add_u64 v[2:3], v[2:3], 0, s[10:11]
	v_cmp_gt_i32_e32 vcc, s24, v1
	v_cmp_gt_i32_e64 s[10:11], s24, v8
	v_mov_b32_e32 v11, v10
	v_cndmask_b32_e32 v3, v3, v21, vcc
	v_cndmask_b32_e32 v2, v2, v20, vcc
	s_and_saveexec_b64 s[12:13], s[10:11]
	s_cbranch_execz .LBB121_73
; %bb.72:
	global_load_dwordx2 v[10:11], v[2:3], off
.LBB121_73:
	s_or_b64 exec, exec, s[12:13]
	s_movk_i32 s10, 0x108
	v_add_u32_e32 v5, 8, v8
	v_mul_u32_u24_e32 v4, 0x108, v8
	v_mad_u32_u24 v1, v8, s10, v0
	v_cmp_le_i32_e64 s[10:11], s24, v5
	s_waitcnt vmcnt(0)
	ds_write_b64 v1, v[10:11]
	s_and_saveexec_b64 s[12:13], s[10:11]
	s_xor_b64 s[10:11], exec, s[12:13]
; %bb.74:
	v_mov_b32_e32 v10, 0
	v_add_u32_e32 v1, v4, v0
	v_mov_b32_e32 v11, v10
	ds_write_b64 v1, v[10:11] offset:2112
; %bb.75:
	s_andn2_saveexec_b64 s[10:11], s[10:11]
	s_cbranch_execz .LBB121_77
; %bb.76:
	s_lshl_b32 s12, s22, 3
	s_ashr_i32 s13, s12, 31
	v_lshl_add_u64 v[10:11], s[12:13], 3, v[2:3]
	global_load_dwordx2 v[10:11], v[10:11], off
	v_add_u32_e32 v1, v4, v0
	s_waitcnt vmcnt(0)
	ds_write_b64 v1, v[10:11] offset:2112
.LBB121_77:
	s_or_b64 exec, exec, s[10:11]
	v_add_u32_e32 v7, 16, v8
	v_cmp_le_i32_e64 s[10:11], s24, v7
	s_and_saveexec_b64 s[12:13], s[10:11]
	s_xor_b64 s[10:11], exec, s[12:13]
; %bb.78:
	v_mov_b32_e32 v10, 0
	v_add_u32_e32 v1, v4, v0
	v_mov_b32_e32 v11, v10
	ds_write_b64 v1, v[10:11] offset:4224
; %bb.79:
	s_andn2_saveexec_b64 s[10:11], s[10:11]
	s_cbranch_execz .LBB121_81
; %bb.80:
	s_lshl_b32 s12, s22, 4
	s_ashr_i32 s13, s12, 31
	v_lshl_add_u64 v[10:11], s[12:13], 3, v[2:3]
	global_load_dwordx2 v[10:11], v[10:11], off
	v_add_u32_e32 v1, v4, v0
	s_waitcnt vmcnt(0)
	ds_write_b64 v1, v[10:11] offset:4224
.LBB121_81:
	s_or_b64 exec, exec, s[10:11]
	v_add_u32_e32 v10, 24, v8
	v_cmp_le_i32_e64 s[10:11], s24, v10
                                        ; implicit-def: $vgpr11
	s_and_saveexec_b64 s[12:13], s[10:11]
	s_xor_b64 s[10:11], exec, s[12:13]
; %bb.82:
	v_add_u32_e32 v11, 0x18c0, v4
	v_mov_b32_e32 v12, 0
	v_add_u32_e32 v1, v0, v11
	v_mov_b32_e32 v13, v12
	ds_write_b64 v1, v[12:13]
; %bb.83:
	s_andn2_saveexec_b64 s[10:11], s[10:11]
	s_cbranch_execz .LBB121_85
; %bb.84:
	s_mul_i32 s12, s22, 24
	s_ashr_i32 s13, s12, 31
	v_lshl_add_u64 v[12:13], s[12:13], 3, v[2:3]
	global_load_dwordx2 v[12:13], v[12:13], off
	v_add_u32_e32 v11, 0x18c0, v4
	v_add_u32_e32 v1, v0, v11
	s_waitcnt vmcnt(0)
	ds_write_b64 v1, v[12:13]
.LBB121_85:
	s_or_b64 exec, exec, s[10:11]
	v_mov_b32_e32 v1, 0
	v_lshl_add_u64 v[2:3], v[2:3], 0, v[0:1]
	s_lshl_b64 s[10:11], s[24:25], 3
	v_mov_b32_e32 v1, s11
	v_subrev_co_u32_e64 v2, s[10:11], s10, v2
	s_nop 1
	v_subb_co_u32_e64 v3, s[10:11], v3, v1, s[10:11]
	s_mov_b64 s[10:11], 0x108
	s_nop 0
	v_lshl_add_u64 v[2:3], v[2:3], 0, s[10:11]
	v_cndmask_b32_e32 v21, v3, v21, vcc
	v_cndmask_b32_e32 v20, v2, v20, vcc
	v_add_u32_e32 v1, 0x840, v4
	v_add_u32_e32 v3, 0x1080, v4
.LBB121_86:
	v_add_u32_e32 v25, v0, v4
	v_add_u32_e32 v28, v0, v1
	v_lshlrev_b32_e32 v30, 3, v5
	v_add_u32_e32 v40, v0, v3
	v_lshlrev_b32_e32 v46, 3, v7
	;; [unrolled: 2-line block ×3, first 2 shown]
	v_lshl_add_u32 v0, v9, 3, v23
	s_waitcnt lgkmcnt(0)
	s_barrier
	v_lshlrev_b32_e32 v35, 3, v8
	ds_read2_b64 v[8:11], v0 offset1:1
	ds_read2_b64 v[0:3], v0 offset0:2 offset1:3
	ds_read_b128 v[12:15], v6 offset:256
	ds_read_b128 v[4:7], v6 offset:272
	ds_read_b64 v[26:27], v25
	ds_read_b64 v[28:29], v28
	ds_read_b64 v[30:31], v30 offset:9088
	ds_read_b64 v[38:39], v35 offset:9088
	ds_read_b64 v[40:41], v40
	ds_read2_b32 v[42:43], v42 offset1:1
	ds_read_b64 v[44:45], v44 offset:9088
	ds_read_b64 v[46:47], v46 offset:9088
	s_waitcnt lgkmcnt(4)
	v_pk_mul_f32 v[48:49], v[38:39], v[26:27] op_sel:[1,1] op_sel_hi:[0,1]
	v_pk_fma_f32 v[50:51], v[38:39], v[26:27], v[48:49] neg_lo:[0,0,1] neg_hi:[0,0,1]
	v_pk_fma_f32 v[26:27], v[38:39], v[26:27], v[48:49] op_sel_hi:[1,0,1]
	v_pk_mul_f32 v[38:39], v[30:31], v[28:29] op_sel:[1,1] op_sel_hi:[0,1]
	v_pk_fma_f32 v[48:49], v[30:31], v[28:29], v[38:39] neg_lo:[0,0,1] neg_hi:[0,0,1]
	v_pk_fma_f32 v[28:29], v[30:31], v[28:29], v[38:39] op_sel_hi:[1,0,1]
	v_mov_b32_e32 v51, v27
	v_mov_b32_e32 v49, v29
	s_waitcnt lgkmcnt(0)
	v_pk_mul_f32 v[28:29], v[46:47], v[40:41] op_sel:[1,1] op_sel_hi:[0,1]
	v_pk_add_f32 v[26:27], v[50:51], 0 op_sel_hi:[1,0]
	v_pk_fma_f32 v[30:31], v[46:47], v[40:41], v[28:29] neg_lo:[0,0,1] neg_hi:[0,0,1]
	v_pk_fma_f32 v[28:29], v[46:47], v[40:41], v[28:29] op_sel_hi:[1,0,1]
	v_pk_add_f32 v[26:27], v[26:27], v[48:49]
	v_mov_b32_e32 v31, v29
	v_pk_mul_f32 v[28:29], v[44:45], v[42:43] op_sel:[1,1] op_sel_hi:[0,1]
	v_pk_add_f32 v[26:27], v[26:27], v[30:31]
	v_pk_fma_f32 v[30:31], v[44:45], v[42:43], v[28:29] neg_lo:[0,0,1] neg_hi:[0,0,1]
	v_pk_fma_f32 v[28:29], v[44:45], v[42:43], v[28:29] op_sel_hi:[1,0,1]
	s_nop 0
	v_mov_b32_e32 v31, v29
	v_pk_add_f32 v[26:27], v[26:27], v[30:31]
	s_barrier
	ds_write_b64 v24, v[26:27]
	s_waitcnt lgkmcnt(0)
	s_barrier
	s_and_saveexec_b64 s[10:11], s[8:9]
	s_cbranch_execz .LBB121_88
; %bb.87:
	ds_read2_b64 v[26:29], v23 offset1:1
	ds_read2_b64 v[38:41], v23 offset0:2 offset1:3
	ds_read2_b64 v[42:45], v23 offset0:4 offset1:5
	s_waitcnt lgkmcnt(2)
	v_pk_add_f32 v[26:27], v[36:37], v[26:27]
	s_nop 0
	v_pk_add_f32 v[30:31], v[26:27], v[28:29]
	ds_read2_b64 v[26:29], v23 offset0:6 offset1:7
	s_waitcnt lgkmcnt(2)
	v_pk_add_f32 v[30:31], v[30:31], v[38:39]
	s_nop 0
	v_pk_add_f32 v[30:31], v[30:31], v[40:41]
	s_waitcnt lgkmcnt(1)
	v_pk_add_f32 v[30:31], v[30:31], v[42:43]
	s_nop 0
	v_pk_add_f32 v[30:31], v[30:31], v[44:45]
	;; [unrolled: 4-line block ×3, first 2 shown]
.LBB121_88:
	s_or_b64 exec, exec, s[10:11]
	v_pk_mul_f32 v[26:27], v[12:13], v[8:9] op_sel:[1,1] op_sel_hi:[0,1]
	v_pk_fma_f32 v[28:29], v[12:13], v[8:9], v[26:27] neg_lo:[0,0,1] neg_hi:[0,0,1]
	v_pk_fma_f32 v[8:9], v[12:13], v[8:9], v[26:27] op_sel_hi:[1,0,1]
	v_mov_b32_e32 v12, v11
	v_pk_mul_f32 v[12:13], v[14:15], v[12:13] op_sel:[1,0] op_sel_hi:[0,0]
	v_pk_fma_f32 v[26:27], v[14:15], v[10:11], v[12:13] neg_lo:[0,0,1] neg_hi:[0,0,1]
	v_pk_fma_f32 v[10:11], v[14:15], v[10:11], v[12:13] op_sel_hi:[1,0,1]
	v_mov_b32_e32 v29, v9
	v_mov_b32_e32 v27, v11
	v_pk_mul_f32 v[10:11], v[4:5], v[0:1] op_sel:[1,1] op_sel_hi:[0,1]
	v_pk_add_f32 v[8:9], v[28:29], 0 op_sel_hi:[1,0]
	v_pk_fma_f32 v[12:13], v[4:5], v[0:1], v[10:11] neg_lo:[0,0,1] neg_hi:[0,0,1]
	v_pk_fma_f32 v[0:1], v[4:5], v[0:1], v[10:11] op_sel_hi:[1,0,1]
	v_mov_b32_e32 v4, v3
	v_pk_add_f32 v[8:9], v[8:9], v[26:27]
	v_mov_b32_e32 v13, v1
	v_pk_mul_f32 v[4:5], v[6:7], v[4:5] op_sel:[1,0] op_sel_hi:[0,0]
	v_pk_add_f32 v[0:1], v[8:9], v[12:13]
	v_pk_fma_f32 v[8:9], v[6:7], v[2:3], v[4:5] neg_lo:[0,0,1] neg_hi:[0,0,1]
	v_pk_fma_f32 v[2:3], v[6:7], v[2:3], v[4:5] op_sel_hi:[1,0,1]
	s_nop 0
	v_mov_b32_e32 v9, v3
	v_pk_add_f32 v[0:1], v[0:1], v[8:9]
	s_barrier
	ds_write_b64 v24, v[0:1]
	s_waitcnt lgkmcnt(0)
	s_barrier
	s_and_saveexec_b64 s[8:9], s[6:7]
	s_cbranch_execz .LBB121_90
; %bb.89:
	ds_read2_b64 v[0:3], v23 offset1:1
	ds_read2_b64 v[4:7], v23 offset0:2 offset1:3
	ds_read2_b64 v[8:11], v23 offset0:4 offset1:5
	s_waitcnt lgkmcnt(2)
	v_pk_add_f32 v[0:1], v[36:37], v[0:1]
	s_nop 0
	v_pk_add_f32 v[12:13], v[0:1], v[2:3]
	ds_read2_b64 v[0:3], v23 offset0:6 offset1:7
	s_waitcnt lgkmcnt(2)
	v_pk_add_f32 v[4:5], v[12:13], v[4:5]
	s_nop 0
	v_pk_add_f32 v[4:5], v[4:5], v[6:7]
	s_waitcnt lgkmcnt(1)
	v_pk_add_f32 v[4:5], v[4:5], v[8:9]
	s_nop 0
	v_pk_add_f32 v[4:5], v[4:5], v[10:11]
	;; [unrolled: 4-line block ×3, first 2 shown]
.LBB121_90:
	s_or_b64 exec, exec, s[8:9]
	s_load_dwordx2 s[0:1], s[0:1], 0x68
	s_mul_hi_u32 s6, s38, s3
	s_mul_i32 s40, s40, s3
	s_add_i32 s6, s6, s40
	s_mul_i32 s3, s38, s3
	s_mul_i32 s6, s6, s39
	s_mul_hi_u32 s7, s3, s39
	s_add_i32 s7, s7, s6
	s_mul_i32 s6, s3, s39
	s_lshl_b64 s[6:7], s[6:7], 3
	s_waitcnt lgkmcnt(0)
	s_add_u32 s3, s0, s6
	s_mul_i32 s0, s38, s2
	s_addc_u32 s7, s1, s7
	s_ashr_i32 s1, s0, 31
	s_lshl_b64 s[0:1], s[0:1], 3
	s_add_u32 s6, s3, s0
	v_cmp_le_i32_e32 vcc, s24, v34
	s_addc_u32 s7, s7, s1
	s_and_b64 vcc, s[30:31], vcc
	s_cmp_lt_i32 s2, 1
	v_lshlrev_b32_e32 v74, 3, v34
	s_barrier
	s_cbranch_scc1 .LBB121_97
; %bb.91:
	s_mul_i32 s0, s33, s26
	s_ashr_i32 s1, s0, 31
	s_lshl_b64 s[0:1], s[0:1], 3
	v_mov_b32_e32 v0, s1
	v_subrev_co_u32_e64 v38, s[0:1], s0, v16
	s_ashr_i32 s25, s24, 31
	s_nop 0
	v_subb_co_u32_e64 v39, s[0:1], v17, v0, s[0:1]
	s_lshl_b64 s[0:1], s[28:29], 3
	s_nop 0
	v_mov_b32_e32 v0, s1
	v_subrev_co_u32_e64 v2, s[0:1], s0, v20
	v_lshrrev_b32_e32 v4, 4, v22
	s_nop 0
	v_subb_co_u32_e64 v3, s[0:1], v21, v0, s[0:1]
	v_lshlrev_b64 v[0:1], 3, v[18:19]
	v_sub_co_u32_e64 v0, s[0:1], v2, v0
	v_mul_lo_u32 v2, v33, s22
	s_nop 0
	v_subb_co_u32_e64 v1, s[0:1], v3, v1, s[0:1]
	v_lshl_add_u32 v2, v2, 2, v34
	v_ashrrev_i32_e32 v3, 31, v2
	s_movk_i32 s0, 0xff00
	v_lshl_add_u64 v[0:1], v[2:3], 3, v[0:1]
	s_mov_b32 s1, -1
	v_lshl_add_u64 v[2:3], v[0:1], 0, s[0:1]
	v_sub_co_u32_e64 v0, s[0:1], v0, v74
	v_and_b32_e32 v5, 15, v34
	s_nop 0
	v_subbrev_co_u32_e64 v1, s[0:1], 0, v1, s[0:1]
	s_movk_i32 s0, 0xfef8
	v_lshl_add_u64 v[0:1], s[24:25], 3, v[0:1]
	s_mov_b32 s1, -1
	v_lshl_add_u64 v[0:1], v[0:1], 0, s[0:1]
	v_cndmask_b32_e32 v41, v3, v1, vcc
	v_cndmask_b32_e32 v40, v2, v0, vcc
	v_mov_b32_e32 v0, 0x2180
	v_and_b32_e32 v1, 48, v34
	v_lshl_add_u32 v76, v33, 5, v0
	v_lshlrev_b32_e32 v0, 5, v4
	s_movk_i32 s8, 0x218
	v_lshlrev_b32_e32 v1, 3, v1
	s_movk_i32 s0, 0x860
	v_mad_u32_u24 v79, v5, s8, v0
	v_mul_i32_i24_e32 v0, 0xffffffe8, v4
	v_mad_u32_u24 v80, v5, s8, v1
	v_or_b32_e32 v1, 0x78, v74
	s_ashr_i32 s23, s22, 31
	v_mov_b32_e32 v35, 0
	s_lshl_b32 s3, s33, 6
	v_add_u32_e32 v75, 0x2180, v74
	v_add_u32_e32 v77, 0x2380, v74
	v_mad_u32_u24 v78, v33, s0, v74
	v_cmp_gt_u32_e64 s[0:1], 64, v22
	v_mad_u32_u24 v81, v5, s8, v1
	s_lshl_b64 s[8:9], s[22:23], 3
	s_lshl_b64 s[10:11], s[22:23], 9
	;; [unrolled: 1-line block ×3, first 2 shown]
	s_mul_hi_i32 s15, s22, 24
	s_mul_i32 s14, s22, 24
	s_mul_hi_i32 s17, s22, 0x90
	s_mul_i32 s16, s22, 0x90
	s_mul_hi_i32 s21, s22, 0x98
	s_mul_i32 s20, s22, 0x98
	s_mul_hi_i32 s25, s22, 0x110
	s_mul_i32 s24, s22, 0x110
	s_mul_hi_i32 s27, s22, 0x118
	s_mul_i32 s26, s22, 0x118
	s_mul_hi_i32 s29, s22, 0x190
	s_mul_i32 s28, s22, 0x190
	s_mul_hi_i32 s31, s22, 0x198
	s_mul_i32 s30, s22, 0x198
	s_mul_hi_i32 s35, s22, 0x188
	s_mul_i32 s34, s22, 0x188
	s_mul_hi_i32 s37, s22, 0x180
	s_mul_i32 s36, s22, 0x180
	s_mul_hi_i32 s39, s22, 0x108
	s_mul_i32 s38, s22, 0x108
	s_lshl_b64 s[40:41], s[22:23], 8
	s_mul_hi_i32 s43, s22, 0x88
	s_mul_i32 s42, s22, 0x88
	s_lshl_b64 s[22:23], s[22:23], 7
	s_mov_b32 s44, 0
	v_add_u32_e32 v82, v79, v0
	s_branch .LBB121_93
.LBB121_92:                             ;   in Loop: Header=BB121_93 Depth=1
	s_or_b64 exec, exec, s[46:47]
	v_mul_f32_e32 v83, v5, v49
	v_mul_f32_e32 v5, v5, v48
	v_fma_f32 v83, v4, v48, -v83
	v_mul_f32_e32 v48, v7, v47
	v_mul_f32_e32 v7, v7, v46
	v_fmac_f32_e32 v5, v4, v49
	v_fma_f32 v48, v6, v46, -v48
	v_mul_f32_e32 v46, v1, v45
	v_mul_f32_e32 v1, v1, v44
	v_add_f32_e32 v4, v37, v5
	v_fmac_f32_e32 v7, v6, v47
	v_add_f32_e32 v36, v36, v83
	v_fma_f32 v46, v0, v44, -v46
	v_mul_f32_e32 v44, v3, v43
	v_mul_f32_e32 v3, v3, v42
	v_add_f32_e32 v4, v4, v7
	v_fmac_f32_e32 v1, v0, v45
	v_add_f32_e32 v36, v36, v48
	v_add_f32_e32 v0, v4, v1
	v_fmac_f32_e32 v3, v2, v43
	v_add_f32_e32 v36, v36, v46
	v_fma_f32 v44, v2, v42, -v44
	v_add_f32_e32 v1, v0, v3
	v_mul_f32_e32 v0, v13, v57
	v_add_f32_e32 v36, v36, v44
	v_fma_f32 v0, v12, v56, -v0
	v_mul_f32_e32 v6, v13, v56
	v_mul_f32_e32 v2, v15, v55
	v_add_f32_e32 v0, v36, v0
	v_fma_f32 v2, v14, v54, -v2
	v_mul_f32_e32 v7, v15, v54
	v_fmac_f32_e32 v6, v12, v57
	v_add_f32_e32 v0, v0, v2
	v_mul_f32_e32 v2, v9, v51
	v_mul_f32_e32 v3, v9, v50
	v_add_f32_e32 v1, v1, v6
	v_fmac_f32_e32 v7, v14, v55
	v_fma_f32 v2, v8, v50, -v2
	v_add_f32_e32 v1, v1, v7
	v_fmac_f32_e32 v3, v8, v51
	v_mul_f32_e32 v4, v11, v53
	v_mul_f32_e32 v5, v11, v52
	v_pk_add_f32 v[0:1], v[0:1], v[2:3]
	v_mov_b32_e32 v2, v65
	v_fma_f32 v4, v10, v52, -v4
	v_fmac_f32_e32 v5, v10, v53
	v_pk_mul_f32 v[2:3], v[16:17], v[2:3] op_sel:[1,0] op_sel_hi:[0,0]
	v_pk_add_f32 v[0:1], v[0:1], v[4:5]
	v_pk_fma_f32 v[4:5], v[16:17], v[64:65], v[2:3] neg_lo:[0,0,1] neg_hi:[0,0,1]
	v_pk_fma_f32 v[2:3], v[16:17], v[64:65], v[2:3] op_sel_hi:[1,0,1]
	s_add_i32 s2, s2, -1
	v_mov_b32_e32 v2, v63
	v_mov_b32_e32 v5, v3
	v_pk_mul_f32 v[2:3], v[18:19], v[2:3] op_sel:[1,0] op_sel_hi:[0,0]
	v_pk_add_f32 v[0:1], v[0:1], v[4:5]
	v_pk_fma_f32 v[4:5], v[18:19], v[62:63], v[2:3] neg_lo:[0,0,1] neg_hi:[0,0,1]
	v_pk_fma_f32 v[2:3], v[18:19], v[62:63], v[2:3] op_sel_hi:[1,0,1]
	s_add_i32 s44, s44, s3
	v_mov_b32_e32 v2, v61
	v_mov_b32_e32 v5, v3
	v_pk_mul_f32 v[2:3], v[20:21], v[2:3] op_sel:[1,0] op_sel_hi:[0,0]
	v_pk_add_f32 v[0:1], v[0:1], v[4:5]
	v_pk_fma_f32 v[4:5], v[20:21], v[60:61], v[2:3] neg_lo:[0,0,1] neg_hi:[0,0,1]
	v_pk_fma_f32 v[2:3], v[20:21], v[60:61], v[2:3] op_sel_hi:[1,0,1]
	v_lshl_add_u64 v[40:41], v[40:41], 0, s[10:11]
	v_mov_b32_e32 v2, v59
	v_mov_b32_e32 v5, v3
	v_pk_mul_f32 v[2:3], v[22:23], v[2:3] op_sel:[1,0] op_sel_hi:[0,0]
	v_pk_add_f32 v[0:1], v[0:1], v[4:5]
	v_pk_fma_f32 v[4:5], v[22:23], v[58:59], v[2:3] neg_lo:[0,0,1] neg_hi:[0,0,1]
	v_pk_fma_f32 v[2:3], v[22:23], v[58:59], v[2:3] op_sel_hi:[1,0,1]
	s_cmp_eq_u32 s2, 0
	v_mov_b32_e32 v2, v73
	v_mov_b32_e32 v5, v3
	v_pk_mul_f32 v[2:3], v[24:25], v[2:3] op_sel:[1,0] op_sel_hi:[0,0]
	v_pk_add_f32 v[0:1], v[0:1], v[4:5]
	v_pk_fma_f32 v[4:5], v[24:25], v[72:73], v[2:3] neg_lo:[0,0,1] neg_hi:[0,0,1]
	v_pk_fma_f32 v[2:3], v[24:25], v[72:73], v[2:3] op_sel_hi:[1,0,1]
	v_add_u32_e32 v34, 64, v34
	v_mov_b32_e32 v2, v71
	v_mov_b32_e32 v5, v3
	v_pk_mul_f32 v[2:3], v[26:27], v[2:3] op_sel:[1,0] op_sel_hi:[0,0]
	v_pk_fma_f32 v[6:7], v[26:27], v[70:71], v[2:3] neg_lo:[0,0,1] neg_hi:[0,0,1]
	v_pk_fma_f32 v[2:3], v[26:27], v[70:71], v[2:3] op_sel_hi:[1,0,1]
	v_pk_add_f32 v[0:1], v[0:1], v[4:5]
	v_mov_b32_e32 v2, v69
	v_mov_b32_e32 v7, v3
	v_pk_mul_f32 v[2:3], v[28:29], v[2:3] op_sel:[1,0] op_sel_hi:[0,0]
	v_pk_fma_f32 v[8:9], v[28:29], v[68:69], v[2:3] neg_lo:[0,0,1] neg_hi:[0,0,1]
	v_pk_fma_f32 v[2:3], v[28:29], v[68:69], v[2:3] op_sel_hi:[1,0,1]
	v_pk_add_f32 v[0:1], v[0:1], v[6:7]
	;; [unrolled: 6-line block ×3, first 2 shown]
	v_mov_b32_e32 v11, v3
	v_pk_add_f32 v[36:37], v[0:1], v[10:11]
	s_barrier
	s_cbranch_scc1 .LBB121_97
.LBB121_93:                             ; =>This Inner Loop Header: Depth=1
	s_and_saveexec_b64 s[46:47], s[18:19]
	s_cbranch_execz .LBB121_95
; %bb.94:                               ;   in Loop: Header=BB121_93 Depth=1
	s_ashr_i32 s45, s44, 31
	v_lshl_add_u64 v[0:1], s[44:45], 3, v[38:39]
	global_load_dwordx2 v[0:1], v[0:1], off
	s_waitcnt vmcnt(0)
	ds_write_b64 v75, v[0:1]
.LBB121_95:                             ;   in Loop: Header=BB121_93 Depth=1
	s_or_b64 exec, exec, s[46:47]
	v_lshl_add_u64 v[0:1], v[40:41], 0, s[8:9]
	s_waitcnt lgkmcnt(0)
	s_barrier
	global_load_dwordx2 v[48:49], v[40:41], off
	global_load_dwordx2 v[46:47], v[0:1], off
	v_lshl_add_u64 v[0:1], v[40:41], 0, s[12:13]
	global_load_dwordx2 v[44:45], v[0:1], off
	v_lshl_add_u64 v[0:1], v[40:41], 0, s[14:15]
	global_load_dwordx2 v[42:43], v[0:1], off
	ds_read_b64 v[8:9], v77
	ds_read_b128 v[4:7], v76
	ds_read_b128 v[0:3], v76 offset:16
	v_lshl_add_u64 v[10:11], v[40:41], 0, s[22:23]
	v_lshl_add_u64 v[68:69], v[40:41], 0, s[36:37]
	s_waitcnt vmcnt(3) lgkmcnt(2)
	v_mul_f32_e32 v12, v9, v49
	v_mul_f32_e32 v13, v9, v48
	s_waitcnt vmcnt(2)
	v_mul_f32_e32 v14, v9, v47
	v_mul_f32_e32 v15, v9, v46
	s_waitcnt vmcnt(1)
	;; [unrolled: 3-line block ×3, first 2 shown]
	v_mul_f32_e32 v18, v9, v43
	v_mul_f32_e32 v19, v8, v43
	v_fma_f32 v12, v8, v48, -v12
	v_fmac_f32_e32 v13, v8, v49
	v_fma_f32 v14, v8, v46, -v14
	v_fmac_f32_e32 v15, v8, v47
	;; [unrolled: 2-line block ×4, first 2 shown]
	v_lshl_add_u64 v[8:9], v[40:41], 0, s[42:43]
	ds_write2_b64 v78, v[12:13], v[14:15] offset1:67
	ds_write2_b64 v78, v[16:17], v[18:19] offset0:134 offset1:201
	s_waitcnt lgkmcnt(0)
	s_barrier
	ds_read2_b64 v[24:27], v79 offset1:1
	ds_read2_b64 v[28:31], v79 offset0:2 offset1:3
	s_waitcnt lgkmcnt(0)
	s_barrier
	global_load_dwordx2 v[56:57], v[10:11], off
	global_load_dwordx2 v[54:55], v[8:9], off
	v_lshl_add_u64 v[8:9], v[40:41], 0, s[16:17]
	global_load_dwordx2 v[50:51], v[8:9], off
	v_lshl_add_u64 v[8:9], v[40:41], 0, s[20:21]
	global_load_dwordx2 v[52:53], v[8:9], off
	ds_read_b64 v[16:17], v77
	v_lshl_add_u64 v[18:19], v[40:41], 0, s[40:41]
	ds_read_b128 v[12:15], v76 offset:128
	ds_read_b128 v[8:11], v76 offset:144
	v_pk_add_f32 v[24:25], v[24:25], 0 op_sel_hi:[1,0]
	s_waitcnt vmcnt(3) lgkmcnt(2)
	v_mul_f32_e32 v20, v17, v57
	v_mul_f32_e32 v21, v17, v56
	s_waitcnt vmcnt(2)
	v_mul_f32_e32 v22, v17, v55
	v_mul_f32_e32 v23, v17, v54
	s_waitcnt vmcnt(1)
	;; [unrolled: 3-line block ×3, first 2 shown]
	v_mul_f32_e32 v60, v17, v53
	v_mul_f32_e32 v61, v16, v53
	v_fma_f32 v20, v16, v56, -v20
	v_fmac_f32_e32 v21, v16, v57
	v_fma_f32 v22, v16, v54, -v22
	v_fmac_f32_e32 v23, v16, v55
	;; [unrolled: 2-line block ×4, first 2 shown]
	v_lshl_add_u64 v[16:17], v[40:41], 0, s[38:39]
	ds_write2_b64 v78, v[20:21], v[22:23] offset1:67
	ds_write2_b64 v78, v[58:59], v[60:61] offset0:134 offset1:201
	s_waitcnt lgkmcnt(0)
	s_barrier
	ds_read2_b64 v[84:87], v79 offset1:1
	ds_read2_b64 v[88:91], v79 offset0:2 offset1:3
	s_waitcnt lgkmcnt(0)
	s_barrier
	global_load_dwordx2 v[64:65], v[18:19], off
	global_load_dwordx2 v[62:63], v[16:17], off
	v_lshl_add_u64 v[16:17], v[40:41], 0, s[24:25]
	global_load_dwordx2 v[60:61], v[16:17], off
	v_lshl_add_u64 v[16:17], v[40:41], 0, s[26:27]
	global_load_dwordx2 v[58:59], v[16:17], off
	ds_read_b64 v[66:67], v77
	ds_read_b128 v[16:19], v76 offset:256
	ds_read_b128 v[20:23], v76 offset:272
	v_pk_add_f32 v[24:25], v[24:25], v[26:27]
	s_waitcnt vmcnt(3) lgkmcnt(2)
	v_mul_f32_e32 v70, v67, v65
	v_mul_f32_e32 v71, v67, v64
	s_waitcnt vmcnt(2)
	v_mul_f32_e32 v72, v67, v63
	v_mul_f32_e32 v73, v67, v62
	s_waitcnt vmcnt(1)
	;; [unrolled: 3-line block ×3, first 2 shown]
	v_mul_f32_e32 v94, v67, v59
	v_mul_f32_e32 v95, v66, v59
	v_fma_f32 v70, v66, v64, -v70
	v_fma_f32 v72, v66, v62, -v72
	;; [unrolled: 1-line block ×4, first 2 shown]
	v_fmac_f32_e32 v71, v66, v65
	v_fmac_f32_e32 v73, v66, v63
	;; [unrolled: 1-line block ×4, first 2 shown]
	v_lshl_add_u64 v[66:67], v[40:41], 0, s[34:35]
	ds_write2_b64 v78, v[70:71], v[72:73] offset1:67
	ds_write2_b64 v78, v[92:93], v[94:95] offset0:134 offset1:201
	s_waitcnt lgkmcnt(0)
	s_barrier
	ds_read2_b64 v[92:95], v79 offset1:1
	ds_read2_b64 v[96:99], v79 offset0:2 offset1:3
	s_waitcnt lgkmcnt(0)
	s_barrier
	global_load_dwordx2 v[72:73], v[68:69], off
	global_load_dwordx2 v[70:71], v[66:67], off
	v_lshl_add_u64 v[66:67], v[40:41], 0, s[28:29]
	global_load_dwordx2 v[68:69], v[66:67], off
	v_lshl_add_u64 v[66:67], v[40:41], 0, s[30:31]
	global_load_dwordx2 v[66:67], v[66:67], off
	v_pk_add_f32 v[24:25], v[24:25], v[28:29]
	s_nop 0
	v_pk_add_f32 v[100:101], v[24:25], v[30:31]
	v_pk_add_f32 v[24:25], v[84:85], 0 op_sel_hi:[1,0]
	s_nop 0
	v_pk_add_f32 v[24:25], v[24:25], v[86:87]
	v_pk_add_f32 v[86:87], v[92:93], 0 op_sel_hi:[1,0]
	v_pk_add_f32 v[24:25], v[24:25], v[88:89]
	v_pk_add_f32 v[86:87], v[86:87], v[94:95]
	;; [unrolled: 1-line block ×3, first 2 shown]
	ds_read_b64 v[84:85], v77
	ds_read_b128 v[24:27], v76 offset:384
	ds_read_b128 v[28:31], v76 offset:400
	v_pk_add_f32 v[86:87], v[86:87], v[96:97]
	s_waitcnt vmcnt(3) lgkmcnt(2)
	v_mul_f32_e32 v83, v85, v73
	v_pk_add_f32 v[92:93], v[86:87], v[98:99]
	v_mul_f32_e32 v87, v85, v72
	s_waitcnt vmcnt(2)
	v_mul_f32_e32 v88, v85, v71
	v_mul_f32_e32 v89, v85, v70
	s_waitcnt vmcnt(1)
	v_mul_f32_e32 v90, v85, v69
	;; [unrolled: 3-line block ×3, first 2 shown]
	v_mul_f32_e32 v95, v84, v67
	v_fma_f32 v86, v84, v72, -v83
	v_fma_f32 v88, v84, v70, -v88
	v_fmac_f32_e32 v87, v84, v73
	v_fmac_f32_e32 v89, v84, v71
	v_fma_f32 v90, v84, v68, -v90
	v_fmac_f32_e32 v91, v84, v69
	v_fma_f32 v94, v84, v66, -v94
	v_fmac_f32_e32 v95, v85, v66
	ds_write2_b64 v78, v[86:87], v[88:89] offset1:67
	ds_write2_b64 v78, v[90:91], v[94:95] offset0:134 offset1:201
	s_waitcnt lgkmcnt(0)
	s_barrier
	ds_read2_b64 v[84:87], v79 offset1:1
	ds_read2_b64 v[88:91], v79 offset0:2 offset1:3
	s_waitcnt lgkmcnt(0)
	s_barrier
	v_pk_add_f32 v[84:85], v[84:85], 0 op_sel_hi:[1,0]
	ds_write2_b64 v82, v[100:101], v[102:103] offset1:16
	v_pk_add_f32 v[84:85], v[84:85], v[86:87]
	s_nop 0
	v_pk_add_f32 v[84:85], v[84:85], v[88:89]
	s_nop 0
	v_pk_add_f32 v[84:85], v[84:85], v[90:91]
	ds_write2_b64 v82, v[92:93], v[84:85] offset0:32 offset1:48
	s_waitcnt lgkmcnt(0)
	s_barrier
	s_and_saveexec_b64 s[46:47], s[0:1]
	s_cbranch_execz .LBB121_92
; %bb.96:                               ;   in Loop: Header=BB121_93 Depth=1
	ds_read_b64 v[92:93], v80
	ds_read2_b64 v[84:87], v80 offset0:1 offset1:2
	ds_read2_b64 v[88:91], v80 offset0:3 offset1:4
	v_lshl_add_u64 v[96:97], v[34:35], 3, s[6:7]
	s_waitcnt lgkmcnt(1)
	v_add_f32_e32 v83, v84, v92
	v_add_f32_e32 v84, v85, v93
	;; [unrolled: 1-line block ×4, first 2 shown]
	ds_read2_b64 v[84:87], v80 offset0:5 offset1:6
	s_waitcnt lgkmcnt(1)
	v_add_f32_e32 v83, v83, v88
	v_add_f32_e32 v88, v92, v89
	;; [unrolled: 1-line block ×4, first 2 shown]
	ds_read2_b64 v[88:91], v80 offset0:7 offset1:8
	s_waitcnt lgkmcnt(1)
	v_pk_add_f32 v[84:85], v[92:93], v[84:85]
	ds_read2_b64 v[92:95], v80 offset0:9 offset1:10
	v_pk_add_f32 v[84:85], v[84:85], v[86:87]
	s_waitcnt lgkmcnt(1)
	v_pk_add_f32 v[84:85], v[84:85], v[88:89]
	s_nop 0
	v_pk_add_f32 v[88:89], v[84:85], v[90:91]
	ds_read2_b64 v[84:87], v80 offset0:11 offset1:12
	s_waitcnt lgkmcnt(1)
	v_pk_add_f32 v[92:93], v[88:89], v[92:93]
	ds_read2_b64 v[88:91], v80 offset0:13 offset1:14
	v_pk_add_f32 v[92:93], v[92:93], v[94:95]
	ds_read_b64 v[94:95], v81
	s_waitcnt lgkmcnt(2)
	v_pk_add_f32 v[84:85], v[92:93], v[84:85]
	s_nop 0
	v_pk_add_f32 v[84:85], v[84:85], v[86:87]
	s_waitcnt lgkmcnt(1)
	v_pk_add_f32 v[84:85], v[84:85], v[88:89]
	s_nop 0
	v_pk_add_f32 v[84:85], v[84:85], v[90:91]
	s_waitcnt lgkmcnt(0)
	v_pk_add_f32 v[84:85], v[84:85], v[94:95]
	global_store_dwordx2 v[96:97], v[84:85], off
	s_branch .LBB121_92
.LBB121_97:
	s_movk_i32 s0, 0x218
	v_mad_u32_u24 v0, v33, s0, v74
	s_nor_b64 s[0:1], s[4:5], vcc
	ds_write_b64 v0, v[36:37]
	s_waitcnt lgkmcnt(0)
	s_barrier
	s_and_saveexec_b64 s[2:3], s[0:1]
	s_cbranch_execz .LBB121_99
; %bb.98:
	ds_read2_b64 v[0:3], v74 offset1:67
	ds_read2_b64 v[4:7], v74 offset0:134 offset1:201
	v_ashrrev_i32_e32 v33, 31, v32
	v_lshl_add_u64 v[8:9], v[32:33], 3, s[6:7]
	s_waitcnt lgkmcnt(1)
	v_pk_add_f32 v[0:1], v[2:3], v[0:1]
	s_waitcnt lgkmcnt(0)
	v_pk_add_f32 v[0:1], v[4:5], v[0:1]
	s_nop 0
	v_pk_add_f32 v[0:1], v[0:1], v[6:7]
	global_store_dwordx2 v[8:9], v[0:1], off
.LBB121_99:
	s_endpgm
	.section	.rodata,"a",@progbits
	.p2align	6, 0x0
	.amdhsa_kernel _ZL26rocblas_hemvn_kernel_lowerILb0ELi64ELi4ELi33ELi32ELi16Ei19rocblas_complex_numIfEPKS1_PS1_EviT6_lT7_lT5_lS6_lS7_lS5_lT8_i
		.amdhsa_group_segment_fixed_size 9600
		.amdhsa_private_segment_fixed_size 0
		.amdhsa_kernarg_size 376
		.amdhsa_user_sgpr_count 2
		.amdhsa_user_sgpr_dispatch_ptr 0
		.amdhsa_user_sgpr_queue_ptr 0
		.amdhsa_user_sgpr_kernarg_segment_ptr 1
		.amdhsa_user_sgpr_dispatch_id 0
		.amdhsa_user_sgpr_kernarg_preload_length 0
		.amdhsa_user_sgpr_kernarg_preload_offset 0
		.amdhsa_user_sgpr_private_segment_size 0
		.amdhsa_uses_dynamic_stack 0
		.amdhsa_enable_private_segment 0
		.amdhsa_system_sgpr_workgroup_id_x 1
		.amdhsa_system_sgpr_workgroup_id_y 0
		.amdhsa_system_sgpr_workgroup_id_z 1
		.amdhsa_system_sgpr_workgroup_info 0
		.amdhsa_system_vgpr_workitem_id 1
		.amdhsa_next_free_vgpr 104
		.amdhsa_next_free_sgpr 48
		.amdhsa_accum_offset 104
		.amdhsa_reserve_vcc 1
		.amdhsa_float_round_mode_32 0
		.amdhsa_float_round_mode_16_64 0
		.amdhsa_float_denorm_mode_32 3
		.amdhsa_float_denorm_mode_16_64 3
		.amdhsa_dx10_clamp 1
		.amdhsa_ieee_mode 1
		.amdhsa_fp16_overflow 0
		.amdhsa_tg_split 0
		.amdhsa_exception_fp_ieee_invalid_op 0
		.amdhsa_exception_fp_denorm_src 0
		.amdhsa_exception_fp_ieee_div_zero 0
		.amdhsa_exception_fp_ieee_overflow 0
		.amdhsa_exception_fp_ieee_underflow 0
		.amdhsa_exception_fp_ieee_inexact 0
		.amdhsa_exception_int_div_zero 0
	.end_amdhsa_kernel
	.section	.text._ZL26rocblas_hemvn_kernel_lowerILb0ELi64ELi4ELi33ELi32ELi16Ei19rocblas_complex_numIfEPKS1_PS1_EviT6_lT7_lT5_lS6_lS7_lS5_lT8_i,"axG",@progbits,_ZL26rocblas_hemvn_kernel_lowerILb0ELi64ELi4ELi33ELi32ELi16Ei19rocblas_complex_numIfEPKS1_PS1_EviT6_lT7_lT5_lS6_lS7_lS5_lT8_i,comdat
.Lfunc_end121:
	.size	_ZL26rocblas_hemvn_kernel_lowerILb0ELi64ELi4ELi33ELi32ELi16Ei19rocblas_complex_numIfEPKS1_PS1_EviT6_lT7_lT5_lS6_lS7_lS5_lT8_i, .Lfunc_end121-_ZL26rocblas_hemvn_kernel_lowerILb0ELi64ELi4ELi33ELi32ELi16Ei19rocblas_complex_numIfEPKS1_PS1_EviT6_lT7_lT5_lS6_lS7_lS5_lT8_i
                                        ; -- End function
	.set _ZL26rocblas_hemvn_kernel_lowerILb0ELi64ELi4ELi33ELi32ELi16Ei19rocblas_complex_numIfEPKS1_PS1_EviT6_lT7_lT5_lS6_lS7_lS5_lT8_i.num_vgpr, 104
	.set _ZL26rocblas_hemvn_kernel_lowerILb0ELi64ELi4ELi33ELi32ELi16Ei19rocblas_complex_numIfEPKS1_PS1_EviT6_lT7_lT5_lS6_lS7_lS5_lT8_i.num_agpr, 0
	.set _ZL26rocblas_hemvn_kernel_lowerILb0ELi64ELi4ELi33ELi32ELi16Ei19rocblas_complex_numIfEPKS1_PS1_EviT6_lT7_lT5_lS6_lS7_lS5_lT8_i.numbered_sgpr, 48
	.set _ZL26rocblas_hemvn_kernel_lowerILb0ELi64ELi4ELi33ELi32ELi16Ei19rocblas_complex_numIfEPKS1_PS1_EviT6_lT7_lT5_lS6_lS7_lS5_lT8_i.num_named_barrier, 0
	.set _ZL26rocblas_hemvn_kernel_lowerILb0ELi64ELi4ELi33ELi32ELi16Ei19rocblas_complex_numIfEPKS1_PS1_EviT6_lT7_lT5_lS6_lS7_lS5_lT8_i.private_seg_size, 0
	.set _ZL26rocblas_hemvn_kernel_lowerILb0ELi64ELi4ELi33ELi32ELi16Ei19rocblas_complex_numIfEPKS1_PS1_EviT6_lT7_lT5_lS6_lS7_lS5_lT8_i.uses_vcc, 1
	.set _ZL26rocblas_hemvn_kernel_lowerILb0ELi64ELi4ELi33ELi32ELi16Ei19rocblas_complex_numIfEPKS1_PS1_EviT6_lT7_lT5_lS6_lS7_lS5_lT8_i.uses_flat_scratch, 0
	.set _ZL26rocblas_hemvn_kernel_lowerILb0ELi64ELi4ELi33ELi32ELi16Ei19rocblas_complex_numIfEPKS1_PS1_EviT6_lT7_lT5_lS6_lS7_lS5_lT8_i.has_dyn_sized_stack, 0
	.set _ZL26rocblas_hemvn_kernel_lowerILb0ELi64ELi4ELi33ELi32ELi16Ei19rocblas_complex_numIfEPKS1_PS1_EviT6_lT7_lT5_lS6_lS7_lS5_lT8_i.has_recursion, 0
	.set _ZL26rocblas_hemvn_kernel_lowerILb0ELi64ELi4ELi33ELi32ELi16Ei19rocblas_complex_numIfEPKS1_PS1_EviT6_lT7_lT5_lS6_lS7_lS5_lT8_i.has_indirect_call, 0
	.section	.AMDGPU.csdata,"",@progbits
; Kernel info:
; codeLenInByte = 7404
; TotalNumSgprs: 54
; NumVgprs: 104
; NumAgprs: 0
; TotalNumVgprs: 104
; ScratchSize: 0
; MemoryBound: 1
; FloatMode: 240
; IeeeMode: 1
; LDSByteSize: 9600 bytes/workgroup (compile time only)
; SGPRBlocks: 6
; VGPRBlocks: 12
; NumSGPRsForWavesPerEU: 54
; NumVGPRsForWavesPerEU: 104
; AccumOffset: 104
; Occupancy: 4
; WaveLimiterHint : 1
; COMPUTE_PGM_RSRC2:SCRATCH_EN: 0
; COMPUTE_PGM_RSRC2:USER_SGPR: 2
; COMPUTE_PGM_RSRC2:TRAP_HANDLER: 0
; COMPUTE_PGM_RSRC2:TGID_X_EN: 1
; COMPUTE_PGM_RSRC2:TGID_Y_EN: 0
; COMPUTE_PGM_RSRC2:TGID_Z_EN: 1
; COMPUTE_PGM_RSRC2:TIDIG_COMP_CNT: 1
; COMPUTE_PGM_RSRC3_GFX90A:ACCUM_OFFSET: 25
; COMPUTE_PGM_RSRC3_GFX90A:TG_SPLIT: 0
	.section	.text._ZL26rocblas_hemvn_kernel_upperILb0ELi64ELi4ELi33ELi32ELi16ElPK19rocblas_complex_numIdES3_PS1_EviT6_lT7_lT5_lS6_lS7_lS5_lT8_i,"axG",@progbits,_ZL26rocblas_hemvn_kernel_upperILb0ELi64ELi4ELi33ELi32ELi16ElPK19rocblas_complex_numIdES3_PS1_EviT6_lT7_lT5_lS6_lS7_lS5_lT8_i,comdat
	.globl	_ZL26rocblas_hemvn_kernel_upperILb0ELi64ELi4ELi33ELi32ELi16ElPK19rocblas_complex_numIdES3_PS1_EviT6_lT7_lT5_lS6_lS7_lS5_lT8_i ; -- Begin function _ZL26rocblas_hemvn_kernel_upperILb0ELi64ELi4ELi33ELi32ELi16ElPK19rocblas_complex_numIdES3_PS1_EviT6_lT7_lT5_lS6_lS7_lS5_lT8_i
	.p2align	8
	.type	_ZL26rocblas_hemvn_kernel_upperILb0ELi64ELi4ELi33ELi32ELi16ElPK19rocblas_complex_numIdES3_PS1_EviT6_lT7_lT5_lS6_lS7_lS5_lT8_i,@function
_ZL26rocblas_hemvn_kernel_upperILb0ELi64ELi4ELi33ELi32ELi16ElPK19rocblas_complex_numIdES3_PS1_EviT6_lT7_lT5_lS6_lS7_lS5_lT8_i: ; @_ZL26rocblas_hemvn_kernel_upperILb0ELi64ELi4ELi33ELi32ELi16ElPK19rocblas_complex_numIdES3_PS1_EviT6_lT7_lT5_lS6_lS7_lS5_lT8_i
; %bb.0:
	s_load_dwordx2 s[6:7], s[0:1], 0x84
	s_add_u32 s4, s0, 0x78
	s_addc_u32 s5, s1, 0
	s_waitcnt lgkmcnt(0)
	s_lshr_b32 s8, s6, 16
	s_and_b32 s6, s6, 0xffff
	s_and_b32 s7, s7, 0xffff
	s_mul_i32 s6, s8, s6
	s_mul_i32 s6, s6, s7
	s_cmpk_lg_i32 s6, 0x100
	s_cbranch_scc1 .LBB122_156
; %bb.1:
	s_load_dwordx16 s[8:23], s[0:1], 0x8
	s_waitcnt lgkmcnt(0)
	s_mul_i32 s7, s11, s3
	s_mul_hi_u32 s11, s10, s3
	s_mul_i32 s6, s10, s3
	s_add_i32 s7, s11, s7
	s_lshl_b64 s[6:7], s[6:7], 4
	s_add_u32 s6, s8, s6
	s_addc_u32 s7, s9, s7
	s_load_dwordx4 s[8:11], s[6:7], 0x0
	s_load_dwordx2 s[34:35], s[0:1], 0x68
	s_load_dwordx8 s[24:31], s[0:1], 0x48
	s_waitcnt lgkmcnt(0)
	v_cmp_neq_f64_e64 s[6:7], s[8:9], 0
	v_cmp_neq_f64_e64 s[8:9], s[10:11], 0
	s_or_b64 s[6:7], s[6:7], s[8:9]
	s_mov_b64 s[8:9], -1
	s_and_b64 vcc, exec, s[6:7]
	s_cbranch_vccnz .LBB122_3
; %bb.2:
	s_mul_i32 s8, s31, s3
	s_mul_hi_u32 s9, s30, s3
	s_add_i32 s9, s9, s8
	s_mul_i32 s8, s30, s3
	s_lshl_b64 s[8:9], s[8:9], 4
	s_add_u32 s28, s28, s8
	s_addc_u32 s29, s29, s9
	s_load_dwordx4 s[8:11], s[28:29], 0x0
	s_waitcnt lgkmcnt(0)
	v_cmp_neq_f64_e64 s[8:9], s[8:9], 1.0
	v_cmp_neq_f64_e64 s[10:11], s[10:11], 0
	s_or_b64 s[8:9], s[8:9], s[10:11]
.LBB122_3:
	s_andn2_b64 vcc, exec, s[8:9]
	s_cbranch_vccnz .LBB122_156
; %bb.4:
	s_andn2_b64 vcc, exec, s[6:7]
	s_cbranch_vccnz .LBB122_156
; %bb.5:
	s_load_dword s28, s[4:5], 0x0
	s_load_dword s30, s[0:1], 0x0
	s_mul_i32 s0, s27, s3
	s_mul_hi_u32 s1, s26, s3
	s_add_i32 s1, s1, s0
	s_mul_i32 s0, s26, s3
	s_lshl_b64 s[0:1], s[0:1], 4
	s_add_u32 s4, s20, s0
	s_addc_u32 s5, s21, s1
	s_lshl_b64 s[0:1], s[22:23], 4
	s_add_u32 s0, s4, s0
	s_addc_u32 s1, s5, s1
	s_waitcnt lgkmcnt(0)
	s_ashr_i32 s31, s30, 31
	s_lshr_b32 s5, s31, 26
	v_and_b32_e32 v202, 0x3ff, v0
	s_lshl_b32 s22, s2, 6
	s_add_i32 s5, s30, s5
	s_andn2_b32 s5, s5, 63
	v_add_u32_e32 v164, s22, v202
	s_add_i32 s4, s28, -1
	s_sub_i32 s29, s30, s5
	v_ashrrev_i32_e32 v165, 31, v164
	v_bfe_u32 v203, v0, 10, 10
	s_cmp_eq_u32 s2, s4
	v_mul_lo_u32 v2, s24, v165
	v_mul_lo_u32 v3, s25, v164
	v_mad_u64_u32 v[0:1], s[4:5], s24, v164, 0
	v_add3_u32 v1, v1, v2, v3
	s_cselect_b32 s20, s29, 0
	v_lshl_add_u64 v[36:37], v[0:1], 4, s[0:1]
	v_cmp_eq_u32_e64 s[0:1], 0, v203
	s_and_saveexec_b64 s[4:5], s[0:1]
	s_cbranch_execz .LBB122_10
; %bb.6:
	s_cmp_lg_u32 s20, 0
	s_cselect_b64 s[6:7], -1, 0
	v_cmp_le_i32_e32 vcc, s20, v202
	v_mov_b32_e32 v0, 0x4700
	s_and_b64 s[6:7], s[6:7], vcc
	v_lshl_add_u32 v0, v202, 4, v0
	s_and_saveexec_b64 s[8:9], s[6:7]
	s_xor_b64 s[6:7], exec, s[8:9]
; %bb.7:
	v_mov_b32_e32 v2, 0
	v_mov_b32_e32 v3, v2
	;; [unrolled: 1-line block ×4, first 2 shown]
	ds_write_b128 v0, v[2:5]
                                        ; implicit-def: $vgpr0
; %bb.8:
	s_andn2_saveexec_b64 s[6:7], s[6:7]
	s_cbranch_execz .LBB122_10
; %bb.9:
	global_load_dwordx4 v[2:5], v[36:37], off
	s_waitcnt vmcnt(0)
	ds_write2_b64 v0, v[2:3], v[4:5] offset1:1
.LBB122_10:
	s_or_b64 exec, exec, s[4:5]
	s_mul_i32 s4, s19, s3
	s_mul_hi_u32 s5, s18, s3
	s_add_i32 s5, s5, s4
	s_mul_i32 s4, s18, s3
	s_lshl_b64 s[4:5], s[4:5], 4
	s_add_u32 s6, s12, s4
	s_addc_u32 s7, s13, s5
	s_lshl_b64 s[4:5], s[14:15], 4
	s_add_u32 s6, s6, s4
	s_addc_u32 s7, s7, s5
	s_ashr_i32 s23, s22, 31
	v_lshl_add_u32 v42, v203, 6, v202
	s_lshl_b64 s[4:5], s[22:23], 4
	v_and_b32_e32 v6, 31, v202
	v_lshrrev_b32_e32 v14, 5, v42
	s_add_u32 s4, s6, s4
	v_mov_b32_e32 v7, 0
	s_addc_u32 s5, s7, s5
	v_mad_u64_u32 v[38:39], s[6:7], s16, v14, v[6:7]
	v_mov_b32_e32 v0, v39
	v_mad_u64_u32 v[0:1], s[6:7], s17, v14, v[0:1]
	v_mov_b32_e32 v39, v0
	v_lshl_add_u64 v[0:1], v[38:39], 4, s[4:5]
	s_mul_hi_u32 s4, s16, s22
	s_mul_i32 s5, s16, s23
	s_add_i32 s4, s4, s5
	s_mul_i32 s5, s17, s22
	s_add_i32 s5, s4, s5
	s_cmp_eq_u32 s20, 0
	s_cselect_b64 s[18:19], -1, 0
	s_cmp_lg_u32 s20, 0
	s_mul_i32 s4, s16, s22
	s_cselect_b64 s[26:27], -1, 0
	v_lshl_add_u64 v[0:1], s[4:5], 4, v[0:1]
	s_and_b64 vcc, exec, s[26:27]
	v_cmp_gt_i32_e64 s[4:5], s20, v6
	v_lshlrev_b32_e32 v4, 4, v6
	v_lshlrev_b32_e32 v15, 4, v6
	s_cbranch_vccz .LBB122_28
; %bb.11:
	v_sub_co_u32_e32 v2, vcc, v0, v4
	s_ashr_i32 s21, s20, 31
	s_nop 0
	v_subbrev_co_u32_e32 v3, vcc, 0, v1, vcc
	v_lshl_add_u64 v[2:3], s[20:21], 4, v[2:3]
	v_lshl_add_u64 v[2:3], v[2:3], 0, -16
	s_movk_i32 s6, 0x210
	v_cndmask_b32_e64 v3, v3, v1, s[4:5]
	v_cndmask_b32_e64 v2, v2, v0, s[4:5]
	v_cmp_le_i32_e32 vcc, s20, v14
	v_mad_u32_u24 v7, v14, s6, v15
	s_and_saveexec_b64 s[6:7], vcc
	s_xor_b64 s[6:7], exec, s[6:7]
; %bb.12:
	v_mov_b32_e32 v8, 0
	v_mov_b32_e32 v9, v8
	;; [unrolled: 1-line block ×4, first 2 shown]
	ds_write_b128 v7, v[8:11]
                                        ; implicit-def: $vgpr7
; %bb.13:
	s_or_saveexec_b64 s[6:7], s[6:7]
	v_mul_u32_u24_e32 v5, 0x210, v14
	s_xor_b64 exec, exec, s[6:7]
	s_cbranch_execz .LBB122_15
; %bb.14:
	global_load_dwordx4 v[8:11], v[2:3], off
	s_waitcnt vmcnt(0)
	ds_write2_b64 v7, v[8:9], v[10:11] offset1:1
.LBB122_15:
	s_or_b64 exec, exec, s[6:7]
	v_add_u32_e32 v7, 8, v14
	v_cmp_le_i32_e32 vcc, s20, v7
	v_add_u32_e32 v7, v5, v15
	s_and_saveexec_b64 s[6:7], vcc
	s_xor_b64 s[6:7], exec, s[6:7]
; %bb.16:
	v_mov_b32_e32 v8, 0
	v_mov_b32_e32 v9, v8
	v_mov_b32_e32 v10, v8
	v_mov_b32_e32 v11, v8
	ds_write_b128 v7, v[8:11] offset:4224
; %bb.17:
	s_andn2_saveexec_b64 s[6:7], s[6:7]
	s_cbranch_execz .LBB122_19
; %bb.18:
	s_lshl_b64 s[8:9], s[16:17], 7
	v_lshl_add_u64 v[8:9], v[2:3], 0, s[8:9]
	global_load_dwordx4 v[8:11], v[8:9], off
	s_movk_i32 s8, 0x1080
	v_add3_u32 v12, v5, v15, s8
	s_waitcnt vmcnt(0)
	ds_write2_b64 v12, v[8:9], v[10:11] offset1:1
.LBB122_19:
	s_or_b64 exec, exec, s[6:7]
	v_add_u32_e32 v8, 16, v14
	v_cmp_le_i32_e32 vcc, s20, v8
	s_and_saveexec_b64 s[6:7], vcc
	s_xor_b64 s[6:7], exec, s[6:7]
; %bb.20:
	v_mov_b32_e32 v8, 0
	v_mov_b32_e32 v9, v8
	;; [unrolled: 1-line block ×4, first 2 shown]
	ds_write_b128 v7, v[8:11] offset:8448
; %bb.21:
	s_andn2_saveexec_b64 s[6:7], s[6:7]
	s_cbranch_execz .LBB122_23
; %bb.22:
	s_lshl_b64 s[8:9], s[16:17], 8
	v_lshl_add_u64 v[8:9], v[2:3], 0, s[8:9]
	global_load_dwordx4 v[8:11], v[8:9], off
	s_movk_i32 s8, 0x2100
	v_add3_u32 v12, v5, v15, s8
	s_waitcnt vmcnt(0)
	ds_write2_b64 v12, v[8:9], v[10:11] offset1:1
.LBB122_23:
	s_or_b64 exec, exec, s[6:7]
	v_add_u32_e32 v8, 24, v14
	v_cmp_le_i32_e32 vcc, s20, v8
	s_and_saveexec_b64 s[6:7], vcc
	s_xor_b64 s[6:7], exec, s[6:7]
; %bb.24:
	v_mov_b32_e32 v8, 0
	v_mov_b32_e32 v9, v8
	;; [unrolled: 1-line block ×4, first 2 shown]
	ds_write_b128 v7, v[8:11] offset:12672
                                        ; implicit-def: $vgpr5
; %bb.25:
	s_andn2_saveexec_b64 s[6:7], s[6:7]
	s_cbranch_execz .LBB122_27
; %bb.26:
	v_mov_b32_e32 v7, 0x180
	v_mad_u64_u32 v[8:9], s[8:9], s16, v7, v[2:3]
	s_mul_i32 s8, s17, 0x180
	s_nop 0
	v_add_u32_e32 v9, s8, v9
	global_load_dwordx4 v[8:11], v[8:9], off
	s_movk_i32 s8, 0x3180
	v_add3_u32 v5, v5, v15, s8
	s_waitcnt vmcnt(0)
	ds_write2_b64 v5, v[8:9], v[10:11] offset1:1
.LBB122_27:
	s_or_b64 exec, exec, s[6:7]
	v_mov_b32_e32 v5, 0
	v_lshl_add_u64 v[2:3], v[2:3], 0, v[4:5]
	s_lshl_b64 s[6:7], s[20:21], 4
	v_mov_b32_e32 v5, s7
	v_subrev_co_u32_e32 v2, vcc, s6, v2
	s_nop 1
	v_subb_co_u32_e32 v3, vcc, v3, v5, vcc
	v_lshl_add_u64 v[2:3], v[2:3], 0, 16
	v_cndmask_b32_e64 v9, v3, v1, s[4:5]
	v_cndmask_b32_e64 v8, v2, v0, s[4:5]
	s_branch .LBB122_30
.LBB122_28:
                                        ; implicit-def: $vgpr8_vgpr9
	s_cbranch_execz .LBB122_30
; %bb.29:
	s_lshl_b64 s[4:5], s[16:17], 7
	v_lshl_add_u64 v[2:3], v[0:1], 0, s[4:5]
	global_load_dwordx4 v[8:11], v[0:1], off
	global_load_dwordx4 v[16:19], v[2:3], off
	v_lshl_add_u64 v[2:3], v[2:3], 0, s[4:5]
	v_lshl_add_u64 v[12:13], v[2:3], 0, s[4:5]
	global_load_dwordx4 v[20:23], v[2:3], off
	global_load_dwordx4 v[24:27], v[12:13], off
	v_mul_u32_u24_e32 v2, 0x210, v14
	v_lshl_add_u32 v2, v6, 4, v2
	v_add_u32_e32 v3, 0x1080, v2
	v_add_u32_e32 v5, 0x2100, v2
	;; [unrolled: 1-line block ×3, first 2 shown]
	s_waitcnt vmcnt(3)
	ds_write2_b64 v2, v[8:9], v[10:11] offset1:1
	s_waitcnt vmcnt(2)
	ds_write2_b64 v3, v[16:17], v[18:19] offset1:1
	;; [unrolled: 2-line block ×4, first 2 shown]
	v_mov_b64_e32 v[8:9], v[0:1]
.LBB122_30:
	v_lshlrev_b32_e32 v7, 2, v14
	v_lshl_or_b32 v0, v6, 9, v15
	v_cmp_gt_u32_e64 s[4:5], v7, v6
	v_lshl_add_u32 v1, v7, 4, v0
	s_waitcnt lgkmcnt(0)
	s_barrier
	s_and_saveexec_b64 s[6:7], s[4:5]
	s_cbranch_execz .LBB122_32
; %bb.31:
	s_movk_i32 s8, 0x840
	v_mad_u32_u24 v0, v14, s8, v15
	ds_read_b128 v[10:13], v0
	s_waitcnt lgkmcnt(0)
	ds_write_b128 v1, v[10:13]
.LBB122_32:
	s_or_b64 exec, exec, s[6:7]
	v_or_b32_e32 v0, 1, v7
	v_cmp_ge_u32_e64 s[6:7], v7, v6
	s_and_saveexec_b64 s[8:9], s[6:7]
	s_cbranch_execz .LBB122_34
; %bb.33:
	s_movk_i32 s10, 0x210
	v_mad_u32_u24 v2, v0, s10, v15
	ds_read_b128 v[10:13], v2
	s_waitcnt lgkmcnt(0)
	ds_write_b128 v1, v[10:13] offset:16
.LBB122_34:
	s_or_b64 exec, exec, s[8:9]
	v_or_b32_e32 v2, 2, v7
	v_cmp_gt_u32_e64 s[8:9], v2, v6
	s_and_saveexec_b64 s[10:11], s[8:9]
	s_cbranch_execz .LBB122_36
; %bb.35:
	s_movk_i32 s12, 0x210
	v_mad_u32_u24 v2, v2, s12, v15
	ds_read_b128 v[10:13], v2
	s_waitcnt lgkmcnt(0)
	ds_write_b128 v1, v[10:13] offset:32
.LBB122_36:
	s_or_b64 exec, exec, s[10:11]
	v_or_b32_e32 v3, 3, v7
	v_cmp_gt_u32_e64 s[10:11], v3, v6
	v_cmp_le_u32_e32 vcc, v3, v6
                                        ; implicit-def: $vgpr2
	s_and_saveexec_b64 s[12:13], vcc
	s_xor_b64 s[12:13], exec, s[12:13]
; %bb.37:
	v_mul_u32_u24_e32 v2, 0x210, v3
                                        ; implicit-def: $vgpr3
                                        ; implicit-def: $vgpr1
; %bb.38:
	s_andn2_saveexec_b64 s[12:13], s[12:13]
	s_cbranch_execz .LBB122_40
; %bb.39:
	s_movk_i32 s14, 0x210
	v_mad_u32_u24 v2, v3, s14, v15
	ds_read_b128 v[10:13], v2
	v_mul_u32_u24_e32 v2, 0x210, v3
	s_waitcnt lgkmcnt(0)
	ds_write_b128 v1, v[10:13] offset:48
.LBB122_40:
	s_or_b64 exec, exec, s[12:13]
	s_movk_i32 s12, 0x840
	v_lshlrev_b32_e32 v17, 4, v7
	s_movk_i32 s21, 0x210
	s_waitcnt lgkmcnt(0)
	s_barrier
	v_mad_u32_u24 v20, v14, s12, v15
	ds_read_b128 v[10:13], v17 offset:18176
	ds_read_b128 v[22:25], v17 offset:18192
	ds_read_b128 v[26:29], v20
	ds_read_b128 v[30:33], v17 offset:18208
	ds_read_b128 v[46:49], v17 offset:18224
	v_mad_u32_u24 v21, v0, s21, v15
	ds_read_b128 v[50:53], v21
	s_waitcnt lgkmcnt(3)
	v_mul_f64 v[0:1], v[12:13], v[28:29]
	v_fma_f64 v[18:19], v[10:11], v[26:27], -v[0:1]
	v_mul_f64 v[10:11], v[10:11], v[28:29]
	v_fmac_f64_e32 v[10:11], v[12:13], v[26:27]
	v_add_f64 v[26:27], v[10:11], 0
	s_waitcnt lgkmcnt(0)
	v_mul_f64 v[10:11], v[24:25], v[52:53]
	v_fma_f64 v[28:29], v[22:23], v[50:51], -v[10:11]
	v_mul_f64 v[22:23], v[22:23], v[52:53]
	v_fmac_f64_e32 v[22:23], v[24:25], v[50:51]
	ds_read_b128 v[10:13], v21 offset:528
	v_add_u32_e32 v45, v15, v2
	v_add_f64 v[26:27], v[26:27], v[22:23]
	ds_read_b128 v[22:25], v45
	v_add_f64 v[18:19], v[18:19], 0
	s_waitcnt lgkmcnt(1)
	v_mul_f64 v[2:3], v[32:33], v[12:13]
	v_mul_f64 v[12:13], v[30:31], v[12:13]
	v_add_f64 v[18:19], v[18:19], v[28:29]
	v_fma_f64 v[2:3], v[30:31], v[10:11], -v[2:3]
	v_fmac_f64_e32 v[12:13], v[32:33], v[10:11]
	s_waitcnt lgkmcnt(0)
	v_mul_f64 v[10:11], v[48:49], v[24:25]
	v_add_f64 v[2:3], v[18:19], v[2:3]
	v_fma_f64 v[10:11], v[46:47], v[22:23], -v[10:11]
	v_mul_f64 v[18:19], v[46:47], v[24:25]
	v_add_f64 v[10:11], v[2:3], v[10:11]
	v_mul_u32_u24_e32 v2, 33, v6
	v_add_f64 v[12:13], v[26:27], v[12:13]
	v_fmac_f64_e32 v[18:19], v[48:49], v[22:23]
	v_lshlrev_b32_e32 v43, 4, v2
	v_mov_b64_e32 v[0:1], 0
	v_add_f64 v[12:13], v[12:13], v[18:19]
	v_lshl_add_u32 v44, v14, 4, v43
	v_cmp_gt_u32_e64 s[12:13], 32, v42
	v_mov_b64_e32 v[2:3], 0
	s_barrier
	ds_write_b128 v44, v[10:13]
	s_waitcnt lgkmcnt(0)
	s_barrier
	s_and_saveexec_b64 s[14:15], s[12:13]
	s_cbranch_execz .LBB122_42
; %bb.41:
	ds_read_b128 v[0:3], v43
	ds_read_b128 v[10:13], v43 offset:16
	ds_read_b128 v[22:25], v43 offset:32
	;; [unrolled: 1-line block ×3, first 2 shown]
	s_waitcnt lgkmcnt(2)
	v_add_f64 v[0:1], v[10:11], v[0:1]
	v_add_f64 v[10:11], v[12:13], v[2:3]
	s_waitcnt lgkmcnt(1)
	v_add_f64 v[12:13], v[0:1], v[22:23]
	ds_read_b128 v[0:3], v43 offset:64
	v_add_f64 v[10:11], v[10:11], v[24:25]
	s_waitcnt lgkmcnt(1)
	v_add_f64 v[18:19], v[12:13], v[26:27]
	v_add_f64 v[26:27], v[10:11], v[28:29]
	ds_read_b128 v[10:13], v43 offset:80
	ds_read_b128 v[22:25], v43 offset:96
	s_waitcnt lgkmcnt(2)
	v_add_f64 v[18:19], v[18:19], v[0:1]
	v_add_f64 v[26:27], v[26:27], v[2:3]
	ds_read_b128 v[0:3], v43 offset:112
	s_waitcnt lgkmcnt(2)
	v_add_f64 v[10:11], v[18:19], v[10:11]
	v_add_f64 v[12:13], v[26:27], v[12:13]
	s_waitcnt lgkmcnt(1)
	v_add_f64 v[10:11], v[10:11], v[22:23]
	v_add_f64 v[12:13], v[12:13], v[24:25]
	;; [unrolled: 3-line block ×3, first 2 shown]
.LBB122_42:
	s_or_b64 exec, exec, s[14:15]
	s_lshl_b64 s[14:15], s[16:17], 9
	v_lshl_add_u64 v[12:13], v[8:9], 0, s[14:15]
	s_mov_b64 s[14:15], 0x200
	v_lshl_add_u64 v[10:11], v[12:13], 0, s[14:15]
	v_mad_u32_u24 v16, v14, s21, v15
	s_and_b64 vcc, exec, s[26:27]
	s_barrier
	s_cbranch_vccz .LBB122_60
; %bb.43:
	v_sub_co_u32_e32 v8, vcc, v12, v4
	s_ashr_i32 s21, s20, 31
	s_nop 0
	v_subbrev_co_u32_e32 v9, vcc, 0, v13, vcc
	v_or_b32_e32 v5, 32, v6
	v_lshl_add_u64 v[8:9], s[20:21], 4, v[8:9]
	v_lshl_add_u64 v[8:9], v[8:9], 0, -16
	v_cmp_gt_i32_e32 vcc, s20, v5
	s_sub_i32 s33, s20, 32
	v_cmp_le_i32_e64 s[14:15], s33, v14
	v_cndmask_b32_e32 v9, v9, v11, vcc
	v_cndmask_b32_e32 v8, v8, v10, vcc
	s_and_saveexec_b64 s[36:37], s[14:15]
	s_xor_b64 s[14:15], exec, s[36:37]
; %bb.44:
	v_mov_b32_e32 v22, 0
	v_mov_b32_e32 v23, v22
	;; [unrolled: 1-line block ×4, first 2 shown]
	ds_write_b128 v16, v[22:25]
; %bb.45:
	s_andn2_saveexec_b64 s[14:15], s[14:15]
	s_cbranch_execz .LBB122_47
; %bb.46:
	global_load_dwordx4 v[22:25], v[8:9], off
	s_waitcnt vmcnt(0)
	ds_write2_b64 v16, v[22:23], v[24:25] offset1:1
.LBB122_47:
	s_or_b64 exec, exec, s[14:15]
	v_add_u32_e32 v5, 8, v14
	v_cmp_le_i32_e64 s[14:15], s33, v5
	s_and_saveexec_b64 s[36:37], s[14:15]
	s_xor_b64 s[14:15], exec, s[36:37]
	s_cbranch_execz .LBB122_49
; %bb.48:
	s_movk_i32 s36, 0x210
	v_mov_b32_e32 v22, 0
	v_mad_u32_u24 v5, v5, s36, v15
	v_mov_b32_e32 v23, v22
	v_mov_b32_e32 v24, v22
	;; [unrolled: 1-line block ×3, first 2 shown]
	ds_write_b128 v5, v[22:25]
                                        ; implicit-def: $vgpr5
.LBB122_49:
	s_andn2_saveexec_b64 s[14:15], s[14:15]
	s_cbranch_execz .LBB122_51
; %bb.50:
	s_lshl_b64 s[36:37], s[16:17], 7
	v_lshl_add_u64 v[18:19], v[8:9], 0, s[36:37]
	global_load_dwordx4 v[22:25], v[18:19], off
	s_movk_i32 s36, 0x210
	v_mad_u32_u24 v5, v5, s36, v15
	s_waitcnt vmcnt(0)
	ds_write2_b64 v5, v[22:23], v[24:25] offset1:1
.LBB122_51:
	s_or_b64 exec, exec, s[14:15]
	v_add_u32_e32 v5, 16, v14
	v_cmp_le_i32_e64 s[14:15], s33, v5
	s_and_saveexec_b64 s[36:37], s[14:15]
	s_xor_b64 s[14:15], exec, s[36:37]
	s_cbranch_execz .LBB122_53
; %bb.52:
	s_movk_i32 s36, 0x210
	v_mov_b32_e32 v22, 0
	v_mad_u32_u24 v5, v5, s36, v15
	v_mov_b32_e32 v23, v22
	v_mov_b32_e32 v24, v22
	;; [unrolled: 1-line block ×3, first 2 shown]
	ds_write_b128 v5, v[22:25]
                                        ; implicit-def: $vgpr5
.LBB122_53:
	s_andn2_saveexec_b64 s[14:15], s[14:15]
	s_cbranch_execz .LBB122_55
; %bb.54:
	s_lshl_b64 s[36:37], s[16:17], 8
	v_lshl_add_u64 v[18:19], v[8:9], 0, s[36:37]
	global_load_dwordx4 v[22:25], v[18:19], off
	s_movk_i32 s36, 0x210
	v_mad_u32_u24 v5, v5, s36, v15
	s_waitcnt vmcnt(0)
	ds_write2_b64 v5, v[22:23], v[24:25] offset1:1
.LBB122_55:
	s_or_b64 exec, exec, s[14:15]
	v_add_u32_e32 v5, 24, v14
	v_cmp_le_i32_e64 s[14:15], s33, v5
	s_and_saveexec_b64 s[36:37], s[14:15]
	s_xor_b64 s[14:15], exec, s[36:37]
	s_cbranch_execz .LBB122_57
; %bb.56:
	s_movk_i32 s33, 0x210
	v_mov_b32_e32 v22, 0
	v_mad_u32_u24 v5, v5, s33, v15
	v_mov_b32_e32 v23, v22
	v_mov_b32_e32 v24, v22
	;; [unrolled: 1-line block ×3, first 2 shown]
	ds_write_b128 v5, v[22:25]
                                        ; implicit-def: $vgpr5
.LBB122_57:
	s_andn2_saveexec_b64 s[14:15], s[14:15]
	s_cbranch_execz .LBB122_59
; %bb.58:
	v_mov_b32_e32 v18, 0x180
	v_mad_u64_u32 v[18:19], s[36:37], s16, v18, v[8:9]
	s_mul_i32 s33, s17, 0x180
	v_add_u32_e32 v19, s33, v19
	global_load_dwordx4 v[22:25], v[18:19], off
	s_movk_i32 s33, 0x210
	v_mad_u32_u24 v5, v5, s33, v15
	s_waitcnt vmcnt(0)
	ds_write2_b64 v5, v[22:23], v[24:25] offset1:1
.LBB122_59:
	s_or_b64 exec, exec, s[14:15]
	v_mov_b32_e32 v5, 0
	v_lshl_add_u64 v[8:9], v[8:9], 0, v[4:5]
	s_lshl_b64 s[14:15], s[20:21], 4
	v_mov_b32_e32 v5, s15
	v_subrev_co_u32_e64 v8, s[14:15], s14, v8
	s_nop 1
	v_subb_co_u32_e64 v9, s[14:15], v9, v5, s[14:15]
	s_mov_b64 s[14:15], 0x210
	s_nop 0
	v_lshl_add_u64 v[8:9], v[8:9], 0, s[14:15]
	v_cndmask_b32_e32 v9, v9, v11, vcc
	v_cndmask_b32_e32 v8, v8, v10, vcc
	s_branch .LBB122_62
.LBB122_60:
                                        ; implicit-def: $vgpr8_vgpr9
	s_cbranch_execz .LBB122_62
; %bb.61:
	s_lshl_b64 s[14:15], s[16:17], 7
	v_lshl_add_u64 v[8:9], v[12:13], 0, s[14:15]
	global_load_dwordx4 v[22:25], v[10:11], off
	global_load_dwordx4 v[26:29], v[8:9], off offset:512
	v_lshl_add_u64 v[8:9], v[8:9], 0, s[14:15]
	v_lshl_add_u64 v[12:13], v[8:9], 0, s[14:15]
	global_load_dwordx4 v[30:33], v[8:9], off offset:512
	global_load_dwordx4 v[46:49], v[12:13], off offset:512
	v_add_u32_e32 v8, 0x2100, v16
	v_add_u32_e32 v9, 0x3180, v16
	v_add_u32_e32 v5, 0x1080, v16
	s_waitcnt vmcnt(3)
	ds_write2_b64 v16, v[22:23], v[24:25] offset1:1
	s_waitcnt vmcnt(2)
	ds_write2_b64 v5, v[26:27], v[28:29] offset1:1
	;; [unrolled: 2-line block ×4, first 2 shown]
	v_mov_b64_e32 v[8:9], v[10:11]
.LBB122_62:
	v_lshl_add_u32 v5, v7, 4, v43
	s_waitcnt lgkmcnt(0)
	s_barrier
	s_and_saveexec_b64 s[14:15], s[4:5]
	s_cbranch_execnz .LBB122_87
; %bb.63:
	s_or_b64 exec, exec, s[14:15]
	s_and_saveexec_b64 s[4:5], s[6:7]
	s_cbranch_execnz .LBB122_88
.LBB122_64:
	s_or_b64 exec, exec, s[4:5]
	v_add_u32_e32 v12, 0x210, v21
	s_and_saveexec_b64 s[4:5], s[8:9]
	s_cbranch_execnz .LBB122_89
.LBB122_65:
	s_or_b64 exec, exec, s[4:5]
	v_add_u32_e32 v13, 0x4700, v17
	s_and_saveexec_b64 s[4:5], s[10:11]
	s_cbranch_execz .LBB122_67
.LBB122_66:
	ds_read_b128 v[22:25], v45
	s_waitcnt lgkmcnt(0)
	ds_write_b128 v5, v[22:25] offset:48
.LBB122_67:
	s_or_b64 exec, exec, s[4:5]
	s_waitcnt lgkmcnt(0)
	s_barrier
	ds_read_b128 v[22:25], v13 offset:512
	ds_read_b128 v[26:29], v20
	ds_read_b128 v[30:33], v13 offset:528
	ds_read_b128 v[46:49], v13 offset:544
	;; [unrolled: 1-line block ×3, first 2 shown]
	ds_read_b128 v[54:57], v21
	v_cmp_eq_u32_e64 s[4:5], 1, v14
	s_waitcnt lgkmcnt(4)
	v_mul_f64 v[10:11], v[24:25], v[28:29]
	v_fma_f64 v[10:11], v[22:23], v[26:27], -v[10:11]
	v_mul_f64 v[18:19], v[22:23], v[28:29]
	s_waitcnt lgkmcnt(0)
	v_mul_f64 v[22:23], v[32:33], v[56:57]
	v_fmac_f64_e32 v[18:19], v[24:25], v[26:27]
	v_fma_f64 v[26:27], v[30:31], v[54:55], -v[22:23]
	v_mul_f64 v[28:29], v[30:31], v[56:57]
	ds_read_b128 v[22:25], v12
	v_add_f64 v[10:11], v[10:11], 0
	v_add_f64 v[18:19], v[18:19], 0
	v_fmac_f64_e32 v[28:29], v[32:33], v[54:55]
	v_add_f64 v[10:11], v[10:11], v[26:27]
	v_add_f64 v[18:19], v[18:19], v[28:29]
	ds_read_b128 v[26:29], v45
	s_waitcnt lgkmcnt(1)
	v_mul_f64 v[30:31], v[48:49], v[24:25]
	v_mul_f64 v[24:25], v[46:47], v[24:25]
	v_fmac_f64_e32 v[24:25], v[48:49], v[22:23]
	v_fma_f64 v[30:31], v[46:47], v[22:23], -v[30:31]
	v_add_f64 v[18:19], v[18:19], v[24:25]
	s_waitcnt lgkmcnt(0)
	v_mul_f64 v[22:23], v[52:53], v[28:29]
	v_mul_f64 v[24:25], v[50:51], v[28:29]
	v_add_f64 v[10:11], v[10:11], v[30:31]
	v_fma_f64 v[22:23], v[50:51], v[26:27], -v[22:23]
	v_fmac_f64_e32 v[24:25], v[52:53], v[26:27]
	v_add_f64 v[22:23], v[10:11], v[22:23]
	v_add_f64 v[24:25], v[18:19], v[24:25]
	s_barrier
	ds_write_b128 v44, v[22:25]
	s_waitcnt lgkmcnt(0)
	s_barrier
	s_and_saveexec_b64 s[6:7], s[4:5]
	s_cbranch_execz .LBB122_69
; %bb.68:
	ds_read_b128 v[0:3], v43
	ds_read_b128 v[22:25], v43 offset:16
	ds_read_b128 v[26:29], v43 offset:32
	;; [unrolled: 1-line block ×3, first 2 shown]
	s_waitcnt lgkmcnt(2)
	v_add_f64 v[0:1], v[22:23], v[0:1]
	v_add_f64 v[10:11], v[24:25], v[2:3]
	s_waitcnt lgkmcnt(1)
	v_add_f64 v[18:19], v[0:1], v[26:27]
	ds_read_b128 v[0:3], v43 offset:64
	ds_read_b128 v[22:25], v43 offset:80
	v_add_f64 v[10:11], v[10:11], v[28:29]
	s_waitcnt lgkmcnt(2)
	v_add_f64 v[18:19], v[18:19], v[30:31]
	v_add_f64 v[10:11], v[10:11], v[32:33]
	ds_read_b128 v[26:29], v43 offset:96
	s_waitcnt lgkmcnt(2)
	v_add_f64 v[18:19], v[18:19], v[0:1]
	v_add_f64 v[10:11], v[10:11], v[2:3]
	ds_read_b128 v[0:3], v43 offset:112
	s_waitcnt lgkmcnt(2)
	v_add_f64 v[18:19], v[18:19], v[22:23]
	v_add_f64 v[10:11], v[10:11], v[24:25]
	s_waitcnt lgkmcnt(1)
	v_add_f64 v[18:19], v[18:19], v[26:27]
	v_add_f64 v[10:11], v[10:11], v[28:29]
	;; [unrolled: 3-line block ×3, first 2 shown]
.LBB122_69:
	s_or_b64 exec, exec, s[6:7]
	s_movk_i32 s6, 0xfe00
	s_mov_b32 s7, -1
	v_lshl_add_u64 v[10:11], v[8:9], 0, s[6:7]
	s_and_b64 vcc, exec, s[26:27]
	s_barrier
	s_cbranch_vccz .LBB122_90
; %bb.70:
	v_sub_co_u32_e32 v18, vcc, v8, v4
	s_ashr_i32 s21, s20, 31
	s_nop 0
	v_subbrev_co_u32_e32 v19, vcc, 0, v9, vcc
	s_movk_i32 s6, 0xfdf0
	v_lshl_add_u64 v[18:19], s[20:21], 4, v[18:19]
	s_mov_b32 s7, -1
	v_lshl_add_u64 v[18:19], v[18:19], 0, s[6:7]
	v_cmp_gt_i32_e32 vcc, s20, v6
	s_sub_i32 s8, s20, 32
	v_cmp_le_i32_e64 s[6:7], s8, v14
	v_cndmask_b32_e32 v7, v19, v11, vcc
	v_cndmask_b32_e32 v6, v18, v10, vcc
	s_and_saveexec_b64 s[10:11], s[6:7]
	s_xor_b64 s[6:7], exec, s[10:11]
; %bb.71:
	v_mov_b32_e32 v22, 0
	v_mov_b32_e32 v23, v22
	;; [unrolled: 1-line block ×4, first 2 shown]
	ds_write_b128 v16, v[22:25]
; %bb.72:
	s_andn2_saveexec_b64 s[6:7], s[6:7]
	s_cbranch_execz .LBB122_74
; %bb.73:
	global_load_dwordx4 v[22:25], v[6:7], off
	s_waitcnt vmcnt(0)
	ds_write2_b64 v16, v[22:23], v[24:25] offset1:1
.LBB122_74:
	s_or_b64 exec, exec, s[6:7]
	v_add_u32_e32 v17, 8, v14
	v_cmp_le_i32_e64 s[6:7], s8, v17
	s_and_saveexec_b64 s[10:11], s[6:7]
	s_xor_b64 s[6:7], exec, s[10:11]
	s_cbranch_execz .LBB122_76
; %bb.75:
	s_movk_i32 s9, 0x210
	v_mov_b32_e32 v22, 0
	v_mad_u32_u24 v5, v17, s9, v15
	v_mov_b32_e32 v23, v22
	v_mov_b32_e32 v24, v22
	;; [unrolled: 1-line block ×3, first 2 shown]
	ds_write_b128 v5, v[22:25]
.LBB122_76:
	s_andn2_saveexec_b64 s[6:7], s[6:7]
	s_cbranch_execz .LBB122_78
; %bb.77:
	s_lshl_b64 s[10:11], s[16:17], 7
	v_lshl_add_u64 v[18:19], v[6:7], 0, s[10:11]
	global_load_dwordx4 v[22:25], v[18:19], off
	s_movk_i32 s9, 0x210
	v_mad_u32_u24 v5, v17, s9, v15
	s_waitcnt vmcnt(0)
	ds_write2_b64 v5, v[22:23], v[24:25] offset1:1
.LBB122_78:
	s_or_b64 exec, exec, s[6:7]
	v_add_u32_e32 v18, 16, v14
	v_cmp_le_i32_e64 s[6:7], s8, v18
	s_and_saveexec_b64 s[10:11], s[6:7]
	s_xor_b64 s[6:7], exec, s[10:11]
	s_cbranch_execz .LBB122_80
; %bb.79:
	s_movk_i32 s9, 0x210
	v_mov_b32_e32 v22, 0
	v_mad_u32_u24 v5, v18, s9, v15
	v_mov_b32_e32 v23, v22
	v_mov_b32_e32 v24, v22
	;; [unrolled: 1-line block ×3, first 2 shown]
	ds_write_b128 v5, v[22:25]
.LBB122_80:
	s_andn2_saveexec_b64 s[6:7], s[6:7]
	s_cbranch_execz .LBB122_82
; %bb.81:
	s_lshl_b64 s[10:11], s[16:17], 8
	v_lshl_add_u64 v[22:23], v[6:7], 0, s[10:11]
	global_load_dwordx4 v[22:25], v[22:23], off
	s_movk_i32 s9, 0x210
	v_mad_u32_u24 v5, v18, s9, v15
	s_waitcnt vmcnt(0)
	ds_write2_b64 v5, v[22:23], v[24:25] offset1:1
.LBB122_82:
	s_or_b64 exec, exec, s[6:7]
	v_add_u32_e32 v19, 24, v14
	v_cmp_le_i32_e64 s[6:7], s8, v19
	s_and_saveexec_b64 s[8:9], s[6:7]
	s_xor_b64 s[6:7], exec, s[8:9]
	s_cbranch_execz .LBB122_84
; %bb.83:
	s_movk_i32 s8, 0x210
	v_mov_b32_e32 v22, 0
	v_mad_u32_u24 v5, v19, s8, v15
	v_mov_b32_e32 v23, v22
	v_mov_b32_e32 v24, v22
	;; [unrolled: 1-line block ×3, first 2 shown]
	ds_write_b128 v5, v[22:25]
.LBB122_84:
	s_andn2_saveexec_b64 s[6:7], s[6:7]
	s_cbranch_execz .LBB122_86
; %bb.85:
	v_mov_b32_e32 v5, 0x180
	v_mad_u64_u32 v[22:23], s[8:9], s16, v5, v[6:7]
	s_mul_i32 s8, s17, 0x180
	s_nop 0
	v_add_u32_e32 v23, s8, v23
	global_load_dwordx4 v[22:25], v[22:23], off
	s_movk_i32 s8, 0x210
	v_mad_u32_u24 v5, v19, s8, v15
	s_waitcnt vmcnt(0)
	ds_write2_b64 v5, v[22:23], v[24:25] offset1:1
.LBB122_86:
	s_or_b64 exec, exec, s[6:7]
	v_mov_b32_e32 v5, 0
	v_lshl_add_u64 v[4:5], v[6:7], 0, v[4:5]
	s_lshl_b64 s[6:7], s[20:21], 4
	v_mov_b32_e32 v6, s7
	v_subrev_co_u32_e64 v4, s[6:7], s6, v4
	s_nop 1
	v_subb_co_u32_e64 v5, s[6:7], v5, v6, s[6:7]
	v_lshl_add_u64 v[4:5], v[4:5], 0, 16
	v_cndmask_b32_e32 v41, v5, v11, vcc
	v_cndmask_b32_e32 v40, v4, v10, vcc
	s_branch .LBB122_92
.LBB122_87:
	ds_read_b128 v[10:13], v20
	s_waitcnt lgkmcnt(0)
	ds_write_b128 v5, v[10:13]
	s_or_b64 exec, exec, s[14:15]
	s_and_saveexec_b64 s[4:5], s[6:7]
	s_cbranch_execz .LBB122_64
.LBB122_88:
	ds_read_b128 v[10:13], v21
	s_waitcnt lgkmcnt(0)
	ds_write_b128 v5, v[10:13] offset:16
	s_or_b64 exec, exec, s[4:5]
	v_add_u32_e32 v12, 0x210, v21
	s_and_saveexec_b64 s[4:5], s[8:9]
	s_cbranch_execz .LBB122_65
.LBB122_89:
	ds_read_b128 v[22:25], v12
	s_waitcnt lgkmcnt(0)
	ds_write_b128 v5, v[22:25] offset:32
	s_or_b64 exec, exec, s[4:5]
	v_add_u32_e32 v13, 0x4700, v17
	s_and_saveexec_b64 s[4:5], s[10:11]
	s_cbranch_execnz .LBB122_66
	s_branch .LBB122_67
.LBB122_90:
                                        ; implicit-def: $vgpr40_vgpr41
                                        ; implicit-def: $vgpr17
                                        ; implicit-def: $vgpr18
                                        ; implicit-def: $vgpr19
	s_cbranch_execz .LBB122_92
; %bb.91:
	s_lshl_b64 s[6:7], s[16:17], 7
	v_lshl_add_u64 v[8:9], v[8:9], 0, s[6:7]
	global_load_dwordx4 v[4:7], v[10:11], off
	global_load_dwordx4 v[22:25], v[8:9], off offset:-512
	v_lshl_add_u64 v[8:9], v[8:9], 0, s[6:7]
	v_lshl_add_u64 v[18:19], v[8:9], 0, s[6:7]
	global_load_dwordx4 v[26:29], v[8:9], off offset:-512
	global_load_dwordx4 v[30:33], v[18:19], off offset:-512
	v_add_u32_e32 v17, 8, v14
	s_movk_i32 s6, 0x210
	v_add_u32_e32 v18, 16, v14
	v_add_u32_e32 v19, 24, v14
	v_mad_u32_u24 v8, v17, s6, v15
	v_mov_b64_e32 v[40:41], v[10:11]
	v_add_u32_e32 v9, 0x1080, v8
	v_add_u32_e32 v15, 0x2100, v8
	s_waitcnt vmcnt(3)
	ds_write2_b64 v16, v[4:5], v[6:7] offset1:1
	s_waitcnt vmcnt(2)
	ds_write2_b64 v8, v[22:23], v[24:25] offset1:1
	;; [unrolled: 2-line block ×4, first 2 shown]
.LBB122_92:
	v_lshlrev_b32_e32 v8, 4, v14
	v_add_u32_e32 v4, v43, v8
	s_waitcnt lgkmcnt(0)
	s_barrier
	ds_read_b128 v[4:7], v4
	ds_read_b128 v[22:25], v8 offset:18176
	v_lshlrev_b32_e32 v8, 4, v17
	v_add_u32_e32 v9, v43, v8
	ds_read_b128 v[46:49], v9
	ds_read_b128 v[14:17], v8 offset:18176
	s_waitcnt lgkmcnt(2)
	v_mul_f64 v[8:9], v[6:7], v[24:25]
	v_fma_f64 v[8:9], v[4:5], v[22:23], -v[8:9]
	v_mul_f64 v[66:67], v[4:5], v[24:25]
	v_add_f64 v[4:5], v[8:9], 0
	s_waitcnt lgkmcnt(0)
	v_mul_f64 v[8:9], v[48:49], v[16:17]
	v_fma_f64 v[8:9], v[46:47], v[14:15], -v[8:9]
	v_add_f64 v[4:5], v[4:5], v[8:9]
	v_lshlrev_b32_e32 v8, 4, v18
	v_add_u32_e32 v9, v43, v8
	ds_read_b128 v[50:53], v9
	ds_read_b128 v[54:57], v8 offset:18176
	v_lshlrev_b32_e32 v8, 4, v19
	v_add_u32_e32 v9, v43, v8
	ds_read_b128 v[58:61], v9
	ds_read_b128 v[62:65], v8 offset:18176
	v_mul_f64 v[68:69], v[46:47], v[16:17]
	s_waitcnt lgkmcnt(2)
	v_mul_f64 v[8:9], v[52:53], v[56:57]
	v_fma_f64 v[8:9], v[50:51], v[54:55], -v[8:9]
	v_add_f64 v[4:5], v[4:5], v[8:9]
	s_waitcnt lgkmcnt(0)
	v_mul_f64 v[8:9], v[60:61], v[64:65]
	v_fmac_f64_e32 v[66:67], v[6:7], v[22:23]
	v_fma_f64 v[8:9], v[58:59], v[62:63], -v[8:9]
	v_fmac_f64_e32 v[68:69], v[48:49], v[14:15]
	v_add_f64 v[14:15], v[66:67], 0
	v_add_f64 v[46:47], v[4:5], v[8:9]
	ds_read_b128 v[16:19], v13 offset:528
	ds_read_b128 v[8:11], v13 offset:544
	;; [unrolled: 1-line block ×3, first 2 shown]
	ds_read_b128 v[32:35], v20
	ds_read_b128 v[4:7], v13 offset:560
	ds_read_b128 v[24:27], v21
	v_add_f64 v[48:49], v[14:15], v[68:69]
	ds_read_b128 v[20:23], v12
	ds_read_b128 v[12:15], v45
	v_mul_f64 v[50:51], v[50:51], v[56:57]
	v_mul_f64 v[56:57], v[58:59], v[64:65]
	v_fmac_f64_e32 v[50:51], v[52:53], v[54:55]
	v_add_f64 v[48:49], v[48:49], v[50:51]
	v_fmac_f64_e32 v[56:57], v[60:61], v[62:63]
	v_add_f64 v[48:49], v[48:49], v[56:57]
	s_waitcnt lgkmcnt(0)
	s_barrier
	ds_write_b128 v44, v[46:49]
	s_waitcnt lgkmcnt(0)
	s_barrier
	s_and_saveexec_b64 s[6:7], s[4:5]
	s_cbranch_execz .LBB122_94
; %bb.93:
	ds_read_b128 v[46:49], v43
	ds_read_b128 v[50:53], v43 offset:16
	ds_read_b128 v[54:57], v43 offset:32
	;; [unrolled: 1-line block ×3, first 2 shown]
	s_waitcnt lgkmcnt(3)
	v_add_f64 v[0:1], v[0:1], v[46:47]
	v_add_f64 v[2:3], v[2:3], v[48:49]
	s_waitcnt lgkmcnt(2)
	v_add_f64 v[0:1], v[0:1], v[50:51]
	v_add_f64 v[46:47], v[2:3], v[52:53]
	s_waitcnt lgkmcnt(1)
	v_add_f64 v[48:49], v[0:1], v[54:55]
	ds_read_b128 v[0:3], v43 offset:64
	v_add_f64 v[46:47], v[46:47], v[56:57]
	s_waitcnt lgkmcnt(1)
	v_add_f64 v[50:51], v[48:49], v[58:59]
	v_add_f64 v[54:55], v[46:47], v[60:61]
	ds_read_b128 v[46:49], v43 offset:80
	s_waitcnt lgkmcnt(1)
	v_add_f64 v[56:57], v[50:51], v[0:1]
	ds_read_b128 v[50:53], v43 offset:96
	v_add_f64 v[54:55], v[54:55], v[2:3]
	ds_read_b128 v[0:3], v43 offset:112
	s_waitcnt lgkmcnt(2)
	v_add_f64 v[46:47], v[56:57], v[46:47]
	v_add_f64 v[48:49], v[54:55], v[48:49]
	s_waitcnt lgkmcnt(1)
	v_add_f64 v[46:47], v[46:47], v[50:51]
	v_add_f64 v[48:49], v[48:49], v[52:53]
	;; [unrolled: 3-line block ×3, first 2 shown]
.LBB122_94:
	s_or_b64 exec, exec, s[6:7]
	v_mul_f64 v[46:47], v[30:31], v[34:35]
	v_fma_f64 v[46:47], v[28:29], v[32:33], -v[46:47]
	v_mul_f64 v[28:29], v[28:29], v[34:35]
	v_fmac_f64_e32 v[28:29], v[30:31], v[32:33]
	v_mul_f64 v[32:33], v[18:19], v[26:27]
	v_fma_f64 v[32:33], v[16:17], v[24:25], -v[32:33]
	v_mul_f64 v[16:17], v[16:17], v[26:27]
	v_fmac_f64_e32 v[16:17], v[18:19], v[24:25]
	v_mul_f64 v[24:25], v[10:11], v[22:23]
	v_add_f64 v[28:29], v[28:29], 0
	v_fma_f64 v[24:25], v[8:9], v[20:21], -v[24:25]
	v_mul_f64 v[8:9], v[8:9], v[22:23]
	v_add_f64 v[30:31], v[46:47], 0
	v_add_f64 v[16:17], v[28:29], v[16:17]
	v_fmac_f64_e32 v[8:9], v[10:11], v[20:21]
	v_add_f64 v[18:19], v[30:31], v[32:33]
	v_add_f64 v[8:9], v[16:17], v[8:9]
	v_mul_f64 v[16:17], v[6:7], v[14:15]
	v_mul_f64 v[14:15], v[4:5], v[14:15]
	v_add_f64 v[10:11], v[18:19], v[24:25]
	v_fma_f64 v[16:17], v[4:5], v[12:13], -v[16:17]
	v_fmac_f64_e32 v[14:15], v[6:7], v[12:13]
	v_add_f64 v[4:5], v[10:11], v[16:17]
	v_add_f64 v[6:7], v[8:9], v[14:15]
	s_barrier
	ds_write_b128 v44, v[4:7]
	s_waitcnt lgkmcnt(0)
	s_barrier
	s_and_saveexec_b64 s[4:5], s[12:13]
	s_cbranch_execz .LBB122_96
; %bb.95:
	ds_read_b128 v[4:7], v43
	ds_read_b128 v[8:11], v43 offset:16
	ds_read_b128 v[12:15], v43 offset:32
	;; [unrolled: 1-line block ×3, first 2 shown]
	s_waitcnt lgkmcnt(3)
	v_add_f64 v[0:1], v[0:1], v[4:5]
	v_add_f64 v[2:3], v[2:3], v[6:7]
	s_waitcnt lgkmcnt(2)
	v_add_f64 v[0:1], v[0:1], v[8:9]
	v_add_f64 v[4:5], v[2:3], v[10:11]
	s_waitcnt lgkmcnt(1)
	v_add_f64 v[6:7], v[0:1], v[12:13]
	ds_read_b128 v[0:3], v43 offset:64
	v_add_f64 v[4:5], v[4:5], v[14:15]
	s_waitcnt lgkmcnt(1)
	v_add_f64 v[8:9], v[6:7], v[16:17]
	v_add_f64 v[12:13], v[4:5], v[18:19]
	ds_read_b128 v[4:7], v43 offset:80
	s_waitcnt lgkmcnt(1)
	v_add_f64 v[14:15], v[8:9], v[0:1]
	ds_read_b128 v[8:11], v43 offset:96
	v_add_f64 v[12:13], v[12:13], v[2:3]
	ds_read_b128 v[0:3], v43 offset:112
	s_waitcnt lgkmcnt(2)
	v_add_f64 v[4:5], v[14:15], v[4:5]
	v_add_f64 v[6:7], v[12:13], v[6:7]
	s_waitcnt lgkmcnt(1)
	v_add_f64 v[4:5], v[4:5], v[8:9]
	v_add_f64 v[6:7], v[6:7], v[10:11]
	;; [unrolled: 3-line block ×3, first 2 shown]
.LBB122_96:
	s_or_b64 exec, exec, s[4:5]
	s_mul_hi_u32 s4, s30, s3
	s_mul_i32 s31, s31, s3
	s_add_i32 s4, s4, s31
	s_mul_i32 s3, s30, s3
	s_mul_i32 s4, s4, s28
	s_mul_hi_u32 s5, s3, s28
	s_add_i32 s5, s5, s4
	s_mul_i32 s4, s3, s28
	s_lshl_b64 s[4:5], s[4:5], 4
	s_add_u32 s3, s34, s4
	s_addc_u32 s6, s35, s5
	s_mul_hi_i32 s5, s30, s2
	s_mul_i32 s4, s30, s2
	s_lshl_b64 s[4:5], s[4:5], 4
	s_add_u32 s8, s3, s4
	s_addc_u32 s9, s6, s5
	s_add_i32 s3, s2, 1
	s_cmp_ge_u32 s3, s28
	v_lshlrev_b32_e32 v166, 4, v202
	s_barrier
	s_cbranch_scc1 .LBB122_154
; %bb.97:
	s_mul_i32 s3, s24, s23
	s_mul_hi_u32 s4, s24, s22
	s_add_i32 s3, s4, s3
	s_mul_i32 s4, s25, s22
	s_add_i32 s5, s3, s4
	s_mul_i32 s4, s24, s22
	s_lshl_b64 s[4:5], s[4:5], 4
	v_mov_b32_e32 v4, s5
	v_subrev_co_u32_e32 v168, vcc, s4, v36
	s_movk_i32 s4, 0x10c0
	s_nop 0
	v_subb_co_u32_e32 v169, vcc, v37, v4, vcc
	v_lshrrev_b32_e32 v4, 4, v42
	v_lshlrev_b32_e32 v6, 6, v4
	v_mul_i32_i24_e32 v44, 0xffffffd0, v4
	v_and_b32_e32 v4, 48, v202
	v_and_b32_e32 v5, 15, v202
	v_lshlrev_b32_e32 v43, 6, v203
	v_mad_u32_u24 v208, v203, s4, v166
	s_movk_i32 s4, 0x430
	v_lshlrev_b32_e32 v4, 4, v4
	v_mad_u32_u24 v210, v5, s4, v4
	v_or_b32_e32 v4, 0xf0, v166
	v_add_u32_e32 v7, 0x200, v43
	v_mad_u32_u24 v209, v5, s4, v6
	v_mad_u32_u24 v211, v5, s4, v4
	v_mad_u64_u32 v[4:5], s[4:5], s16, v7, 0
	v_mov_b32_e32 v6, v5
	v_lshlrev_b64 v[8:9], 4, v[38:39]
	v_mad_u64_u32 v[6:7], s[4:5], s17, v7, v[6:7]
	v_sub_co_u32_e32 v4, vcc, v4, v8
	v_add_u32_e32 v11, 0x530, v43
	s_nop 0
	v_subb_co_u32_e32 v5, vcc, v6, v9, vcc
	v_mad_u64_u32 v[6:7], s[4:5], s16, v11, 0
	v_mov_b32_e32 v10, v7
	v_mad_u64_u32 v[10:11], s[4:5], s17, v11, v[10:11]
	v_sub_co_u32_e32 v6, vcc, v6, v8
	v_add_u32_e32 v13, 0x220, v43
	s_nop 0
	v_subb_co_u32_e32 v7, vcc, v10, v9, vcc
	v_mad_u64_u32 v[10:11], s[4:5], s16, v13, 0
	v_mov_b32_e32 v12, v11
	;; [unrolled: 7-line block ×14, first 2 shown]
	v_mad_u64_u32 v[36:37], s[4:5], s17, v37, v[36:37]
	v_sub_co_u32_e32 v34, vcc, v34, v8
	v_add_u32_e32 v39, 0x400, v43
	s_nop 0
	v_subb_co_u32_e32 v35, vcc, v36, v9, vcc
	v_mad_u64_u32 v[36:37], s[4:5], s16, v39, 0
	v_or_b32_e32 v4, 8, v4
	v_mov_b32_e32 v38, v37
	v_mad_u64_u32 v[38:39], s[4:5], s17, v39, v[38:39]
	v_lshl_add_u64 v[170:171], v[40:41], 0, v[4:5]
	v_sub_co_u32_e32 v4, vcc, v36, v8
	v_lshlrev_b32_e32 v204, 2, v203
	v_or_b32_e32 v14, 8, v14
	v_or_b32_e32 v18, 8, v18
	;; [unrolled: 1-line block ×6, first 2 shown]
	v_mov_b32_e32 v167, 0
	v_subb_co_u32_e32 v5, vcc, v38, v9, vcc
	v_or_b32_e32 v4, 8, v4
	s_add_i32 s3, s28, -2
	v_add_u32_e32 v205, 0x4300, v166
	v_add_u32_e32 v206, 0x4300, v43
	;; [unrolled: 1-line block ×3, first 2 shown]
	v_cmp_gt_u32_e64 s[6:7], 64, v42
	v_or_b32_e32 v212, 1, v204
	v_or_b32_e32 v213, 2, v204
	v_or_b32_e32 v214, 3, v204
	v_add_u32_e32 v215, 16, v204
	v_add_u32_e32 v216, 17, v204
	;; [unrolled: 1-line block ×12, first 2 shown]
	s_add_i32 s21, s22, 64
	s_lshl_b64 s[10:11], s[16:17], 10
	v_lshl_add_u64 v[172:173], v[40:41], 0, v[6:7]
	v_lshl_add_u64 v[174:175], v[40:41], 0, v[10:11]
	;; [unrolled: 1-line block ×15, first 2 shown]
	v_add_u32_e32 v227, v209, v44
	v_mov_b32_e32 v228, v167
	v_mov_b32_e32 v229, v167
	;; [unrolled: 1-line block ×4, first 2 shown]
	s_cmp_eq_u32 s3, s2
	s_cselect_b32 s22, s29, 0
	s_and_saveexec_b64 s[4:5], s[0:1]
	s_cbranch_execz .LBB122_102
.LBB122_98:
	s_cmp_lg_u32 s22, 0
	s_cselect_b64 s[12:13], -1, 0
	v_cmp_le_i32_e32 vcc, s22, v202
	s_and_b64 s[12:13], s[12:13], vcc
	s_and_saveexec_b64 s[14:15], s[12:13]
	s_xor_b64 s[12:13], exec, s[14:15]
; %bb.99:
	ds_write_b128 v205, v[228:231]
; %bb.100:
	s_andn2_saveexec_b64 s[12:13], s[12:13]
	s_cbranch_execz .LBB122_102
; %bb.101:
	s_ashr_i32 s12, s21, 31
	s_mul_hi_u32 s13, s24, s21
	s_mul_i32 s12, s24, s12
	s_add_i32 s12, s13, s12
	s_mul_i32 s13, s25, s21
	s_add_i32 s13, s12, s13
	s_mul_i32 s12, s24, s21
	v_lshl_add_u64 v[4:5], s[12:13], 4, v[168:169]
	global_load_dwordx4 v[4:7], v[4:5], off
	s_waitcnt vmcnt(0)
	ds_write2_b64 v205, v[4:5], v[6:7] offset1:1
.LBB122_102:                            ; =>This Inner Loop Header: Depth=1
	s_or_b64 exec, exec, s[4:5]
	s_cmp_eq_u32 s22, 0
	s_cselect_b64 s[12:13], -1, 0
	s_cmp_lg_u32 s22, 0
	s_cselect_b64 s[14:15], -1, 0
	v_lshl_add_u64 v[16:17], v[170:171], 0, v[166:167]
	s_and_b64 vcc, exec, s[14:15]
	s_waitcnt lgkmcnt(0)
	s_barrier
	s_cbranch_vccz .LBB122_110
; %bb.103:                              ;   in Loop: Header=BB122_102 Depth=1
	v_cmp_gt_i32_e32 vcc, s22, v204
	v_mov_b64_e32 v[8:9], 0
	v_mov_b64_e32 v[4:5], 0
	v_mov_b64_e32 v[6:7], 0
	s_and_saveexec_b64 s[4:5], vcc
	s_cbranch_execz .LBB122_105
; %bb.104:                              ;   in Loop: Header=BB122_102 Depth=1
	global_load_dwordx4 v[4:7], v[16:17], off offset:-8
.LBB122_105:                            ;   in Loop: Header=BB122_102 Depth=1
	s_or_b64 exec, exec, s[4:5]
	v_cmp_gt_i32_e32 vcc, s22, v212
	v_mov_b64_e32 v[10:11], 0
	s_and_saveexec_b64 s[4:5], vcc
	s_cbranch_execz .LBB122_107
; %bb.106:                              ;   in Loop: Header=BB122_102 Depth=1
	v_lshl_add_u64 v[8:9], v[178:179], 0, v[166:167]
	global_load_dwordx4 v[8:11], v[8:9], off offset:-8
.LBB122_107:                            ;   in Loop: Header=BB122_102 Depth=1
	s_or_b64 exec, exec, s[4:5]
	v_cmp_gt_i32_e32 vcc, s22, v213
	v_mov_b64_e32 v[12:13], 0
	v_mov_b64_e32 v[14:15], 0
	s_and_saveexec_b64 s[4:5], vcc
	s_cbranch_execz .LBB122_109
; %bb.108:                              ;   in Loop: Header=BB122_102 Depth=1
	v_lshl_add_u64 v[12:13], v[174:175], 0, v[166:167]
	global_load_dwordx4 v[12:15], v[12:13], off
.LBB122_109:                            ;   in Loop: Header=BB122_102 Depth=1
	s_or_b64 exec, exec, s[4:5]
	v_cmp_gt_i32_e64 s[4:5], s22, v214
	s_branch .LBB122_112
.LBB122_110:                            ;   in Loop: Header=BB122_102 Depth=1
	s_mov_b64 s[4:5], 0
                                        ; implicit-def: $vgpr14_vgpr15
                                        ; implicit-def: $vgpr10_vgpr11
                                        ; implicit-def: $vgpr6_vgpr7
	s_cbranch_execz .LBB122_112
; %bb.111:                              ;   in Loop: Header=BB122_102 Depth=1
	s_waitcnt vmcnt(0)
	v_lshl_add_u64 v[8:9], v[178:179], 0, v[166:167]
	v_lshl_add_u64 v[12:13], v[174:175], 0, v[166:167]
	global_load_dwordx4 v[4:7], v[16:17], off offset:-8
	s_or_b64 s[4:5], s[4:5], exec
	global_load_dwordx4 v[8:11], v[8:9], off offset:-8
	s_nop 0
	global_load_dwordx4 v[12:15], v[12:13], off
.LBB122_112:                            ;   in Loop: Header=BB122_102 Depth=1
	v_mov_b64_e32 v[16:17], 0
	v_mov_b64_e32 v[18:19], 0
	s_and_saveexec_b64 s[16:17], s[4:5]
	s_cbranch_execz .LBB122_114
; %bb.113:                              ;   in Loop: Header=BB122_102 Depth=1
	v_lshl_add_u64 v[16:17], v[182:183], 0, v[166:167]
	global_load_dwordx4 v[16:19], v[16:17], off offset:-8
.LBB122_114:                            ;   in Loop: Header=BB122_102 Depth=1
	s_or_b64 exec, exec, s[16:17]
	ds_read_b128 v[36:39], v207
	ds_read_b128 v[32:35], v206
	ds_read_b128 v[28:31], v206 offset:16
	ds_read_b128 v[24:27], v206 offset:32
	;; [unrolled: 1-line block ×3, first 2 shown]
	s_waitcnt vmcnt(0) lgkmcnt(4)
	v_mul_f64 v[40:41], v[6:7], v[38:39]
	v_mul_f64 v[42:43], v[4:5], v[38:39]
	v_fma_f64 v[40:41], v[4:5], v[36:37], -v[40:41]
	v_fmac_f64_e32 v[42:43], v[6:7], v[36:37]
	ds_write_b128 v208, v[40:43]
	v_mul_f64 v[40:41], v[10:11], v[38:39]
	v_mul_f64 v[42:43], v[8:9], v[38:39]
	v_fma_f64 v[40:41], v[8:9], v[36:37], -v[40:41]
	v_fmac_f64_e32 v[42:43], v[10:11], v[36:37]
	ds_write_b128 v208, v[40:43] offset:1072
	v_mul_f64 v[40:41], v[14:15], v[38:39]
	v_mul_f64 v[42:43], v[12:13], v[38:39]
	v_fma_f64 v[40:41], v[12:13], v[36:37], -v[40:41]
	v_fmac_f64_e32 v[42:43], v[14:15], v[36:37]
	ds_write_b128 v208, v[40:43] offset:2144
	;; [unrolled: 5-line block ×3, first 2 shown]
	s_waitcnt lgkmcnt(0)
	s_barrier
	ds_read_b128 v[92:95], v209
	ds_read_b128 v[88:91], v209 offset:16
	ds_read_b128 v[84:87], v209 offset:32
	;; [unrolled: 1-line block ×3, first 2 shown]
	v_cndmask_b32_e64 v36, 0, 1, s[14:15]
	v_cmp_ne_u32_e64 s[4:5], 1, v36
	s_andn2_b64 vcc, exec, s[14:15]
	v_lshl_add_u64 v[48:49], v[186:187], 0, v[166:167]
	s_waitcnt lgkmcnt(0)
	s_barrier
	s_cbranch_vccnz .LBB122_122
; %bb.115:                              ;   in Loop: Header=BB122_102 Depth=1
	v_cmp_gt_i32_e32 vcc, s22, v215
	v_mov_b64_e32 v[40:41], 0
	v_mov_b64_e32 v[36:37], 0
	;; [unrolled: 1-line block ×3, first 2 shown]
	s_and_saveexec_b64 s[14:15], vcc
	s_cbranch_execz .LBB122_117
; %bb.116:                              ;   in Loop: Header=BB122_102 Depth=1
	global_load_dwordx4 v[36:39], v[48:49], off offset:-8
.LBB122_117:                            ;   in Loop: Header=BB122_102 Depth=1
	s_or_b64 exec, exec, s[14:15]
	v_cmp_gt_i32_e32 vcc, s22, v216
	v_mov_b64_e32 v[42:43], 0
	s_and_saveexec_b64 s[14:15], vcc
	s_cbranch_execz .LBB122_119
; %bb.118:                              ;   in Loop: Header=BB122_102 Depth=1
	v_lshl_add_u64 v[40:41], v[190:191], 0, v[166:167]
	global_load_dwordx4 v[40:43], v[40:41], off offset:-8
.LBB122_119:                            ;   in Loop: Header=BB122_102 Depth=1
	s_or_b64 exec, exec, s[14:15]
	v_cmp_gt_i32_e32 vcc, s22, v217
	v_mov_b64_e32 v[44:45], 0
	v_mov_b64_e32 v[46:47], 0
	s_and_saveexec_b64 s[14:15], vcc
	s_cbranch_execz .LBB122_121
; %bb.120:                              ;   in Loop: Header=BB122_102 Depth=1
	v_lshl_add_u64 v[44:45], v[194:195], 0, v[166:167]
	global_load_dwordx4 v[44:47], v[44:45], off offset:-8
.LBB122_121:                            ;   in Loop: Header=BB122_102 Depth=1
	s_or_b64 exec, exec, s[14:15]
	v_cmp_gt_i32_e64 s[14:15], s22, v218
	s_branch .LBB122_124
.LBB122_122:                            ;   in Loop: Header=BB122_102 Depth=1
	s_mov_b64 s[14:15], 0
                                        ; implicit-def: $vgpr46_vgpr47
                                        ; implicit-def: $vgpr42_vgpr43
                                        ; implicit-def: $vgpr38_vgpr39
	s_cbranch_execz .LBB122_124
; %bb.123:                              ;   in Loop: Header=BB122_102 Depth=1
	s_waitcnt vmcnt(0)
	v_lshl_add_u64 v[40:41], v[190:191], 0, v[166:167]
	v_lshl_add_u64 v[44:45], v[194:195], 0, v[166:167]
	global_load_dwordx4 v[36:39], v[48:49], off offset:-8
	s_or_b64 s[14:15], s[14:15], exec
	global_load_dwordx4 v[40:43], v[40:41], off offset:-8
	s_nop 0
	global_load_dwordx4 v[44:47], v[44:45], off offset:-8
.LBB122_124:                            ;   in Loop: Header=BB122_102 Depth=1
	v_mov_b64_e32 v[48:49], 0
	v_mov_b64_e32 v[50:51], 0
	s_and_saveexec_b64 s[16:17], s[14:15]
	s_cbranch_execz .LBB122_126
; %bb.125:                              ;   in Loop: Header=BB122_102 Depth=1
	v_lshl_add_u64 v[48:49], v[198:199], 0, v[166:167]
	global_load_dwordx4 v[48:51], v[48:49], off offset:-8
.LBB122_126:                            ;   in Loop: Header=BB122_102 Depth=1
	s_or_b64 exec, exec, s[16:17]
	ds_read_b128 v[68:71], v207
	ds_read_b128 v[64:67], v206 offset:256
	ds_read_b128 v[60:63], v206 offset:272
	ds_read_b128 v[56:59], v206 offset:288
	ds_read_b128 v[52:55], v206 offset:304
	s_waitcnt vmcnt(0) lgkmcnt(4)
	v_mul_f64 v[72:73], v[38:39], v[70:71]
	v_mul_f64 v[74:75], v[36:37], v[70:71]
	v_fma_f64 v[72:73], v[36:37], v[68:69], -v[72:73]
	v_fmac_f64_e32 v[74:75], v[38:39], v[68:69]
	ds_write_b128 v208, v[72:75]
	v_mul_f64 v[72:73], v[42:43], v[70:71]
	v_mul_f64 v[74:75], v[40:41], v[70:71]
	v_fma_f64 v[72:73], v[40:41], v[68:69], -v[72:73]
	v_fmac_f64_e32 v[74:75], v[42:43], v[68:69]
	ds_write_b128 v208, v[72:75] offset:1072
	v_mul_f64 v[72:73], v[46:47], v[70:71]
	v_mul_f64 v[74:75], v[44:45], v[70:71]
	v_fma_f64 v[72:73], v[44:45], v[68:69], -v[72:73]
	v_fmac_f64_e32 v[74:75], v[46:47], v[68:69]
	ds_write_b128 v208, v[72:75] offset:2144
	;; [unrolled: 5-line block ×3, first 2 shown]
	s_waitcnt lgkmcnt(0)
	s_barrier
	ds_read_b128 v[144:147], v209
	ds_read_b128 v[140:143], v209 offset:16
	ds_read_b128 v[136:139], v209 offset:32
	;; [unrolled: 1-line block ×3, first 2 shown]
	s_and_b64 vcc, exec, s[4:5]
	v_lshl_add_u64 v[96:97], v[200:201], 0, v[166:167]
	s_waitcnt lgkmcnt(0)
	s_barrier
	s_cbranch_vccnz .LBB122_134
; %bb.127:                              ;   in Loop: Header=BB122_102 Depth=1
	v_cmp_gt_i32_e32 vcc, s22, v219
	v_mov_b64_e32 v[72:73], 0
	v_mov_b64_e32 v[68:69], 0
	;; [unrolled: 1-line block ×3, first 2 shown]
	s_and_saveexec_b64 s[14:15], vcc
	s_cbranch_execz .LBB122_129
; %bb.128:                              ;   in Loop: Header=BB122_102 Depth=1
	global_load_dwordx4 v[68:71], v[96:97], off offset:-8
.LBB122_129:                            ;   in Loop: Header=BB122_102 Depth=1
	s_or_b64 exec, exec, s[14:15]
	v_cmp_gt_i32_e32 vcc, s22, v220
	v_mov_b64_e32 v[74:75], 0
	s_and_saveexec_b64 s[14:15], vcc
	s_cbranch_execz .LBB122_131
; %bb.130:                              ;   in Loop: Header=BB122_102 Depth=1
	v_lshl_add_u64 v[72:73], v[196:197], 0, v[166:167]
	global_load_dwordx4 v[72:75], v[72:73], off
.LBB122_131:                            ;   in Loop: Header=BB122_102 Depth=1
	s_or_b64 exec, exec, s[14:15]
	v_cmp_gt_i32_e32 vcc, s22, v221
	v_mov_b64_e32 v[76:77], 0
	v_mov_b64_e32 v[78:79], 0
	s_and_saveexec_b64 s[14:15], vcc
	s_cbranch_execz .LBB122_133
; %bb.132:                              ;   in Loop: Header=BB122_102 Depth=1
	v_lshl_add_u64 v[76:77], v[192:193], 0, v[166:167]
	global_load_dwordx4 v[76:79], v[76:77], off
.LBB122_133:                            ;   in Loop: Header=BB122_102 Depth=1
	s_or_b64 exec, exec, s[14:15]
	v_cmp_gt_i32_e64 s[14:15], s22, v222
	s_branch .LBB122_136
.LBB122_134:                            ;   in Loop: Header=BB122_102 Depth=1
	s_mov_b64 s[14:15], 0
                                        ; implicit-def: $vgpr78_vgpr79
                                        ; implicit-def: $vgpr74_vgpr75
                                        ; implicit-def: $vgpr70_vgpr71
	s_cbranch_execz .LBB122_136
; %bb.135:                              ;   in Loop: Header=BB122_102 Depth=1
	s_waitcnt vmcnt(0)
	v_lshl_add_u64 v[72:73], v[196:197], 0, v[166:167]
	v_lshl_add_u64 v[76:77], v[192:193], 0, v[166:167]
	global_load_dwordx4 v[68:71], v[96:97], off offset:-8
	s_or_b64 s[14:15], s[14:15], exec
	global_load_dwordx4 v[72:75], v[72:73], off
	s_nop 0
	global_load_dwordx4 v[76:79], v[76:77], off
.LBB122_136:                            ;   in Loop: Header=BB122_102 Depth=1
	v_mov_b64_e32 v[96:97], 0
	v_mov_b64_e32 v[98:99], 0
	s_and_saveexec_b64 s[16:17], s[14:15]
	s_cbranch_execz .LBB122_138
; %bb.137:                              ;   in Loop: Header=BB122_102 Depth=1
	v_lshl_add_u64 v[96:97], v[188:189], 0, v[166:167]
	global_load_dwordx4 v[96:99], v[96:97], off
.LBB122_138:                            ;   in Loop: Header=BB122_102 Depth=1
	s_or_b64 exec, exec, s[16:17]
	ds_read_b128 v[116:119], v207
	ds_read_b128 v[112:115], v206 offset:512
	ds_read_b128 v[108:111], v206 offset:528
	;; [unrolled: 1-line block ×4, first 2 shown]
	s_waitcnt vmcnt(0) lgkmcnt(4)
	v_mul_f64 v[120:121], v[70:71], v[118:119]
	v_mul_f64 v[122:123], v[68:69], v[118:119]
	v_fma_f64 v[120:121], v[68:69], v[116:117], -v[120:121]
	v_fmac_f64_e32 v[122:123], v[70:71], v[116:117]
	ds_write_b128 v208, v[120:123]
	v_mul_f64 v[120:121], v[74:75], v[118:119]
	v_mul_f64 v[122:123], v[72:73], v[118:119]
	v_fma_f64 v[120:121], v[72:73], v[116:117], -v[120:121]
	v_fmac_f64_e32 v[122:123], v[74:75], v[116:117]
	ds_write_b128 v208, v[120:123] offset:1072
	v_mul_f64 v[120:121], v[78:79], v[118:119]
	v_mul_f64 v[122:123], v[76:77], v[118:119]
	v_fma_f64 v[120:121], v[76:77], v[116:117], -v[120:121]
	v_fmac_f64_e32 v[122:123], v[78:79], v[116:117]
	ds_write_b128 v208, v[120:123] offset:2144
	v_mul_f64 v[120:121], v[98:99], v[118:119]
	v_mul_f64 v[122:123], v[96:97], v[118:119]
	v_fma_f64 v[120:121], v[96:97], v[116:117], -v[120:121]
	v_fmac_f64_e32 v[122:123], v[98:99], v[116:117]
	ds_write_b128 v208, v[120:123] offset:3216
	s_waitcnt lgkmcnt(0)
	s_barrier
	ds_read_b128 v[160:163], v209
	ds_read_b128 v[156:159], v209 offset:16
	ds_read_b128 v[152:155], v209 offset:32
	;; [unrolled: 1-line block ×3, first 2 shown]
	s_and_b64 vcc, exec, s[4:5]
	v_lshl_add_u64 v[128:129], v[184:185], 0, v[166:167]
	s_waitcnt lgkmcnt(0)
	s_barrier
	s_cbranch_vccnz .LBB122_146
; %bb.139:                              ;   in Loop: Header=BB122_102 Depth=1
	v_cmp_gt_i32_e32 vcc, s22, v223
	v_mov_b64_e32 v[120:121], 0
	v_mov_b64_e32 v[116:117], 0
	v_mov_b64_e32 v[118:119], 0
	s_and_saveexec_b64 s[4:5], vcc
	s_cbranch_execz .LBB122_141
; %bb.140:                              ;   in Loop: Header=BB122_102 Depth=1
	global_load_dwordx4 v[116:119], v[128:129], off
.LBB122_141:                            ;   in Loop: Header=BB122_102 Depth=1
	s_or_b64 exec, exec, s[4:5]
	v_cmp_gt_i32_e32 vcc, s22, v224
	v_mov_b64_e32 v[122:123], 0
	s_and_saveexec_b64 s[4:5], vcc
	s_cbranch_execz .LBB122_143
; %bb.142:                              ;   in Loop: Header=BB122_102 Depth=1
	v_lshl_add_u64 v[120:121], v[180:181], 0, v[166:167]
	global_load_dwordx4 v[120:123], v[120:121], off
.LBB122_143:                            ;   in Loop: Header=BB122_102 Depth=1
	s_or_b64 exec, exec, s[4:5]
	v_cmp_gt_i32_e32 vcc, s22, v225
	v_mov_b64_e32 v[124:125], 0
	v_mov_b64_e32 v[126:127], 0
	s_and_saveexec_b64 s[4:5], vcc
	s_cbranch_execz .LBB122_145
; %bb.144:                              ;   in Loop: Header=BB122_102 Depth=1
	v_lshl_add_u64 v[124:125], v[176:177], 0, v[166:167]
	global_load_dwordx4 v[124:127], v[124:125], off
.LBB122_145:                            ;   in Loop: Header=BB122_102 Depth=1
	s_or_b64 exec, exec, s[4:5]
	v_cmp_gt_i32_e64 s[4:5], s22, v226
	s_branch .LBB122_148
.LBB122_146:                            ;   in Loop: Header=BB122_102 Depth=1
	s_mov_b64 s[4:5], 0
                                        ; implicit-def: $vgpr126_vgpr127
                                        ; implicit-def: $vgpr122_vgpr123
                                        ; implicit-def: $vgpr118_vgpr119
	s_cbranch_execz .LBB122_148
; %bb.147:                              ;   in Loop: Header=BB122_102 Depth=1
	s_waitcnt vmcnt(0)
	v_lshl_add_u64 v[120:121], v[180:181], 0, v[166:167]
	v_lshl_add_u64 v[124:125], v[176:177], 0, v[166:167]
	global_load_dwordx4 v[116:119], v[128:129], off
	s_or_b64 s[4:5], s[4:5], exec
	global_load_dwordx4 v[120:123], v[120:121], off
	s_nop 0
	global_load_dwordx4 v[124:127], v[124:125], off
.LBB122_148:                            ;   in Loop: Header=BB122_102 Depth=1
	v_mov_b64_e32 v[128:129], 0
	v_mov_b64_e32 v[130:131], 0
	s_and_saveexec_b64 s[14:15], s[4:5]
	s_cbranch_execz .LBB122_150
; %bb.149:                              ;   in Loop: Header=BB122_102 Depth=1
	v_lshl_add_u64 v[128:129], v[172:173], 0, v[166:167]
	global_load_dwordx4 v[128:131], v[128:129], off
.LBB122_150:                            ;   in Loop: Header=BB122_102 Depth=1
	s_or_b64 exec, exec, s[14:15]
	v_add_f64 v[160:161], v[160:161], 0
	v_add_f64 v[144:145], v[144:145], 0
	;; [unrolled: 1-line block ×19, first 2 shown]
	ds_read_b128 v[140:143], v207
	ds_read_b128 v[132:135], v206 offset:768
	ds_read_b128 v[92:95], v206 offset:784
	;; [unrolled: 1-line block ×4, first 2 shown]
	s_waitcnt vmcnt(0) lgkmcnt(4)
	v_mul_f64 v[144:145], v[118:119], v[142:143]
	v_mul_f64 v[146:147], v[116:117], v[142:143]
	v_fma_f64 v[144:145], v[116:117], v[140:141], -v[144:145]
	v_fmac_f64_e32 v[146:147], v[118:119], v[140:141]
	ds_write_b128 v208, v[144:147]
	v_mul_f64 v[144:145], v[122:123], v[142:143]
	v_mul_f64 v[146:147], v[120:121], v[142:143]
	v_fma_f64 v[144:145], v[120:121], v[140:141], -v[144:145]
	v_fmac_f64_e32 v[146:147], v[122:123], v[140:141]
	ds_write_b128 v208, v[144:147] offset:1072
	v_mul_f64 v[144:145], v[126:127], v[142:143]
	v_mul_f64 v[146:147], v[124:125], v[142:143]
	v_fma_f64 v[144:145], v[124:125], v[140:141], -v[144:145]
	v_fmac_f64_e32 v[146:147], v[126:127], v[140:141]
	ds_write_b128 v208, v[144:147] offset:2144
	v_mul_f64 v[144:145], v[130:131], v[142:143]
	v_mul_f64 v[146:147], v[128:129], v[142:143]
	v_fma_f64 v[144:145], v[128:129], v[140:141], -v[144:145]
	v_fmac_f64_e32 v[146:147], v[130:131], v[140:141]
	v_add_f64 v[162:163], v[162:163], 0
	ds_write_b128 v208, v[144:147] offset:3216
	s_waitcnt lgkmcnt(0)
	s_barrier
	ds_read_b128 v[140:143], v209
	v_add_f64 v[158:159], v[162:163], v[158:159]
	v_add_f64 v[154:155], v[158:159], v[154:155]
	;; [unrolled: 1-line block ×4, first 2 shown]
	ds_read_b128 v[144:147], v209 offset:16
	ds_read_b128 v[152:155], v209 offset:32
	;; [unrolled: 1-line block ×3, first 2 shown]
	s_waitcnt lgkmcnt(3)
	v_add_f64 v[140:141], v[140:141], 0
	v_add_f64 v[142:143], v[142:143], 0
	v_cmp_gt_i32_e32 vcc, s22, v202
	s_waitcnt lgkmcnt(2)
	v_add_f64 v[140:141], v[140:141], v[144:145]
	v_add_f64 v[142:143], v[142:143], v[146:147]
	s_or_b64 s[4:5], s[12:13], vcc
	s_waitcnt lgkmcnt(1)
	v_add_f64 v[140:141], v[140:141], v[152:153]
	v_add_f64 v[142:143], v[142:143], v[154:155]
	s_and_b64 s[12:13], s[6:7], s[4:5]
	s_waitcnt lgkmcnt(0)
	v_add_f64 v[140:141], v[140:141], v[156:157]
	v_add_f64 v[142:143], v[142:143], v[158:159]
	s_barrier
	ds_write_b128 v227, v[80:83]
	ds_write_b128 v227, v[136:139] offset:256
	ds_write_b128 v227, v[148:151] offset:512
	;; [unrolled: 1-line block ×3, first 2 shown]
	s_waitcnt lgkmcnt(0)
	s_barrier
	s_and_saveexec_b64 s[4:5], s[12:13]
	s_cbranch_execz .LBB122_152
; %bb.151:                              ;   in Loop: Header=BB122_102 Depth=1
	ds_read_b128 v[80:83], v210
	ds_read_b128 v[136:139], v210 offset:16
	ds_read_b128 v[140:143], v210 offset:32
	;; [unrolled: 1-line block ×3, first 2 shown]
	s_waitcnt lgkmcnt(2)
	v_add_f64 v[80:81], v[136:137], v[80:81]
	v_add_f64 v[136:137], v[138:139], v[82:83]
	s_waitcnt lgkmcnt(1)
	v_add_f64 v[138:139], v[80:81], v[140:141]
	ds_read_b128 v[80:83], v210 offset:64
	v_add_f64 v[140:141], v[136:137], v[142:143]
	s_waitcnt lgkmcnt(1)
	v_add_f64 v[142:143], v[138:139], v[144:145]
	ds_read_b128 v[136:139], v210 offset:80
	;; [unrolled: 4-line block ×9, first 2 shown]
	v_add_f64 v[82:83], v[144:145], v[82:83]
	s_waitcnt lgkmcnt(1)
	v_add_f64 v[136:137], v[80:81], v[136:137]
	v_add_f64 v[144:145], v[82:83], v[138:139]
	ds_read_b128 v[80:83], v210 offset:208
	s_waitcnt lgkmcnt(1)
	v_add_f64 v[146:147], v[136:137], v[140:141]
	ds_read_b128 v[136:139], v210 offset:224
	v_add_f64 v[144:145], v[144:145], v[142:143]
	ds_read_b128 v[140:143], v211
	s_waitcnt lgkmcnt(2)
	v_add_f64 v[80:81], v[146:147], v[80:81]
	v_add_f64 v[82:83], v[144:145], v[82:83]
	s_waitcnt lgkmcnt(1)
	v_add_f64 v[80:81], v[80:81], v[136:137]
	v_add_u32_e32 v136, s21, v202
	v_add_f64 v[82:83], v[82:83], v[138:139]
	v_ashrrev_i32_e32 v137, 31, v136
	s_waitcnt lgkmcnt(0)
	v_add_f64 v[80:81], v[80:81], v[140:141]
	v_add_f64 v[82:83], v[82:83], v[142:143]
	v_lshl_add_u64 v[136:137], v[136:137], 4, s[8:9]
	global_store_dwordx4 v[136:137], v[80:83], off
.LBB122_152:                            ;   in Loop: Header=BB122_102 Depth=1
	s_or_b64 exec, exec, s[4:5]
	s_nop 0
	v_mul_f64 v[80:81], v[6:7], v[34:35]
	v_fma_f64 v[80:81], v[4:5], v[32:33], -v[80:81]
	v_mul_f64 v[4:5], v[4:5], v[34:35]
	v_mul_f64 v[34:35], v[10:11], v[30:31]
	v_add_f64 v[0:1], v[0:1], v[80:81]
	v_fma_f64 v[34:35], v[8:9], v[28:29], -v[34:35]
	v_mul_f64 v[8:9], v[8:9], v[30:31]
	v_mul_f64 v[30:31], v[14:15], v[26:27]
	v_add_f64 v[0:1], v[0:1], v[34:35]
	v_fma_f64 v[30:31], v[12:13], v[24:25], -v[30:31]
	v_mul_f64 v[12:13], v[12:13], v[26:27]
	v_mul_f64 v[26:27], v[18:19], v[22:23]
	v_fmac_f64_e32 v[4:5], v[6:7], v[32:33]
	v_add_f64 v[0:1], v[0:1], v[30:31]
	v_fma_f64 v[26:27], v[16:17], v[20:21], -v[26:27]
	v_add_f64 v[2:3], v[2:3], v[4:5]
	v_mul_f64 v[4:5], v[38:39], v[66:67]
	v_add_f64 v[0:1], v[0:1], v[26:27]
	v_fma_f64 v[4:5], v[36:37], v[64:65], -v[4:5]
	v_add_f64 v[0:1], v[0:1], v[4:5]
	v_mul_f64 v[4:5], v[42:43], v[62:63]
	v_fma_f64 v[4:5], v[40:41], v[60:61], -v[4:5]
	v_add_f64 v[0:1], v[0:1], v[4:5]
	v_mul_f64 v[4:5], v[46:47], v[58:59]
	;; [unrolled: 3-line block ×4, first 2 shown]
	v_fmac_f64_e32 v[8:9], v[10:11], v[28:29]
	v_fma_f64 v[4:5], v[68:69], v[112:113], -v[4:5]
	v_mul_f64 v[16:17], v[16:17], v[22:23]
	v_add_f64 v[2:3], v[2:3], v[8:9]
	v_fmac_f64_e32 v[12:13], v[14:15], v[24:25]
	v_add_f64 v[0:1], v[0:1], v[4:5]
	v_mul_f64 v[4:5], v[74:75], v[110:111]
	v_add_f64 v[2:3], v[2:3], v[12:13]
	v_fmac_f64_e32 v[16:17], v[18:19], v[20:21]
	v_mul_f64 v[6:7], v[36:37], v[66:67]
	v_fma_f64 v[4:5], v[72:73], v[108:109], -v[4:5]
	v_add_f64 v[2:3], v[2:3], v[16:17]
	v_mul_f64 v[8:9], v[40:41], v[62:63]
	v_fmac_f64_e32 v[6:7], v[38:39], v[64:65]
	v_add_f64 v[0:1], v[0:1], v[4:5]
	v_mul_f64 v[4:5], v[78:79], v[106:107]
	v_mul_f64 v[10:11], v[44:45], v[58:59]
	v_add_f64 v[2:3], v[2:3], v[6:7]
	v_fmac_f64_e32 v[8:9], v[42:43], v[60:61]
	v_fma_f64 v[4:5], v[76:77], v[104:105], -v[4:5]
	v_mul_f64 v[12:13], v[48:49], v[54:55]
	v_add_f64 v[2:3], v[2:3], v[8:9]
	v_fmac_f64_e32 v[10:11], v[46:47], v[56:57]
	v_add_f64 v[0:1], v[0:1], v[4:5]
	v_mul_f64 v[4:5], v[98:99], v[102:103]
	v_add_f64 v[2:3], v[2:3], v[10:11]
	v_fmac_f64_e32 v[12:13], v[50:51], v[52:53]
	v_mul_f64 v[6:7], v[68:69], v[114:115]
	v_fma_f64 v[4:5], v[96:97], v[100:101], -v[4:5]
	v_add_f64 v[2:3], v[2:3], v[12:13]
	v_mul_f64 v[8:9], v[72:73], v[110:111]
	v_add_f64 v[0:1], v[0:1], v[4:5]
	v_fmac_f64_e32 v[6:7], v[70:71], v[112:113]
	v_mul_f64 v[4:5], v[118:119], v[134:135]
	v_mul_f64 v[10:11], v[76:77], v[106:107]
	v_add_f64 v[2:3], v[2:3], v[6:7]
	v_fmac_f64_e32 v[8:9], v[74:75], v[108:109]
	v_fma_f64 v[4:5], v[116:117], v[132:133], -v[4:5]
	v_mul_f64 v[12:13], v[96:97], v[102:103]
	v_add_f64 v[2:3], v[2:3], v[8:9]
	v_fmac_f64_e32 v[10:11], v[78:79], v[104:105]
	v_add_f64 v[0:1], v[0:1], v[4:5]
	v_mul_f64 v[4:5], v[122:123], v[94:95]
	v_add_f64 v[2:3], v[2:3], v[10:11]
	v_fmac_f64_e32 v[12:13], v[98:99], v[100:101]
	v_mul_f64 v[6:7], v[116:117], v[134:135]
	v_fma_f64 v[4:5], v[120:121], v[92:93], -v[4:5]
	v_add_f64 v[2:3], v[2:3], v[12:13]
	v_mul_f64 v[8:9], v[120:121], v[94:95]
	v_add_f64 v[0:1], v[0:1], v[4:5]
	v_mul_f64 v[4:5], v[126:127], v[90:91]
	v_fmac_f64_e32 v[6:7], v[118:119], v[132:133]
	v_fma_f64 v[4:5], v[124:125], v[88:89], -v[4:5]
	v_mul_f64 v[10:11], v[124:125], v[90:91]
	v_fmac_f64_e32 v[8:9], v[122:123], v[92:93]
	v_add_f64 v[2:3], v[2:3], v[6:7]
	v_add_f64 v[0:1], v[0:1], v[4:5]
	v_mul_f64 v[4:5], v[130:131], v[86:87]
	v_mul_f64 v[12:13], v[128:129], v[86:87]
	v_fmac_f64_e32 v[10:11], v[126:127], v[88:89]
	v_add_f64 v[2:3], v[2:3], v[8:9]
	v_fma_f64 v[4:5], v[128:129], v[84:85], -v[4:5]
	v_fmac_f64_e32 v[12:13], v[130:131], v[84:85]
	v_add_f64 v[2:3], v[2:3], v[10:11]
	s_add_i32 s4, s2, 1
	s_add_i32 s21, s21, 64
	;; [unrolled: 1-line block ×3, first 2 shown]
	v_add_f64 v[0:1], v[0:1], v[4:5]
	v_add_f64 v[2:3], v[2:3], v[12:13]
	v_lshl_add_u64 v[170:171], v[170:171], 0, s[10:11]
	v_lshl_add_u64 v[172:173], v[172:173], 0, s[10:11]
	;; [unrolled: 1-line block ×15, first 2 shown]
	s_cmp_ge_u32 s2, s28
	v_lshl_add_u64 v[200:201], v[200:201], 0, s[10:11]
	s_barrier
	s_cbranch_scc1 .LBB122_154
; %bb.153:                              ;   in Loop: Header=BB122_102 Depth=1
	s_mov_b32 s2, s4
	s_cmp_eq_u32 s3, s2
	s_cselect_b32 s22, s29, 0
	s_and_saveexec_b64 s[4:5], s[0:1]
	s_cbranch_execnz .LBB122_98
	s_branch .LBB122_102
.LBB122_154:
	s_movk_i32 s2, 0x430
	v_cmp_gt_i32_e32 vcc, s20, v202
	v_mad_u32_u24 v4, v203, s2, v166
	s_or_b64 s[2:3], s[18:19], vcc
	s_and_b64 s[0:1], s[0:1], s[2:3]
	ds_write_b128 v4, v[0:3]
	s_waitcnt lgkmcnt(0)
	s_barrier
	s_and_saveexec_b64 s[2:3], s[0:1]
	s_cbranch_execz .LBB122_156
; %bb.155:
	ds_read_b128 v[0:3], v166 offset:1072
	ds_read_b128 v[4:7], v166
	ds_read_b128 v[8:11], v166 offset:2144
	ds_read_b128 v[12:15], v166 offset:3216
	s_waitcnt lgkmcnt(2)
	v_add_f64 v[0:1], v[0:1], v[4:5]
	v_add_f64 v[2:3], v[2:3], v[6:7]
	s_waitcnt lgkmcnt(1)
	v_add_f64 v[0:1], v[0:1], v[8:9]
	v_add_f64 v[2:3], v[2:3], v[10:11]
	;; [unrolled: 3-line block ×3, first 2 shown]
	v_lshl_add_u64 v[4:5], v[164:165], 4, s[8:9]
	global_store_dwordx4 v[4:5], v[0:3], off
.LBB122_156:
	s_endpgm
	.section	.rodata,"a",@progbits
	.p2align	6, 0x0
	.amdhsa_kernel _ZL26rocblas_hemvn_kernel_upperILb0ELi64ELi4ELi33ELi32ELi16ElPK19rocblas_complex_numIdES3_PS1_EviT6_lT7_lT5_lS6_lS7_lS5_lT8_i
		.amdhsa_group_segment_fixed_size 19200
		.amdhsa_private_segment_fixed_size 0
		.amdhsa_kernarg_size 376
		.amdhsa_user_sgpr_count 2
		.amdhsa_user_sgpr_dispatch_ptr 0
		.amdhsa_user_sgpr_queue_ptr 0
		.amdhsa_user_sgpr_kernarg_segment_ptr 1
		.amdhsa_user_sgpr_dispatch_id 0
		.amdhsa_user_sgpr_kernarg_preload_length 0
		.amdhsa_user_sgpr_kernarg_preload_offset 0
		.amdhsa_user_sgpr_private_segment_size 0
		.amdhsa_uses_dynamic_stack 0
		.amdhsa_enable_private_segment 0
		.amdhsa_system_sgpr_workgroup_id_x 1
		.amdhsa_system_sgpr_workgroup_id_y 0
		.amdhsa_system_sgpr_workgroup_id_z 1
		.amdhsa_system_sgpr_workgroup_info 0
		.amdhsa_system_vgpr_workitem_id 1
		.amdhsa_next_free_vgpr 232
		.amdhsa_next_free_sgpr 38
		.amdhsa_accum_offset 232
		.amdhsa_reserve_vcc 1
		.amdhsa_float_round_mode_32 0
		.amdhsa_float_round_mode_16_64 0
		.amdhsa_float_denorm_mode_32 3
		.amdhsa_float_denorm_mode_16_64 3
		.amdhsa_dx10_clamp 1
		.amdhsa_ieee_mode 1
		.amdhsa_fp16_overflow 0
		.amdhsa_tg_split 0
		.amdhsa_exception_fp_ieee_invalid_op 0
		.amdhsa_exception_fp_denorm_src 0
		.amdhsa_exception_fp_ieee_div_zero 0
		.amdhsa_exception_fp_ieee_overflow 0
		.amdhsa_exception_fp_ieee_underflow 0
		.amdhsa_exception_fp_ieee_inexact 0
		.amdhsa_exception_int_div_zero 0
	.end_amdhsa_kernel
	.section	.text._ZL26rocblas_hemvn_kernel_upperILb0ELi64ELi4ELi33ELi32ELi16ElPK19rocblas_complex_numIdES3_PS1_EviT6_lT7_lT5_lS6_lS7_lS5_lT8_i,"axG",@progbits,_ZL26rocblas_hemvn_kernel_upperILb0ELi64ELi4ELi33ELi32ELi16ElPK19rocblas_complex_numIdES3_PS1_EviT6_lT7_lT5_lS6_lS7_lS5_lT8_i,comdat
.Lfunc_end122:
	.size	_ZL26rocblas_hemvn_kernel_upperILb0ELi64ELi4ELi33ELi32ELi16ElPK19rocblas_complex_numIdES3_PS1_EviT6_lT7_lT5_lS6_lS7_lS5_lT8_i, .Lfunc_end122-_ZL26rocblas_hemvn_kernel_upperILb0ELi64ELi4ELi33ELi32ELi16ElPK19rocblas_complex_numIdES3_PS1_EviT6_lT7_lT5_lS6_lS7_lS5_lT8_i
                                        ; -- End function
	.set _ZL26rocblas_hemvn_kernel_upperILb0ELi64ELi4ELi33ELi32ELi16ElPK19rocblas_complex_numIdES3_PS1_EviT6_lT7_lT5_lS6_lS7_lS5_lT8_i.num_vgpr, 232
	.set _ZL26rocblas_hemvn_kernel_upperILb0ELi64ELi4ELi33ELi32ELi16ElPK19rocblas_complex_numIdES3_PS1_EviT6_lT7_lT5_lS6_lS7_lS5_lT8_i.num_agpr, 0
	.set _ZL26rocblas_hemvn_kernel_upperILb0ELi64ELi4ELi33ELi32ELi16ElPK19rocblas_complex_numIdES3_PS1_EviT6_lT7_lT5_lS6_lS7_lS5_lT8_i.numbered_sgpr, 38
	.set _ZL26rocblas_hemvn_kernel_upperILb0ELi64ELi4ELi33ELi32ELi16ElPK19rocblas_complex_numIdES3_PS1_EviT6_lT7_lT5_lS6_lS7_lS5_lT8_i.num_named_barrier, 0
	.set _ZL26rocblas_hemvn_kernel_upperILb0ELi64ELi4ELi33ELi32ELi16ElPK19rocblas_complex_numIdES3_PS1_EviT6_lT7_lT5_lS6_lS7_lS5_lT8_i.private_seg_size, 0
	.set _ZL26rocblas_hemvn_kernel_upperILb0ELi64ELi4ELi33ELi32ELi16ElPK19rocblas_complex_numIdES3_PS1_EviT6_lT7_lT5_lS6_lS7_lS5_lT8_i.uses_vcc, 1
	.set _ZL26rocblas_hemvn_kernel_upperILb0ELi64ELi4ELi33ELi32ELi16ElPK19rocblas_complex_numIdES3_PS1_EviT6_lT7_lT5_lS6_lS7_lS5_lT8_i.uses_flat_scratch, 0
	.set _ZL26rocblas_hemvn_kernel_upperILb0ELi64ELi4ELi33ELi32ELi16ElPK19rocblas_complex_numIdES3_PS1_EviT6_lT7_lT5_lS6_lS7_lS5_lT8_i.has_dyn_sized_stack, 0
	.set _ZL26rocblas_hemvn_kernel_upperILb0ELi64ELi4ELi33ELi32ELi16ElPK19rocblas_complex_numIdES3_PS1_EviT6_lT7_lT5_lS6_lS7_lS5_lT8_i.has_recursion, 0
	.set _ZL26rocblas_hemvn_kernel_upperILb0ELi64ELi4ELi33ELi32ELi16ElPK19rocblas_complex_numIdES3_PS1_EviT6_lT7_lT5_lS6_lS7_lS5_lT8_i.has_indirect_call, 0
	.section	.AMDGPU.csdata,"",@progbits
; Kernel info:
; codeLenInByte = 10476
; TotalNumSgprs: 44
; NumVgprs: 232
; NumAgprs: 0
; TotalNumVgprs: 232
; ScratchSize: 0
; MemoryBound: 1
; FloatMode: 240
; IeeeMode: 1
; LDSByteSize: 19200 bytes/workgroup (compile time only)
; SGPRBlocks: 5
; VGPRBlocks: 28
; NumSGPRsForWavesPerEU: 44
; NumVGPRsForWavesPerEU: 232
; AccumOffset: 232
; Occupancy: 2
; WaveLimiterHint : 0
; COMPUTE_PGM_RSRC2:SCRATCH_EN: 0
; COMPUTE_PGM_RSRC2:USER_SGPR: 2
; COMPUTE_PGM_RSRC2:TRAP_HANDLER: 0
; COMPUTE_PGM_RSRC2:TGID_X_EN: 1
; COMPUTE_PGM_RSRC2:TGID_Y_EN: 0
; COMPUTE_PGM_RSRC2:TGID_Z_EN: 1
; COMPUTE_PGM_RSRC2:TIDIG_COMP_CNT: 1
; COMPUTE_PGM_RSRC3_GFX90A:ACCUM_OFFSET: 57
; COMPUTE_PGM_RSRC3_GFX90A:TG_SPLIT: 0
	.section	.text._ZL26rocblas_hemvn_kernel_upperILb0ELi64ELi4ELi33ELi32ELi16EiPK19rocblas_complex_numIdES3_PS1_EviT6_lT7_lT5_lS6_lS7_lS5_lT8_i,"axG",@progbits,_ZL26rocblas_hemvn_kernel_upperILb0ELi64ELi4ELi33ELi32ELi16EiPK19rocblas_complex_numIdES3_PS1_EviT6_lT7_lT5_lS6_lS7_lS5_lT8_i,comdat
	.globl	_ZL26rocblas_hemvn_kernel_upperILb0ELi64ELi4ELi33ELi32ELi16EiPK19rocblas_complex_numIdES3_PS1_EviT6_lT7_lT5_lS6_lS7_lS5_lT8_i ; -- Begin function _ZL26rocblas_hemvn_kernel_upperILb0ELi64ELi4ELi33ELi32ELi16EiPK19rocblas_complex_numIdES3_PS1_EviT6_lT7_lT5_lS6_lS7_lS5_lT8_i
	.p2align	8
	.type	_ZL26rocblas_hemvn_kernel_upperILb0ELi64ELi4ELi33ELi32ELi16EiPK19rocblas_complex_numIdES3_PS1_EviT6_lT7_lT5_lS6_lS7_lS5_lT8_i,@function
_ZL26rocblas_hemvn_kernel_upperILb0ELi64ELi4ELi33ELi32ELi16EiPK19rocblas_complex_numIdES3_PS1_EviT6_lT7_lT5_lS6_lS7_lS5_lT8_i: ; @_ZL26rocblas_hemvn_kernel_upperILb0ELi64ELi4ELi33ELi32ELi16EiPK19rocblas_complex_numIdES3_PS1_EviT6_lT7_lT5_lS6_lS7_lS5_lT8_i
; %bb.0:
	s_load_dwordx2 s[4:5], s[0:1], 0x84
	s_add_u32 s20, s0, 0x78
	s_addc_u32 s21, s1, 0
	s_waitcnt lgkmcnt(0)
	s_lshr_b32 s6, s4, 16
	s_and_b32 s4, s4, 0xffff
	s_and_b32 s5, s5, 0xffff
	s_mul_i32 s4, s6, s4
	s_mul_i32 s4, s4, s5
	s_cmpk_lg_i32 s4, 0x100
	s_cbranch_scc1 .LBB123_156
; %bb.1:
	s_load_dwordx8 s[4:11], s[0:1], 0x8
	s_waitcnt lgkmcnt(0)
	s_mul_i32 s7, s7, s3
	s_mul_hi_u32 s12, s6, s3
	s_mul_i32 s6, s6, s3
	s_add_i32 s7, s12, s7
	s_lshl_b64 s[6:7], s[6:7], 4
	s_add_u32 s22, s4, s6
	s_addc_u32 s23, s5, s7
	s_load_dwordx4 s[4:7], s[22:23], 0x0
	s_load_dwordx8 s[12:19], s[0:1], 0x50
	s_waitcnt lgkmcnt(0)
	v_cmp_neq_f64_e64 s[4:5], s[4:5], 0
	v_cmp_neq_f64_e64 s[6:7], s[6:7], 0
	s_or_b64 s[4:5], s[4:5], s[6:7]
	s_mov_b64 s[6:7], -1
	s_and_b64 vcc, exec, s[4:5]
	s_cbranch_vccnz .LBB123_3
; %bb.2:
	s_mul_i32 s6, s17, s3
	s_mul_hi_u32 s7, s16, s3
	s_add_i32 s7, s7, s6
	s_mul_i32 s6, s16, s3
	s_lshl_b64 s[6:7], s[6:7], 4
	s_add_u32 s6, s14, s6
	s_addc_u32 s7, s15, s7
	s_load_dwordx4 s[24:27], s[6:7], 0x0
	s_waitcnt lgkmcnt(0)
	v_cmp_neq_f64_e64 s[6:7], s[24:25], 1.0
	v_cmp_neq_f64_e64 s[14:15], s[26:27], 0
	s_or_b64 s[6:7], s[6:7], s[14:15]
.LBB123_3:
	s_andn2_b64 vcc, exec, s[6:7]
	s_cbranch_vccnz .LBB123_156
; %bb.4:
	s_andn2_b64 vcc, exec, s[4:5]
	s_cbranch_vccnz .LBB123_156
; %bb.5:
	s_load_dword s30, s[20:21], 0x0
	s_load_dword s34, s[0:1], 0x0
	s_load_dwordx4 s[4:7], s[0:1], 0x30
	s_load_dwordx2 s[14:15], s[0:1], 0x40
	s_load_dword s33, s[0:1], 0x48
	s_mul_i32 s13, s13, s3
	s_mul_hi_u32 s16, s12, s3
	s_add_i32 s13, s16, s13
	s_mul_i32 s12, s12, s3
	s_lshl_b64 s[12:13], s[12:13], 4
	s_waitcnt lgkmcnt(0)
	s_add_u32 s12, s6, s12
	s_addc_u32 s13, s7, s13
	s_lshl_b64 s[6:7], s[14:15], 4
	s_add_u32 s6, s12, s6
	s_addc_u32 s7, s13, s7
	s_ashr_i32 s35, s34, 31
	s_lshr_b32 s13, s35, 26
	v_and_b32_e32 v166, 0x3ff, v0
	s_lshl_b32 s24, s2, 6
	s_add_i32 s13, s34, s13
	s_andn2_b32 s13, s13, 63
	v_add_u32_e32 v164, s24, v166
	v_bfe_u32 v165, v0, 10, 10
	s_add_i32 s12, s30, -1
	s_sub_i32 s31, s34, s13
	v_mul_lo_u32 v0, s33, v164
	s_cmp_eq_u32 s2, s12
	v_ashrrev_i32_e32 v1, 31, v0
	s_cselect_b32 s16, s31, 0
	v_lshl_add_u64 v[36:37], v[0:1], 4, s[6:7]
	v_cmp_eq_u32_e64 s[12:13], 0, v165
	s_and_saveexec_b64 s[6:7], s[12:13]
	s_cbranch_execz .LBB123_10
; %bb.6:
	s_cmp_lg_u32 s16, 0
	s_cselect_b64 s[14:15], -1, 0
	v_cmp_le_i32_e32 vcc, s16, v166
	v_mov_b32_e32 v0, 0x4700
	s_and_b64 s[14:15], s[14:15], vcc
	v_lshl_add_u32 v0, v166, 4, v0
	s_and_saveexec_b64 s[20:21], s[14:15]
	s_xor_b64 s[14:15], exec, s[20:21]
; %bb.7:
	v_mov_b32_e32 v2, 0
	v_mov_b32_e32 v3, v2
	;; [unrolled: 1-line block ×4, first 2 shown]
	ds_write_b128 v0, v[2:5]
                                        ; implicit-def: $vgpr0
; %bb.8:
	s_andn2_saveexec_b64 s[14:15], s[14:15]
	s_cbranch_execz .LBB123_10
; %bb.9:
	global_load_dwordx4 v[2:5], v[36:37], off
	s_waitcnt vmcnt(0)
	ds_write2_b64 v0, v[2:3], v[4:5] offset1:1
.LBB123_10:
	s_or_b64 exec, exec, s[6:7]
	s_mul_i32 s5, s5, s3
	s_mul_hi_u32 s6, s4, s3
	s_add_i32 s5, s6, s5
	s_mul_i32 s4, s4, s3
	s_lshl_b64 s[4:5], s[4:5], 4
	s_add_u32 s6, s8, s4
	s_addc_u32 s7, s9, s5
	s_lshl_b64 s[4:5], s[10:11], 4
	s_load_dword s22, s[0:1], 0x28
	s_add_u32 s4, s6, s4
	s_addc_u32 s5, s7, s5
	s_ashr_i32 s25, s24, 31
	v_lshl_add_u32 v42, v165, 6, v166
	s_lshl_b64 s[0:1], s[24:25], 4
	v_and_b32_e32 v6, 31, v166
	v_lshrrev_b32_e32 v14, 5, v42
	s_add_u32 s0, s4, s0
	s_addc_u32 s1, s5, s1
	s_waitcnt lgkmcnt(0)
	v_mad_u64_u32 v[38:39], s[4:5], s22, v14, v[6:7]
	v_ashrrev_i32_e32 v39, 31, v38
	v_lshl_add_u64 v[0:1], v[38:39], 4, s[0:1]
	s_mul_i32 s0, s22, s24
	s_ashr_i32 s1, s0, 31
	s_cmp_eq_u32 s16, 0
	s_cselect_b64 s[20:21], -1, 0
	s_cmp_lg_u32 s16, 0
	s_cselect_b64 s[28:29], -1, 0
	v_lshl_add_u64 v[0:1], s[0:1], 4, v[0:1]
	s_and_b64 vcc, exec, s[28:29]
	v_cmp_gt_i32_e64 s[0:1], s16, v6
	v_lshlrev_b32_e32 v4, 4, v6
	s_cbranch_vccz .LBB123_28
; %bb.11:
	v_sub_co_u32_e32 v2, vcc, v0, v4
	s_ashr_i32 s17, s16, 31
	s_nop 0
	v_subbrev_co_u32_e32 v3, vcc, 0, v1, vcc
	v_lshl_add_u64 v[2:3], s[16:17], 4, v[2:3]
	v_lshl_add_u64 v[2:3], v[2:3], 0, -16
	s_movk_i32 s4, 0x210
	v_cndmask_b32_e64 v3, v3, v1, s[0:1]
	v_cndmask_b32_e64 v2, v2, v0, s[0:1]
	v_cmp_le_i32_e32 vcc, s16, v14
	v_mad_u32_u24 v7, v14, s4, v4
	s_and_saveexec_b64 s[4:5], vcc
	s_xor_b64 s[4:5], exec, s[4:5]
; %bb.12:
	v_mov_b32_e32 v8, 0
	v_mov_b32_e32 v9, v8
	;; [unrolled: 1-line block ×4, first 2 shown]
	ds_write_b128 v7, v[8:11]
                                        ; implicit-def: $vgpr7
; %bb.13:
	s_or_saveexec_b64 s[4:5], s[4:5]
	v_mul_u32_u24_e32 v5, 0x210, v14
	s_xor_b64 exec, exec, s[4:5]
	s_cbranch_execz .LBB123_15
; %bb.14:
	global_load_dwordx4 v[8:11], v[2:3], off
	s_waitcnt vmcnt(0)
	ds_write2_b64 v7, v[8:9], v[10:11] offset1:1
.LBB123_15:
	s_or_b64 exec, exec, s[4:5]
	v_add_u32_e32 v7, 8, v14
	v_cmp_le_i32_e32 vcc, s16, v7
	v_add_u32_e32 v7, v5, v4
	s_and_saveexec_b64 s[4:5], vcc
	s_xor_b64 s[4:5], exec, s[4:5]
; %bb.16:
	v_mov_b32_e32 v8, 0
	v_mov_b32_e32 v9, v8
	;; [unrolled: 1-line block ×4, first 2 shown]
	ds_write_b128 v7, v[8:11] offset:4224
; %bb.17:
	s_andn2_saveexec_b64 s[4:5], s[4:5]
	s_cbranch_execz .LBB123_19
; %bb.18:
	s_lshl_b32 s6, s22, 3
	s_ashr_i32 s7, s6, 31
	v_lshl_add_u64 v[8:9], s[6:7], 4, v[2:3]
	global_load_dwordx4 v[8:11], v[8:9], off
	s_movk_i32 s6, 0x1080
	v_add3_u32 v12, v5, v4, s6
	s_waitcnt vmcnt(0)
	ds_write2_b64 v12, v[8:9], v[10:11] offset1:1
.LBB123_19:
	s_or_b64 exec, exec, s[4:5]
	v_add_u32_e32 v8, 16, v14
	v_cmp_le_i32_e32 vcc, s16, v8
	s_and_saveexec_b64 s[4:5], vcc
	s_xor_b64 s[4:5], exec, s[4:5]
; %bb.20:
	v_mov_b32_e32 v8, 0
	v_mov_b32_e32 v9, v8
	;; [unrolled: 1-line block ×4, first 2 shown]
	ds_write_b128 v7, v[8:11] offset:8448
; %bb.21:
	s_andn2_saveexec_b64 s[4:5], s[4:5]
	s_cbranch_execz .LBB123_23
; %bb.22:
	s_lshl_b32 s6, s22, 4
	s_ashr_i32 s7, s6, 31
	v_lshl_add_u64 v[8:9], s[6:7], 4, v[2:3]
	global_load_dwordx4 v[8:11], v[8:9], off
	s_movk_i32 s6, 0x2100
	v_add3_u32 v12, v5, v4, s6
	s_waitcnt vmcnt(0)
	ds_write2_b64 v12, v[8:9], v[10:11] offset1:1
.LBB123_23:
	s_or_b64 exec, exec, s[4:5]
	v_add_u32_e32 v8, 24, v14
	v_cmp_le_i32_e32 vcc, s16, v8
	s_and_saveexec_b64 s[4:5], vcc
	s_xor_b64 s[4:5], exec, s[4:5]
; %bb.24:
	v_mov_b32_e32 v8, 0
	v_mov_b32_e32 v9, v8
	;; [unrolled: 1-line block ×4, first 2 shown]
	ds_write_b128 v7, v[8:11] offset:12672
                                        ; implicit-def: $vgpr5
; %bb.25:
	s_andn2_saveexec_b64 s[4:5], s[4:5]
	s_cbranch_execz .LBB123_27
; %bb.26:
	s_mul_i32 s6, s22, 24
	s_ashr_i32 s7, s6, 31
	v_lshl_add_u64 v[8:9], s[6:7], 4, v[2:3]
	global_load_dwordx4 v[8:11], v[8:9], off
	s_movk_i32 s6, 0x3180
	v_add3_u32 v5, v5, v4, s6
	s_waitcnt vmcnt(0)
	ds_write2_b64 v5, v[8:9], v[10:11] offset1:1
.LBB123_27:
	s_or_b64 exec, exec, s[4:5]
	v_mov_b32_e32 v5, 0
	v_lshl_add_u64 v[2:3], v[2:3], 0, v[4:5]
	s_lshl_b64 s[4:5], s[16:17], 4
	v_mov_b32_e32 v5, s5
	v_subrev_co_u32_e32 v2, vcc, s4, v2
	s_nop 1
	v_subb_co_u32_e32 v3, vcc, v3, v5, vcc
	v_lshl_add_u64 v[2:3], v[2:3], 0, 16
	v_cndmask_b32_e64 v9, v3, v1, s[0:1]
	v_cndmask_b32_e64 v8, v2, v0, s[0:1]
	s_branch .LBB123_30
.LBB123_28:
                                        ; implicit-def: $vgpr8_vgpr9
	s_cbranch_execz .LBB123_30
; %bb.29:
	s_lshl_b32 s0, s22, 3
	s_ashr_i32 s1, s0, 31
	s_ashr_i32 s23, s22, 31
	v_lshl_add_u64 v[2:3], s[0:1], 4, v[0:1]
	s_lshl_b64 s[0:1], s[22:23], 7
	global_load_dwordx4 v[8:11], v[0:1], off
	global_load_dwordx4 v[16:19], v[2:3], off
	v_lshl_add_u64 v[2:3], v[2:3], 0, s[0:1]
	v_lshl_add_u64 v[12:13], v[2:3], 0, s[0:1]
	global_load_dwordx4 v[20:23], v[2:3], off
	global_load_dwordx4 v[24:27], v[12:13], off
	v_mul_u32_u24_e32 v2, 0x210, v14
	v_lshl_add_u32 v2, v6, 4, v2
	v_add_u32_e32 v3, 0x1080, v2
	v_add_u32_e32 v5, 0x2100, v2
	;; [unrolled: 1-line block ×3, first 2 shown]
	s_waitcnt vmcnt(3)
	ds_write2_b64 v2, v[8:9], v[10:11] offset1:1
	s_waitcnt vmcnt(2)
	ds_write2_b64 v3, v[16:17], v[18:19] offset1:1
	;; [unrolled: 2-line block ×4, first 2 shown]
	v_mov_b64_e32 v[8:9], v[0:1]
.LBB123_30:
	v_lshlrev_b32_e32 v7, 2, v14
	v_lshl_or_b32 v0, v6, 9, v4
	v_cmp_gt_u32_e64 s[4:5], v7, v6
	v_lshl_add_u32 v1, v7, 4, v0
	s_waitcnt lgkmcnt(0)
	s_barrier
	s_and_saveexec_b64 s[0:1], s[4:5]
	s_cbranch_execz .LBB123_32
; %bb.31:
	s_movk_i32 s6, 0x840
	v_mad_u32_u24 v0, v14, s6, v4
	ds_read_b128 v[10:13], v0
	s_waitcnt lgkmcnt(0)
	ds_write_b128 v1, v[10:13]
.LBB123_32:
	s_or_b64 exec, exec, s[0:1]
	v_or_b32_e32 v0, 1, v7
	v_cmp_ge_u32_e64 s[6:7], v7, v6
	s_and_saveexec_b64 s[0:1], s[6:7]
	s_cbranch_execz .LBB123_34
; %bb.33:
	s_movk_i32 s8, 0x210
	v_mad_u32_u24 v2, v0, s8, v4
	ds_read_b128 v[10:13], v2
	s_waitcnt lgkmcnt(0)
	ds_write_b128 v1, v[10:13] offset:16
.LBB123_34:
	s_or_b64 exec, exec, s[0:1]
	v_or_b32_e32 v2, 2, v7
	v_cmp_gt_u32_e64 s[8:9], v2, v6
	s_and_saveexec_b64 s[0:1], s[8:9]
	s_cbranch_execz .LBB123_36
; %bb.35:
	s_movk_i32 s10, 0x210
	v_mad_u32_u24 v2, v2, s10, v4
	ds_read_b128 v[10:13], v2
	s_waitcnt lgkmcnt(0)
	ds_write_b128 v1, v[10:13] offset:32
.LBB123_36:
	s_or_b64 exec, exec, s[0:1]
	v_or_b32_e32 v3, 3, v7
	v_cmp_gt_u32_e64 s[10:11], v3, v6
	v_cmp_le_u32_e32 vcc, v3, v6
                                        ; implicit-def: $vgpr2
	s_and_saveexec_b64 s[0:1], vcc
	s_xor_b64 s[0:1], exec, s[0:1]
; %bb.37:
	v_mul_u32_u24_e32 v2, 0x210, v3
                                        ; implicit-def: $vgpr3
                                        ; implicit-def: $vgpr1
; %bb.38:
	s_andn2_saveexec_b64 s[0:1], s[0:1]
	s_cbranch_execz .LBB123_40
; %bb.39:
	s_movk_i32 s14, 0x210
	v_mad_u32_u24 v2, v3, s14, v4
	ds_read_b128 v[10:13], v2
	v_mul_u32_u24_e32 v2, 0x210, v3
	s_waitcnt lgkmcnt(0)
	ds_write_b128 v1, v[10:13] offset:48
.LBB123_40:
	s_or_b64 exec, exec, s[0:1]
	s_movk_i32 s0, 0x840
	v_mad_u32_u24 v15, v14, s0, v4
	v_lshlrev_b32_e32 v16, 4, v7
	s_movk_i32 s0, 0x210
	s_waitcnt lgkmcnt(0)
	s_barrier
	ds_read_b128 v[10:13], v16 offset:18176
	ds_read_b128 v[22:25], v16 offset:18192
	ds_read_b128 v[26:29], v15
	ds_read_b128 v[30:33], v16 offset:18208
	ds_read_b128 v[46:49], v16 offset:18224
	v_mad_u32_u24 v20, v0, s0, v4
	ds_read_b128 v[50:53], v20
	s_waitcnt lgkmcnt(3)
	v_mul_f64 v[0:1], v[12:13], v[28:29]
	v_fma_f64 v[18:19], v[10:11], v[26:27], -v[0:1]
	v_mul_f64 v[10:11], v[10:11], v[28:29]
	v_fmac_f64_e32 v[10:11], v[12:13], v[26:27]
	v_add_f64 v[26:27], v[10:11], 0
	s_waitcnt lgkmcnt(0)
	v_mul_f64 v[10:11], v[24:25], v[52:53]
	v_fma_f64 v[28:29], v[22:23], v[50:51], -v[10:11]
	v_mul_f64 v[22:23], v[22:23], v[52:53]
	v_fmac_f64_e32 v[22:23], v[24:25], v[50:51]
	ds_read_b128 v[10:13], v20 offset:528
	v_add_u32_e32 v45, v4, v2
	v_add_f64 v[26:27], v[26:27], v[22:23]
	ds_read_b128 v[22:25], v45
	v_add_f64 v[18:19], v[18:19], 0
	s_waitcnt lgkmcnt(1)
	v_mul_f64 v[2:3], v[32:33], v[12:13]
	v_mul_f64 v[12:13], v[30:31], v[12:13]
	v_add_f64 v[18:19], v[18:19], v[28:29]
	v_fma_f64 v[2:3], v[30:31], v[10:11], -v[2:3]
	v_fmac_f64_e32 v[12:13], v[32:33], v[10:11]
	s_waitcnt lgkmcnt(0)
	v_mul_f64 v[10:11], v[48:49], v[24:25]
	v_add_f64 v[2:3], v[18:19], v[2:3]
	v_fma_f64 v[10:11], v[46:47], v[22:23], -v[10:11]
	v_mul_f64 v[18:19], v[46:47], v[24:25]
	v_add_f64 v[10:11], v[2:3], v[10:11]
	v_mul_u32_u24_e32 v2, 33, v6
	v_add_f64 v[12:13], v[26:27], v[12:13]
	v_fmac_f64_e32 v[18:19], v[48:49], v[22:23]
	v_lshlrev_b32_e32 v43, 4, v2
	v_mov_b64_e32 v[0:1], 0
	v_add_f64 v[12:13], v[12:13], v[18:19]
	v_lshl_add_u32 v44, v14, 4, v43
	v_cmp_gt_u32_e64 s[0:1], 32, v42
	v_mov_b64_e32 v[2:3], 0
	s_barrier
	ds_write_b128 v44, v[10:13]
	s_waitcnt lgkmcnt(0)
	s_barrier
	s_and_saveexec_b64 s[14:15], s[0:1]
	s_cbranch_execz .LBB123_42
; %bb.41:
	ds_read_b128 v[0:3], v43
	ds_read_b128 v[10:13], v43 offset:16
	ds_read_b128 v[22:25], v43 offset:32
	;; [unrolled: 1-line block ×3, first 2 shown]
	s_waitcnt lgkmcnt(2)
	v_add_f64 v[0:1], v[10:11], v[0:1]
	v_add_f64 v[10:11], v[12:13], v[2:3]
	s_waitcnt lgkmcnt(1)
	v_add_f64 v[12:13], v[0:1], v[22:23]
	ds_read_b128 v[0:3], v43 offset:64
	v_add_f64 v[10:11], v[10:11], v[24:25]
	s_waitcnt lgkmcnt(1)
	v_add_f64 v[18:19], v[12:13], v[26:27]
	v_add_f64 v[26:27], v[10:11], v[28:29]
	ds_read_b128 v[10:13], v43 offset:80
	ds_read_b128 v[22:25], v43 offset:96
	s_waitcnt lgkmcnt(2)
	v_add_f64 v[18:19], v[18:19], v[0:1]
	v_add_f64 v[26:27], v[26:27], v[2:3]
	ds_read_b128 v[0:3], v43 offset:112
	s_waitcnt lgkmcnt(2)
	v_add_f64 v[10:11], v[18:19], v[10:11]
	v_add_f64 v[12:13], v[26:27], v[12:13]
	s_waitcnt lgkmcnt(1)
	v_add_f64 v[10:11], v[10:11], v[22:23]
	v_add_f64 v[12:13], v[12:13], v[24:25]
	;; [unrolled: 3-line block ×3, first 2 shown]
.LBB123_42:
	s_or_b64 exec, exec, s[14:15]
	s_lshl_b32 s26, s22, 5
	s_ashr_i32 s27, s26, 31
	v_lshl_add_u64 v[12:13], s[26:27], 4, v[8:9]
	s_mov_b64 s[14:15], 0x200
	v_lshl_add_u64 v[10:11], v[12:13], 0, s[14:15]
	s_and_b64 vcc, exec, s[28:29]
	s_barrier
	s_cbranch_vccz .LBB123_60
; %bb.43:
	v_sub_co_u32_e32 v8, vcc, v12, v4
	s_ashr_i32 s17, s16, 31
	s_nop 0
	v_subbrev_co_u32_e32 v9, vcc, 0, v13, vcc
	v_or_b32_e32 v5, 32, v6
	v_lshl_add_u64 v[8:9], s[16:17], 4, v[8:9]
	v_lshl_add_u64 v[8:9], v[8:9], 0, -16
	v_cmp_gt_i32_e32 vcc, s16, v5
	s_sub_i32 s23, s16, 32
	s_movk_i32 s25, 0x210
	v_cndmask_b32_e32 v9, v9, v11, vcc
	v_cndmask_b32_e32 v8, v8, v10, vcc
	v_cmp_le_i32_e64 s[14:15], s23, v14
	v_mad_u32_u24 v17, v14, s25, v4
	s_and_saveexec_b64 s[36:37], s[14:15]
	s_xor_b64 s[14:15], exec, s[36:37]
; %bb.44:
	v_mov_b32_e32 v22, 0
	v_mov_b32_e32 v23, v22
	v_mov_b32_e32 v24, v22
	v_mov_b32_e32 v25, v22
	ds_write_b128 v17, v[22:25]
                                        ; implicit-def: $vgpr17
; %bb.45:
	s_or_saveexec_b64 s[14:15], s[14:15]
	v_mul_u32_u24_e32 v5, 0x210, v14
	s_xor_b64 exec, exec, s[14:15]
	s_cbranch_execz .LBB123_47
; %bb.46:
	global_load_dwordx4 v[22:25], v[8:9], off
	s_waitcnt vmcnt(0)
	ds_write2_b64 v17, v[22:23], v[24:25] offset1:1
.LBB123_47:
	s_or_b64 exec, exec, s[14:15]
	v_add_u32_e32 v17, 8, v14
	v_cmp_le_i32_e64 s[14:15], s23, v17
	v_add_u32_e32 v17, v5, v4
	s_and_saveexec_b64 s[36:37], s[14:15]
	s_xor_b64 s[14:15], exec, s[36:37]
; %bb.48:
	v_mov_b32_e32 v22, 0
	v_mov_b32_e32 v23, v22
	;; [unrolled: 1-line block ×4, first 2 shown]
	ds_write_b128 v17, v[22:25] offset:4224
; %bb.49:
	s_andn2_saveexec_b64 s[14:15], s[14:15]
	s_cbranch_execz .LBB123_51
; %bb.50:
	s_lshl_b32 s36, s22, 3
	s_ashr_i32 s37, s36, 31
	v_lshl_add_u64 v[18:19], s[36:37], 4, v[8:9]
	global_load_dwordx4 v[22:25], v[18:19], off
	s_movk_i32 s25, 0x1080
	v_add3_u32 v18, v5, v4, s25
	s_waitcnt vmcnt(0)
	ds_write2_b64 v18, v[22:23], v[24:25] offset1:1
.LBB123_51:
	s_or_b64 exec, exec, s[14:15]
	v_add_u32_e32 v18, 16, v14
	v_cmp_le_i32_e64 s[14:15], s23, v18
	s_and_saveexec_b64 s[36:37], s[14:15]
	s_xor_b64 s[14:15], exec, s[36:37]
; %bb.52:
	v_mov_b32_e32 v22, 0
	v_mov_b32_e32 v23, v22
	;; [unrolled: 1-line block ×4, first 2 shown]
	ds_write_b128 v17, v[22:25] offset:8448
; %bb.53:
	s_andn2_saveexec_b64 s[14:15], s[14:15]
	s_cbranch_execz .LBB123_55
; %bb.54:
	s_lshl_b32 s36, s22, 4
	s_ashr_i32 s37, s36, 31
	v_lshl_add_u64 v[18:19], s[36:37], 4, v[8:9]
	global_load_dwordx4 v[22:25], v[18:19], off
	s_movk_i32 s25, 0x2100
	v_add3_u32 v18, v5, v4, s25
	s_waitcnt vmcnt(0)
	ds_write2_b64 v18, v[22:23], v[24:25] offset1:1
.LBB123_55:
	s_or_b64 exec, exec, s[14:15]
	v_add_u32_e32 v18, 24, v14
	v_cmp_le_i32_e64 s[14:15], s23, v18
	s_and_saveexec_b64 s[36:37], s[14:15]
	s_xor_b64 s[14:15], exec, s[36:37]
; %bb.56:
	v_mov_b32_e32 v22, 0
	v_mov_b32_e32 v23, v22
	;; [unrolled: 1-line block ×4, first 2 shown]
	ds_write_b128 v17, v[22:25] offset:12672
                                        ; implicit-def: $vgpr5
; %bb.57:
	s_andn2_saveexec_b64 s[14:15], s[14:15]
	s_cbranch_execz .LBB123_59
; %bb.58:
	s_mul_i32 s36, s22, 24
	s_ashr_i32 s37, s36, 31
	v_lshl_add_u64 v[18:19], s[36:37], 4, v[8:9]
	global_load_dwordx4 v[22:25], v[18:19], off
	s_movk_i32 s23, 0x3180
	v_add3_u32 v5, v5, v4, s23
	s_waitcnt vmcnt(0)
	ds_write2_b64 v5, v[22:23], v[24:25] offset1:1
.LBB123_59:
	s_or_b64 exec, exec, s[14:15]
	v_mov_b32_e32 v5, 0
	v_lshl_add_u64 v[8:9], v[8:9], 0, v[4:5]
	s_lshl_b64 s[14:15], s[16:17], 4
	v_mov_b32_e32 v5, s15
	v_subrev_co_u32_e64 v8, s[14:15], s14, v8
	s_nop 1
	v_subb_co_u32_e64 v9, s[14:15], v9, v5, s[14:15]
	s_mov_b64 s[14:15], 0x210
	s_nop 0
	v_lshl_add_u64 v[8:9], v[8:9], 0, s[14:15]
	v_cndmask_b32_e32 v9, v9, v11, vcc
	v_cndmask_b32_e32 v8, v8, v10, vcc
	s_branch .LBB123_62
.LBB123_60:
                                        ; implicit-def: $vgpr8_vgpr9
	s_cbranch_execz .LBB123_62
; %bb.61:
	s_lshl_b32 s14, s22, 3
	s_ashr_i32 s15, s14, 31
	s_ashr_i32 s23, s22, 31
	v_lshl_add_u64 v[8:9], s[14:15], 4, v[12:13]
	s_lshl_b64 s[14:15], s[22:23], 7
	global_load_dwordx4 v[22:25], v[10:11], off
	global_load_dwordx4 v[26:29], v[8:9], off offset:512
	v_lshl_add_u64 v[8:9], v[8:9], 0, s[14:15]
	v_lshl_add_u64 v[12:13], v[8:9], 0, s[14:15]
	global_load_dwordx4 v[30:33], v[8:9], off offset:512
	global_load_dwordx4 v[46:49], v[12:13], off offset:512
	s_movk_i32 s14, 0x210
	v_mad_u32_u24 v5, v14, s14, v4
	v_add_u32_e32 v8, 0x1080, v5
	v_add_u32_e32 v9, 0x2100, v5
	;; [unrolled: 1-line block ×3, first 2 shown]
	s_waitcnt vmcnt(3)
	ds_write2_b64 v5, v[22:23], v[24:25] offset1:1
	s_waitcnt vmcnt(2)
	ds_write2_b64 v8, v[26:27], v[28:29] offset1:1
	;; [unrolled: 2-line block ×4, first 2 shown]
	v_mov_b64_e32 v[8:9], v[10:11]
.LBB123_62:
	v_lshl_add_u32 v5, v7, 4, v43
	s_waitcnt lgkmcnt(0)
	s_barrier
	s_and_saveexec_b64 s[14:15], s[4:5]
	s_cbranch_execnz .LBB123_87
; %bb.63:
	s_or_b64 exec, exec, s[14:15]
	s_and_saveexec_b64 s[4:5], s[6:7]
	s_cbranch_execnz .LBB123_88
.LBB123_64:
	s_or_b64 exec, exec, s[4:5]
	v_add_u32_e32 v12, 0x210, v20
	s_and_saveexec_b64 s[4:5], s[8:9]
	s_cbranch_execnz .LBB123_89
.LBB123_65:
	s_or_b64 exec, exec, s[4:5]
	v_add_u32_e32 v13, 0x4700, v16
	s_and_saveexec_b64 s[4:5], s[10:11]
	s_cbranch_execz .LBB123_67
.LBB123_66:
	ds_read_b128 v[16:19], v45
	s_waitcnt lgkmcnt(0)
	ds_write_b128 v5, v[16:19] offset:48
.LBB123_67:
	s_or_b64 exec, exec, s[4:5]
	s_waitcnt lgkmcnt(0)
	s_barrier
	ds_read_b128 v[16:19], v13 offset:512
	ds_read_b128 v[22:25], v15
	ds_read_b128 v[26:29], v13 offset:528
	ds_read_b128 v[30:33], v13 offset:544
	;; [unrolled: 1-line block ×3, first 2 shown]
	ds_read_b128 v[50:53], v20
	v_cmp_eq_u32_e64 s[4:5], 1, v14
	s_waitcnt lgkmcnt(4)
	v_mul_f64 v[10:11], v[18:19], v[24:25]
	v_fma_f64 v[10:11], v[16:17], v[22:23], -v[10:11]
	v_mul_f64 v[16:17], v[16:17], v[24:25]
	v_fmac_f64_e32 v[16:17], v[18:19], v[22:23]
	v_add_f64 v[22:23], v[16:17], 0
	s_waitcnt lgkmcnt(0)
	v_mul_f64 v[16:17], v[28:29], v[52:53]
	v_fma_f64 v[24:25], v[26:27], v[50:51], -v[16:17]
	v_mul_f64 v[26:27], v[26:27], v[52:53]
	v_add_f64 v[10:11], v[10:11], 0
	ds_read_b128 v[16:19], v12
	v_fmac_f64_e32 v[26:27], v[28:29], v[50:51]
	v_add_f64 v[10:11], v[10:11], v[24:25]
	v_add_f64 v[26:27], v[22:23], v[26:27]
	ds_read_b128 v[22:25], v45
	s_waitcnt lgkmcnt(1)
	v_mul_f64 v[28:29], v[32:33], v[18:19]
	v_mul_f64 v[18:19], v[30:31], v[18:19]
	v_fma_f64 v[28:29], v[30:31], v[16:17], -v[28:29]
	v_fmac_f64_e32 v[18:19], v[32:33], v[16:17]
	s_waitcnt lgkmcnt(0)
	v_mul_f64 v[16:17], v[48:49], v[24:25]
	v_mul_f64 v[24:25], v[46:47], v[24:25]
	v_add_f64 v[10:11], v[10:11], v[28:29]
	v_add_f64 v[18:19], v[26:27], v[18:19]
	v_fma_f64 v[16:17], v[46:47], v[22:23], -v[16:17]
	v_fmac_f64_e32 v[24:25], v[48:49], v[22:23]
	v_add_f64 v[16:17], v[10:11], v[16:17]
	v_add_f64 v[18:19], v[18:19], v[24:25]
	s_barrier
	ds_write_b128 v44, v[16:19]
	s_waitcnt lgkmcnt(0)
	s_barrier
	s_and_saveexec_b64 s[6:7], s[4:5]
	s_cbranch_execz .LBB123_69
; %bb.68:
	ds_read_b128 v[0:3], v43
	ds_read_b128 v[16:19], v43 offset:16
	ds_read_b128 v[22:25], v43 offset:32
	;; [unrolled: 1-line block ×3, first 2 shown]
	s_waitcnt lgkmcnt(2)
	v_add_f64 v[0:1], v[16:17], v[0:1]
	v_add_f64 v[10:11], v[18:19], v[2:3]
	s_waitcnt lgkmcnt(1)
	v_add_f64 v[16:17], v[0:1], v[22:23]
	ds_read_b128 v[0:3], v43 offset:64
	v_add_f64 v[10:11], v[10:11], v[24:25]
	s_waitcnt lgkmcnt(1)
	v_add_f64 v[22:23], v[16:17], v[26:27]
	ds_read_b128 v[16:19], v43 offset:80
	;; [unrolled: 4-line block ×3, first 2 shown]
	v_add_f64 v[10:11], v[10:11], v[2:3]
	ds_read_b128 v[0:3], v43 offset:112
	s_waitcnt lgkmcnt(2)
	v_add_f64 v[16:17], v[26:27], v[16:17]
	v_add_f64 v[10:11], v[10:11], v[18:19]
	s_waitcnt lgkmcnt(1)
	v_add_f64 v[16:17], v[16:17], v[22:23]
	v_add_f64 v[10:11], v[10:11], v[24:25]
	;; [unrolled: 3-line block ×3, first 2 shown]
.LBB123_69:
	s_or_b64 exec, exec, s[6:7]
	s_movk_i32 s6, 0xfe00
	s_mov_b32 s7, -1
	v_lshl_add_u64 v[10:11], v[8:9], 0, s[6:7]
	s_and_b64 vcc, exec, s[28:29]
	s_barrier
	s_cbranch_vccz .LBB123_90
; %bb.70:
	v_sub_co_u32_e32 v16, vcc, v8, v4
	s_ashr_i32 s17, s16, 31
	s_nop 0
	v_subbrev_co_u32_e32 v17, vcc, 0, v9, vcc
	s_movk_i32 s6, 0xfdf0
	v_lshl_add_u64 v[16:17], s[16:17], 4, v[16:17]
	s_mov_b32 s7, -1
	v_lshl_add_u64 v[16:17], v[16:17], 0, s[6:7]
	v_cmp_gt_i32_e32 vcc, s16, v6
	s_sub_i32 s8, s16, 32
	s_movk_i32 s9, 0x210
	v_cndmask_b32_e32 v7, v17, v11, vcc
	v_cndmask_b32_e32 v6, v16, v10, vcc
	v_cmp_le_i32_e64 s[6:7], s8, v14
	v_mad_u32_u24 v16, v14, s9, v4
	s_and_saveexec_b64 s[10:11], s[6:7]
	s_xor_b64 s[6:7], exec, s[10:11]
; %bb.71:
	v_mov_b32_e32 v22, 0
	v_mov_b32_e32 v23, v22
	;; [unrolled: 1-line block ×4, first 2 shown]
	ds_write_b128 v16, v[22:25]
                                        ; implicit-def: $vgpr16
; %bb.72:
	s_or_saveexec_b64 s[6:7], s[6:7]
	v_mul_u32_u24_e32 v5, 0x210, v14
	s_xor_b64 exec, exec, s[6:7]
	s_cbranch_execz .LBB123_74
; %bb.73:
	global_load_dwordx4 v[22:25], v[6:7], off
	s_waitcnt vmcnt(0)
	ds_write2_b64 v16, v[22:23], v[24:25] offset1:1
.LBB123_74:
	s_or_b64 exec, exec, s[6:7]
	v_add_u32_e32 v16, 8, v14
	v_cmp_le_i32_e64 s[6:7], s8, v16
	v_add_u32_e32 v19, v5, v4
	s_and_saveexec_b64 s[10:11], s[6:7]
	s_xor_b64 s[6:7], exec, s[10:11]
; %bb.75:
	v_mov_b32_e32 v22, 0
	v_mov_b32_e32 v23, v22
	;; [unrolled: 1-line block ×4, first 2 shown]
	ds_write_b128 v19, v[22:25] offset:4224
; %bb.76:
	s_andn2_saveexec_b64 s[6:7], s[6:7]
	s_cbranch_execz .LBB123_78
; %bb.77:
	s_lshl_b32 s10, s22, 3
	s_ashr_i32 s11, s10, 31
	v_lshl_add_u64 v[22:23], s[10:11], 4, v[6:7]
	global_load_dwordx4 v[22:25], v[22:23], off
	s_movk_i32 s9, 0x1080
	v_add3_u32 v17, v5, v4, s9
	s_waitcnt vmcnt(0)
	ds_write2_b64 v17, v[22:23], v[24:25] offset1:1
.LBB123_78:
	s_or_b64 exec, exec, s[6:7]
	v_add_u32_e32 v17, 16, v14
	v_cmp_le_i32_e64 s[6:7], s8, v17
	s_and_saveexec_b64 s[10:11], s[6:7]
	s_xor_b64 s[6:7], exec, s[10:11]
; %bb.79:
	v_mov_b32_e32 v22, 0
	v_mov_b32_e32 v23, v22
	v_mov_b32_e32 v24, v22
	v_mov_b32_e32 v25, v22
	ds_write_b128 v19, v[22:25] offset:8448
; %bb.80:
	s_andn2_saveexec_b64 s[6:7], s[6:7]
	s_cbranch_execz .LBB123_82
; %bb.81:
	s_lshl_b32 s10, s22, 4
	s_ashr_i32 s11, s10, 31
	v_lshl_add_u64 v[22:23], s[10:11], 4, v[6:7]
	global_load_dwordx4 v[22:25], v[22:23], off
	s_movk_i32 s9, 0x2100
	v_add3_u32 v18, v5, v4, s9
	s_waitcnt vmcnt(0)
	ds_write2_b64 v18, v[22:23], v[24:25] offset1:1
.LBB123_82:
	s_or_b64 exec, exec, s[6:7]
	v_add_u32_e32 v18, 24, v14
	v_cmp_le_i32_e64 s[6:7], s8, v18
	s_and_saveexec_b64 s[8:9], s[6:7]
	s_xor_b64 s[6:7], exec, s[8:9]
; %bb.83:
	v_mov_b32_e32 v22, 0
	v_mov_b32_e32 v23, v22
	;; [unrolled: 1-line block ×4, first 2 shown]
	ds_write_b128 v19, v[22:25] offset:12672
                                        ; implicit-def: $vgpr5
; %bb.84:
	s_andn2_saveexec_b64 s[6:7], s[6:7]
	s_cbranch_execz .LBB123_86
; %bb.85:
	s_mul_i32 s8, s22, 24
	s_ashr_i32 s9, s8, 31
	v_lshl_add_u64 v[22:23], s[8:9], 4, v[6:7]
	global_load_dwordx4 v[22:25], v[22:23], off
	s_movk_i32 s8, 0x3180
	v_add3_u32 v5, v5, v4, s8
	s_waitcnt vmcnt(0)
	ds_write2_b64 v5, v[22:23], v[24:25] offset1:1
.LBB123_86:
	s_or_b64 exec, exec, s[6:7]
	v_mov_b32_e32 v5, 0
	v_lshl_add_u64 v[6:7], v[6:7], 0, v[4:5]
	s_lshl_b64 s[6:7], s[16:17], 4
	v_mov_b32_e32 v5, s7
	v_subrev_co_u32_e64 v6, s[6:7], s6, v6
	s_nop 1
	v_subb_co_u32_e64 v7, s[6:7], v7, v5, s[6:7]
	v_lshl_add_u64 v[6:7], v[6:7], 0, 16
	v_cndmask_b32_e32 v41, v7, v11, vcc
	v_cndmask_b32_e32 v40, v6, v10, vcc
	s_branch .LBB123_92
.LBB123_87:
	ds_read_b128 v[10:13], v15
	s_waitcnt lgkmcnt(0)
	ds_write_b128 v5, v[10:13]
	s_or_b64 exec, exec, s[14:15]
	s_and_saveexec_b64 s[4:5], s[6:7]
	s_cbranch_execz .LBB123_64
.LBB123_88:
	ds_read_b128 v[10:13], v20
	s_waitcnt lgkmcnt(0)
	ds_write_b128 v5, v[10:13] offset:16
	s_or_b64 exec, exec, s[4:5]
	v_add_u32_e32 v12, 0x210, v20
	s_and_saveexec_b64 s[4:5], s[8:9]
	s_cbranch_execz .LBB123_65
.LBB123_89:
	ds_read_b128 v[22:25], v12
	s_waitcnt lgkmcnt(0)
	ds_write_b128 v5, v[22:25] offset:32
	s_or_b64 exec, exec, s[4:5]
	v_add_u32_e32 v13, 0x4700, v16
	s_and_saveexec_b64 s[4:5], s[10:11]
	s_cbranch_execnz .LBB123_66
	s_branch .LBB123_67
.LBB123_90:
                                        ; implicit-def: $vgpr40_vgpr41
                                        ; implicit-def: $vgpr16
                                        ; implicit-def: $vgpr17
                                        ; implicit-def: $vgpr18
	s_cbranch_execz .LBB123_92
; %bb.91:
	s_lshl_b32 s6, s22, 3
	s_ashr_i32 s7, s6, 31
	s_ashr_i32 s23, s22, 31
	v_lshl_add_u64 v[16:17], s[6:7], 4, v[8:9]
	s_lshl_b64 s[6:7], s[22:23], 7
	global_load_dwordx4 v[6:9], v[10:11], off
	global_load_dwordx4 v[22:25], v[16:17], off offset:-512
	v_lshl_add_u64 v[16:17], v[16:17], 0, s[6:7]
	v_lshl_add_u64 v[18:19], v[16:17], 0, s[6:7]
	global_load_dwordx4 v[26:29], v[16:17], off offset:-512
	global_load_dwordx4 v[30:33], v[18:19], off offset:-512
	s_movk_i32 s6, 0x210
	v_add_u32_e32 v16, 8, v14
	v_add_u32_e32 v17, 16, v14
	v_add_u32_e32 v18, 24, v14
	v_mad_u32_u24 v4, v14, s6, v4
	v_mov_b64_e32 v[40:41], v[10:11]
	v_add_u32_e32 v5, 0x1080, v4
	v_add_u32_e32 v19, 0x2100, v4
	;; [unrolled: 1-line block ×3, first 2 shown]
	s_waitcnt vmcnt(3)
	ds_write2_b64 v4, v[6:7], v[8:9] offset1:1
	s_waitcnt vmcnt(2)
	ds_write2_b64 v5, v[22:23], v[24:25] offset1:1
	;; [unrolled: 2-line block ×4, first 2 shown]
.LBB123_92:
	v_lshlrev_b32_e32 v8, 4, v14
	v_add_u32_e32 v4, v43, v8
	s_waitcnt lgkmcnt(0)
	s_barrier
	ds_read_b128 v[4:7], v4
	ds_read_b128 v[22:25], v8 offset:18176
	v_lshlrev_b32_e32 v8, 4, v16
	v_add_u32_e32 v9, v43, v8
	ds_read_b128 v[46:49], v9
	ds_read_b128 v[26:29], v8 offset:18176
	s_waitcnt lgkmcnt(2)
	v_mul_f64 v[8:9], v[6:7], v[24:25]
	v_fma_f64 v[8:9], v[4:5], v[22:23], -v[8:9]
	v_mul_f64 v[66:67], v[4:5], v[24:25]
	v_add_f64 v[4:5], v[8:9], 0
	s_waitcnt lgkmcnt(0)
	v_mul_f64 v[8:9], v[48:49], v[28:29]
	v_fma_f64 v[8:9], v[46:47], v[26:27], -v[8:9]
	v_add_f64 v[4:5], v[4:5], v[8:9]
	v_lshlrev_b32_e32 v8, 4, v17
	v_add_u32_e32 v9, v43, v8
	ds_read_b128 v[50:53], v9
	ds_read_b128 v[54:57], v8 offset:18176
	v_lshlrev_b32_e32 v8, 4, v18
	v_add_u32_e32 v9, v43, v8
	ds_read_b128 v[58:61], v9
	ds_read_b128 v[62:65], v8 offset:18176
	v_mul_f64 v[68:69], v[46:47], v[28:29]
	s_waitcnt lgkmcnt(2)
	v_mul_f64 v[8:9], v[52:53], v[56:57]
	v_fma_f64 v[8:9], v[50:51], v[54:55], -v[8:9]
	v_add_f64 v[4:5], v[4:5], v[8:9]
	s_waitcnt lgkmcnt(0)
	v_mul_f64 v[8:9], v[60:61], v[64:65]
	v_fma_f64 v[8:9], v[58:59], v[62:63], -v[8:9]
	v_fmac_f64_e32 v[66:67], v[6:7], v[22:23]
	v_add_f64 v[46:47], v[4:5], v[8:9]
	ds_read_b128 v[16:19], v13 offset:528
	ds_read_b128 v[8:11], v13 offset:544
	;; [unrolled: 1-line block ×3, first 2 shown]
	ds_read_b128 v[32:35], v15
	v_fmac_f64_e32 v[68:69], v[48:49], v[26:27]
	v_add_f64 v[14:15], v[66:67], 0
	ds_read_b128 v[4:7], v13 offset:560
	ds_read_b128 v[24:27], v20
	v_add_f64 v[48:49], v[14:15], v[68:69]
	ds_read_b128 v[20:23], v12
	ds_read_b128 v[12:15], v45
	v_mul_f64 v[50:51], v[50:51], v[56:57]
	v_mul_f64 v[56:57], v[58:59], v[64:65]
	v_fmac_f64_e32 v[50:51], v[52:53], v[54:55]
	v_add_f64 v[48:49], v[48:49], v[50:51]
	v_fmac_f64_e32 v[56:57], v[60:61], v[62:63]
	v_add_f64 v[48:49], v[48:49], v[56:57]
	s_waitcnt lgkmcnt(0)
	s_barrier
	ds_write_b128 v44, v[46:49]
	s_waitcnt lgkmcnt(0)
	s_barrier
	s_and_saveexec_b64 s[6:7], s[4:5]
	s_cbranch_execz .LBB123_94
; %bb.93:
	ds_read_b128 v[46:49], v43
	ds_read_b128 v[50:53], v43 offset:16
	ds_read_b128 v[54:57], v43 offset:32
	;; [unrolled: 1-line block ×3, first 2 shown]
	s_waitcnt lgkmcnt(3)
	v_add_f64 v[0:1], v[0:1], v[46:47]
	v_add_f64 v[2:3], v[2:3], v[48:49]
	s_waitcnt lgkmcnt(2)
	v_add_f64 v[0:1], v[0:1], v[50:51]
	v_add_f64 v[46:47], v[2:3], v[52:53]
	s_waitcnt lgkmcnt(1)
	v_add_f64 v[48:49], v[0:1], v[54:55]
	ds_read_b128 v[0:3], v43 offset:64
	v_add_f64 v[46:47], v[46:47], v[56:57]
	s_waitcnt lgkmcnt(1)
	v_add_f64 v[50:51], v[48:49], v[58:59]
	v_add_f64 v[54:55], v[46:47], v[60:61]
	ds_read_b128 v[46:49], v43 offset:80
	s_waitcnt lgkmcnt(1)
	v_add_f64 v[56:57], v[50:51], v[0:1]
	ds_read_b128 v[50:53], v43 offset:96
	v_add_f64 v[54:55], v[54:55], v[2:3]
	ds_read_b128 v[0:3], v43 offset:112
	s_waitcnt lgkmcnt(2)
	v_add_f64 v[46:47], v[56:57], v[46:47]
	v_add_f64 v[48:49], v[54:55], v[48:49]
	s_waitcnt lgkmcnt(1)
	v_add_f64 v[46:47], v[46:47], v[50:51]
	v_add_f64 v[48:49], v[48:49], v[52:53]
	;; [unrolled: 3-line block ×3, first 2 shown]
.LBB123_94:
	s_or_b64 exec, exec, s[6:7]
	v_mul_f64 v[46:47], v[30:31], v[34:35]
	v_fma_f64 v[46:47], v[28:29], v[32:33], -v[46:47]
	v_mul_f64 v[28:29], v[28:29], v[34:35]
	v_fmac_f64_e32 v[28:29], v[30:31], v[32:33]
	v_mul_f64 v[32:33], v[18:19], v[26:27]
	v_fma_f64 v[32:33], v[16:17], v[24:25], -v[32:33]
	v_mul_f64 v[16:17], v[16:17], v[26:27]
	v_fmac_f64_e32 v[16:17], v[18:19], v[24:25]
	v_mul_f64 v[24:25], v[10:11], v[22:23]
	v_add_f64 v[28:29], v[28:29], 0
	v_fma_f64 v[24:25], v[8:9], v[20:21], -v[24:25]
	v_mul_f64 v[8:9], v[8:9], v[22:23]
	v_add_f64 v[30:31], v[46:47], 0
	v_add_f64 v[16:17], v[28:29], v[16:17]
	v_fmac_f64_e32 v[8:9], v[10:11], v[20:21]
	v_add_f64 v[18:19], v[30:31], v[32:33]
	v_add_f64 v[8:9], v[16:17], v[8:9]
	v_mul_f64 v[16:17], v[6:7], v[14:15]
	v_mul_f64 v[14:15], v[4:5], v[14:15]
	v_add_f64 v[10:11], v[18:19], v[24:25]
	v_fma_f64 v[16:17], v[4:5], v[12:13], -v[16:17]
	v_fmac_f64_e32 v[14:15], v[6:7], v[12:13]
	v_add_f64 v[4:5], v[10:11], v[16:17]
	v_add_f64 v[6:7], v[8:9], v[14:15]
	s_barrier
	ds_write_b128 v44, v[4:7]
	s_waitcnt lgkmcnt(0)
	s_barrier
	s_and_saveexec_b64 s[4:5], s[0:1]
	s_cbranch_execz .LBB123_96
; %bb.95:
	ds_read_b128 v[4:7], v43
	ds_read_b128 v[8:11], v43 offset:16
	ds_read_b128 v[12:15], v43 offset:32
	;; [unrolled: 1-line block ×3, first 2 shown]
	s_waitcnt lgkmcnt(3)
	v_add_f64 v[0:1], v[0:1], v[4:5]
	v_add_f64 v[2:3], v[2:3], v[6:7]
	s_waitcnt lgkmcnt(2)
	v_add_f64 v[0:1], v[0:1], v[8:9]
	v_add_f64 v[4:5], v[2:3], v[10:11]
	s_waitcnt lgkmcnt(1)
	v_add_f64 v[6:7], v[0:1], v[12:13]
	ds_read_b128 v[0:3], v43 offset:64
	v_add_f64 v[4:5], v[4:5], v[14:15]
	s_waitcnt lgkmcnt(1)
	v_add_f64 v[8:9], v[6:7], v[16:17]
	v_add_f64 v[12:13], v[4:5], v[18:19]
	ds_read_b128 v[4:7], v43 offset:80
	s_waitcnt lgkmcnt(1)
	v_add_f64 v[14:15], v[8:9], v[0:1]
	ds_read_b128 v[8:11], v43 offset:96
	v_add_f64 v[12:13], v[12:13], v[2:3]
	ds_read_b128 v[0:3], v43 offset:112
	s_waitcnt lgkmcnt(2)
	v_add_f64 v[4:5], v[14:15], v[4:5]
	v_add_f64 v[6:7], v[12:13], v[6:7]
	s_waitcnt lgkmcnt(1)
	v_add_f64 v[4:5], v[4:5], v[8:9]
	v_add_f64 v[6:7], v[6:7], v[10:11]
	;; [unrolled: 3-line block ×3, first 2 shown]
.LBB123_96:
	s_or_b64 exec, exec, s[4:5]
	s_mul_hi_u32 s0, s34, s3
	s_mul_i32 s35, s35, s3
	s_add_i32 s0, s0, s35
	s_mul_i32 s3, s34, s3
	s_mul_i32 s0, s0, s30
	s_mul_hi_u32 s1, s3, s30
	s_add_i32 s1, s1, s0
	s_mul_i32 s0, s3, s30
	s_lshl_b64 s[0:1], s[0:1], 4
	s_add_u32 s3, s18, s0
	s_addc_u32 s4, s19, s1
	s_mul_hi_i32 s1, s34, s2
	s_mul_i32 s0, s34, s2
	s_lshl_b64 s[0:1], s[0:1], 4
	s_add_u32 s6, s3, s0
	s_addc_u32 s7, s4, s1
	s_add_i32 s8, s2, 1
	s_cmp_ge_u32 s8, s30
	v_lshlrev_b32_e32 v167, 4, v166
	s_barrier
	s_cbranch_scc1 .LBB123_154
; %bb.97:
	s_mul_i32 s0, s33, s24
	v_lshrrev_b32_e32 v6, 4, v42
	v_mov_b32_e32 v8, 0x4300
	s_ashr_i32 s1, s0, 31
	v_lshl_add_u32 v216, v165, 6, v8
	v_lshlrev_b32_e32 v8, 6, v6
	v_mul_i32_i24_e32 v26, 0xffffffd0, v6
	v_and_b32_e32 v6, 48, v166
	s_lshl_b64 s[0:1], s[0:1], 4
	v_and_b32_e32 v7, 15, v166
	s_movk_i32 s4, 0x430
	v_lshlrev_b32_e32 v6, 4, v6
	v_lshlrev_b32_e32 v214, 2, v165
	v_mov_b32_e32 v4, s1
	v_subrev_co_u32_e32 v168, vcc, s0, v36
	v_mad_u32_u24 v220, v7, s4, v6
	v_or_b32_e32 v6, 0xf0, v167
	v_subb_co_u32_e32 v169, vcc, v37, v4, vcc
	v_mad_u64_u32 v[4:5], s[0:1], s22, v214, v[166:167]
	v_mad_u32_u24 v219, v7, s4, v8
	v_mad_u32_u24 v221, v7, s4, v6
	v_lshlrev_b64 v[6:7], 4, v[38:39]
	v_ashrrev_i32_e32 v5, 31, v4
	v_sub_co_u32_e32 v170, vcc, 0, v6
	s_lshl_b32 s14, s22, 4
	s_mul_i32 s18, s22, 3
	v_subb_co_u32_e32 v171, vcc, 0, v7, vcc
	v_lshlrev_b64 v[6:7], 4, v[4:5]
	v_lshl_add_u64 v[4:5], s[26:27], 0, v[4:5]
	s_lshl_b32 s17, s33, 6
	s_ashr_i32 s15, s14, 31
	s_ashr_i32 s23, s22, 31
	s_lshl_b32 s24, s22, 1
	s_ashr_i32 s19, s18, 31
	s_mul_i32 s33, s33, s8
	v_lshlrev_b64 v[4:5], 4, v[4:5]
	s_add_i32 s3, s30, -2
	s_ashr_i32 s25, s24, 31
	s_lshl_b64 s[4:5], s[22:23], 4
	s_lshl_b32 s8, s33, 6
	s_lshl_b64 s[28:29], s[26:27], 4
	s_lshl_b64 s[10:11], s[14:15], 6
	s_mul_i32 s9, s22, 0x300
	v_mad_i64_i32 v[10:11], s[26:27], s14, 48, v[4:5]
	s_lshl_b64 s[18:19], s[18:19], 4
	s_lshl_b64 s[22:23], s[22:23], 5
	s_add_u32 s26, s22, s28
	s_addc_u32 s27, s23, s29
	s_mul_hi_i32 s33, s14, 48
	s_add_u32 s22, s9, s22
	s_addc_u32 s23, s33, s23
	v_lshl_add_u64 v[4:5], s[22:23], 0, v[4:5]
	s_add_u32 s22, s4, s28
	s_addc_u32 s23, s5, s29
	s_lshl_b64 s[24:25], s[24:25], 4
	s_add_u32 s34, s28, s24
	v_lshl_add_u64 v[14:15], v[10:11], 0, s[24:25]
	s_addc_u32 s35, s29, s25
	v_lshl_add_u64 v[176:177], v[40:41], 0, v[14:15]
	v_lshl_add_u64 v[14:15], s[34:35], 0, v[6:7]
	s_add_u32 s34, s28, s18
	v_lshl_add_u64 v[16:17], v[10:11], 0, s[4:5]
	s_addc_u32 s35, s29, s19
	v_lshl_add_u64 v[178:179], v[40:41], 0, v[16:17]
	v_lshl_add_u64 v[16:17], s[34:35], 0, v[6:7]
	s_lshl_b64 s[34:35], s[14:15], 4
	s_add_u32 s36, s28, s34
	s_addc_u32 s37, s29, s35
	s_lshl_b64 s[14:15], s[14:15], 5
	v_lshl_add_u64 v[8:9], s[28:29], 0, v[6:7]
	s_add_u32 s28, s14, s28
	s_addc_u32 s29, s15, s29
	v_lshl_add_u64 v[12:13], v[10:11], 0, s[18:19]
	s_add_u32 s38, s28, s18
	v_lshl_add_u64 v[172:173], v[40:41], 0, v[12:13]
	v_lshl_add_u64 v[12:13], s[26:27], 0, v[6:7]
	s_addc_u32 s39, s29, s19
	v_lshl_add_u64 v[174:175], v[40:41], 0, v[12:13]
	v_lshl_add_u64 v[12:13], s[22:23], 0, v[6:7]
	s_add_u32 s22, s22, s34
	s_addc_u32 s23, s23, s35
	s_add_u32 s14, s26, s14
	s_addc_u32 s15, s27, s15
	v_lshl_add_u64 v[20:21], s[14:15], 0, v[6:7]
	s_add_u32 s14, s36, s24
	s_addc_u32 s15, s37, s25
	v_lshl_add_u64 v[22:23], s[14:15], 0, v[6:7]
	;; [unrolled: 3-line block ×3, first 2 shown]
	s_add_u32 s14, s26, s34
	s_addc_u32 s15, s27, s35
	s_add_u32 s4, s28, s4
	v_lshl_add_u64 v[184:185], v[40:41], 0, v[24:25]
	v_lshl_add_u64 v[24:25], s[14:15], 0, v[6:7]
	s_addc_u32 s5, s29, s5
	v_lshl_add_u64 v[186:187], v[40:41], 0, v[24:25]
	v_lshl_add_u64 v[24:25], s[4:5], 0, v[6:7]
	s_add_u32 s4, s36, s18
	v_lshl_add_u64 v[18:19], s[38:39], 0, v[6:7]
	s_addc_u32 s5, s37, s19
	v_lshl_add_u64 v[180:181], v[40:41], 0, v[10:11]
	v_lshl_add_u64 v[10:11], s[36:37], 0, v[6:7]
	;; [unrolled: 1-line block ×7, first 2 shown]
	s_movk_i32 s0, 0x10c0
	v_lshl_add_u64 v[8:9], v[40:41], 0, v[8:9]
	v_lshl_add_u64 v[4:5], v[40:41], 0, v[4:5]
	v_lshl_add_u64 v[12:13], v[40:41], 0, v[12:13]
	v_lshl_add_u64 v[14:15], v[40:41], 0, v[14:15]
	v_lshl_add_u64 v[16:17], v[40:41], 0, v[16:17]
	v_lshl_add_u64 v[10:11], v[40:41], 0, v[10:11]
	v_lshl_add_u64 v[18:19], v[40:41], 0, v[18:19]
	v_lshl_add_u64 v[20:21], v[40:41], 0, v[20:21]
	v_lshl_add_u64 v[22:23], v[40:41], 0, v[22:23]
	v_lshl_add_u64 v[24:25], v[40:41], 0, v[24:25]
	v_lshl_add_u64 v[6:7], v[40:41], 0, v[6:7]
	v_mov_b32_e32 v238, 0
	v_add_u32_e32 v215, 0x4300, v167
	v_add_u32_e32 v217, 0x4700, v167
	v_mad_u32_u24 v218, v165, s0, v167
	v_cmp_gt_u32_e64 s[0:1], 64, v42
	v_or_b32_e32 v222, 1, v214
	v_or_b32_e32 v223, 2, v214
	;; [unrolled: 1-line block ×3, first 2 shown]
	v_add_u32_e32 v225, 16, v214
	v_add_u32_e32 v226, 17, v214
	;; [unrolled: 1-line block ×6, first 2 shown]
	v_lshl_add_u64 v[190:191], v[8:9], 0, 8
	v_lshl_add_u64 v[192:193], v[4:5], 0, 8
	;; [unrolled: 1-line block ×11, first 2 shown]
	v_add_u32_e32 v231, v219, v26
	v_mov_b32_e32 v239, v238
	v_mov_b32_e32 v240, v238
	;; [unrolled: 1-line block ×3, first 2 shown]
	v_add_u32_e32 v232, 34, v214
	v_add_u32_e32 v233, 35, v214
	;; [unrolled: 1-line block ×7, first 2 shown]
	s_cmp_eq_u32 s3, s2
	s_cselect_b32 s24, s31, 0
	s_and_saveexec_b64 s[4:5], s[12:13]
	s_cbranch_execz .LBB123_102
.LBB123_98:
	s_cmp_lg_u32 s24, 0
	s_cselect_b64 s[14:15], -1, 0
	v_cmp_le_i32_e32 vcc, s24, v166
	s_and_b64 s[14:15], s[14:15], vcc
	s_and_saveexec_b64 s[18:19], s[14:15]
	s_xor_b64 s[14:15], exec, s[18:19]
; %bb.99:
	ds_write_b128 v215, v[238:241]
; %bb.100:
	s_andn2_saveexec_b64 s[14:15], s[14:15]
	s_cbranch_execz .LBB123_102
; %bb.101:
	s_ashr_i32 s9, s8, 31
	v_lshl_add_u64 v[4:5], s[8:9], 4, v[168:169]
	global_load_dwordx4 v[4:7], v[4:5], off
	s_waitcnt vmcnt(0)
	ds_write2_b64 v215, v[4:5], v[6:7] offset1:1
.LBB123_102:                            ; =>This Inner Loop Header: Depth=1
	s_or_b64 exec, exec, s[4:5]
	s_cmp_eq_u32 s24, 0
	s_cselect_b64 s[14:15], -1, 0
	s_cmp_lg_u32 s24, 0
	s_cselect_b64 s[18:19], -1, 0
	v_lshl_add_u64 v[16:17], v[190:191], 0, v[170:171]
	s_and_b64 vcc, exec, s[18:19]
	s_waitcnt lgkmcnt(0)
	s_barrier
	s_cbranch_vccz .LBB123_110
; %bb.103:                              ;   in Loop: Header=BB123_102 Depth=1
	v_cmp_gt_i32_e32 vcc, s24, v214
	v_mov_b64_e32 v[8:9], 0
	v_mov_b64_e32 v[4:5], 0
	;; [unrolled: 1-line block ×3, first 2 shown]
	s_and_saveexec_b64 s[4:5], vcc
	s_cbranch_execz .LBB123_105
; %bb.104:                              ;   in Loop: Header=BB123_102 Depth=1
	global_load_dwordx4 v[4:7], v[16:17], off offset:-8
.LBB123_105:                            ;   in Loop: Header=BB123_102 Depth=1
	s_or_b64 exec, exec, s[4:5]
	v_cmp_gt_i32_e32 vcc, s24, v222
	v_mov_b64_e32 v[10:11], 0
	s_and_saveexec_b64 s[4:5], vcc
	s_cbranch_execz .LBB123_107
; %bb.106:                              ;   in Loop: Header=BB123_102 Depth=1
	v_lshl_add_u64 v[8:9], v[194:195], 0, v[170:171]
	global_load_dwordx4 v[8:11], v[8:9], off offset:-8
.LBB123_107:                            ;   in Loop: Header=BB123_102 Depth=1
	s_or_b64 exec, exec, s[4:5]
	v_cmp_gt_i32_e32 vcc, s24, v223
	v_mov_b64_e32 v[12:13], 0
	v_mov_b64_e32 v[14:15], 0
	s_and_saveexec_b64 s[4:5], vcc
	s_cbranch_execz .LBB123_109
; %bb.108:                              ;   in Loop: Header=BB123_102 Depth=1
	v_lshl_add_u64 v[12:13], v[196:197], 0, v[170:171]
	global_load_dwordx4 v[12:15], v[12:13], off offset:-8
.LBB123_109:                            ;   in Loop: Header=BB123_102 Depth=1
	s_or_b64 exec, exec, s[4:5]
	v_cmp_gt_i32_e64 s[4:5], s24, v224
	s_branch .LBB123_112
.LBB123_110:                            ;   in Loop: Header=BB123_102 Depth=1
	s_mov_b64 s[4:5], 0
                                        ; implicit-def: $vgpr14_vgpr15
                                        ; implicit-def: $vgpr10_vgpr11
                                        ; implicit-def: $vgpr6_vgpr7
	s_cbranch_execz .LBB123_112
; %bb.111:                              ;   in Loop: Header=BB123_102 Depth=1
	s_waitcnt vmcnt(0)
	v_lshl_add_u64 v[8:9], v[194:195], 0, v[170:171]
	v_lshl_add_u64 v[12:13], v[174:175], 0, v[170:171]
	global_load_dwordx4 v[4:7], v[16:17], off offset:-8
	s_or_b64 s[4:5], s[4:5], exec
	global_load_dwordx4 v[8:11], v[8:9], off offset:-8
	s_nop 0
	global_load_dwordx4 v[12:15], v[12:13], off
.LBB123_112:                            ;   in Loop: Header=BB123_102 Depth=1
	v_mov_b64_e32 v[16:17], 0
	v_mov_b64_e32 v[18:19], 0
	s_and_saveexec_b64 s[22:23], s[4:5]
	s_cbranch_execz .LBB123_114
; %bb.113:                              ;   in Loop: Header=BB123_102 Depth=1
	v_lshl_add_u64 v[16:17], v[198:199], 0, v[170:171]
	global_load_dwordx4 v[16:19], v[16:17], off offset:-8
.LBB123_114:                            ;   in Loop: Header=BB123_102 Depth=1
	s_or_b64 exec, exec, s[22:23]
	ds_read_b128 v[36:39], v217
	ds_read_b128 v[32:35], v216
	ds_read_b128 v[28:31], v216 offset:16
	ds_read_b128 v[24:27], v216 offset:32
	ds_read_b128 v[20:23], v216 offset:48
	s_waitcnt vmcnt(0) lgkmcnt(4)
	v_mul_f64 v[40:41], v[6:7], v[38:39]
	v_mul_f64 v[42:43], v[4:5], v[38:39]
	v_fma_f64 v[40:41], v[4:5], v[36:37], -v[40:41]
	v_fmac_f64_e32 v[42:43], v[6:7], v[36:37]
	ds_write_b128 v218, v[40:43]
	v_mul_f64 v[40:41], v[10:11], v[38:39]
	v_mul_f64 v[42:43], v[8:9], v[38:39]
	v_fma_f64 v[40:41], v[8:9], v[36:37], -v[40:41]
	v_fmac_f64_e32 v[42:43], v[10:11], v[36:37]
	ds_write_b128 v218, v[40:43] offset:1072
	v_mul_f64 v[40:41], v[14:15], v[38:39]
	v_mul_f64 v[42:43], v[12:13], v[38:39]
	v_fma_f64 v[40:41], v[12:13], v[36:37], -v[40:41]
	v_fmac_f64_e32 v[42:43], v[14:15], v[36:37]
	ds_write_b128 v218, v[40:43] offset:2144
	;; [unrolled: 5-line block ×3, first 2 shown]
	s_waitcnt lgkmcnt(0)
	s_barrier
	ds_read_b128 v[92:95], v219
	ds_read_b128 v[88:91], v219 offset:16
	ds_read_b128 v[84:87], v219 offset:32
	;; [unrolled: 1-line block ×3, first 2 shown]
	v_cndmask_b32_e64 v36, 0, 1, s[18:19]
	v_cmp_ne_u32_e64 s[4:5], 1, v36
	s_andn2_b64 vcc, exec, s[18:19]
	v_lshl_add_u64 v[48:49], v[200:201], 0, v[170:171]
	s_waitcnt lgkmcnt(0)
	s_barrier
	s_cbranch_vccnz .LBB123_122
; %bb.115:                              ;   in Loop: Header=BB123_102 Depth=1
	v_cmp_gt_i32_e32 vcc, s24, v225
	v_mov_b64_e32 v[40:41], 0
	v_mov_b64_e32 v[36:37], 0
	;; [unrolled: 1-line block ×3, first 2 shown]
	s_and_saveexec_b64 s[18:19], vcc
	s_cbranch_execz .LBB123_117
; %bb.116:                              ;   in Loop: Header=BB123_102 Depth=1
	global_load_dwordx4 v[36:39], v[48:49], off offset:-8
.LBB123_117:                            ;   in Loop: Header=BB123_102 Depth=1
	s_or_b64 exec, exec, s[18:19]
	v_cmp_gt_i32_e32 vcc, s24, v226
	v_mov_b64_e32 v[42:43], 0
	s_and_saveexec_b64 s[18:19], vcc
	s_cbranch_execz .LBB123_119
; %bb.118:                              ;   in Loop: Header=BB123_102 Depth=1
	v_lshl_add_u64 v[40:41], v[202:203], 0, v[170:171]
	global_load_dwordx4 v[40:43], v[40:41], off offset:-8
.LBB123_119:                            ;   in Loop: Header=BB123_102 Depth=1
	s_or_b64 exec, exec, s[18:19]
	v_cmp_gt_i32_e32 vcc, s24, v227
	v_mov_b64_e32 v[44:45], 0
	v_mov_b64_e32 v[46:47], 0
	s_and_saveexec_b64 s[18:19], vcc
	s_cbranch_execz .LBB123_121
; %bb.120:                              ;   in Loop: Header=BB123_102 Depth=1
	v_lshl_add_u64 v[44:45], v[206:207], 0, v[170:171]
	global_load_dwordx4 v[44:47], v[44:45], off offset:-8
.LBB123_121:                            ;   in Loop: Header=BB123_102 Depth=1
	s_or_b64 exec, exec, s[18:19]
	v_cmp_gt_i32_e64 s[18:19], s24, v228
	s_branch .LBB123_124
.LBB123_122:                            ;   in Loop: Header=BB123_102 Depth=1
	s_mov_b64 s[18:19], 0
                                        ; implicit-def: $vgpr46_vgpr47
                                        ; implicit-def: $vgpr42_vgpr43
                                        ; implicit-def: $vgpr38_vgpr39
	s_cbranch_execz .LBB123_124
; %bb.123:                              ;   in Loop: Header=BB123_102 Depth=1
	s_waitcnt vmcnt(0)
	v_lshl_add_u64 v[40:41], v[202:203], 0, v[170:171]
	v_lshl_add_u64 v[44:45], v[186:187], 0, v[170:171]
	global_load_dwordx4 v[36:39], v[48:49], off offset:-8
	s_or_b64 s[18:19], s[18:19], exec
	global_load_dwordx4 v[40:43], v[40:41], off offset:-8
	s_nop 0
	global_load_dwordx4 v[44:47], v[44:45], off
.LBB123_124:                            ;   in Loop: Header=BB123_102 Depth=1
	v_mov_b64_e32 v[48:49], 0
	v_mov_b64_e32 v[50:51], 0
	s_and_saveexec_b64 s[22:23], s[18:19]
	s_cbranch_execz .LBB123_126
; %bb.125:                              ;   in Loop: Header=BB123_102 Depth=1
	v_lshl_add_u64 v[48:49], v[208:209], 0, v[170:171]
	global_load_dwordx4 v[48:51], v[48:49], off offset:-8
.LBB123_126:                            ;   in Loop: Header=BB123_102 Depth=1
	s_or_b64 exec, exec, s[22:23]
	ds_read_b128 v[68:71], v217
	ds_read_b128 v[64:67], v216 offset:256
	ds_read_b128 v[60:63], v216 offset:272
	ds_read_b128 v[56:59], v216 offset:288
	ds_read_b128 v[52:55], v216 offset:304
	s_waitcnt vmcnt(0) lgkmcnt(4)
	v_mul_f64 v[72:73], v[38:39], v[70:71]
	v_mul_f64 v[74:75], v[36:37], v[70:71]
	v_fma_f64 v[72:73], v[36:37], v[68:69], -v[72:73]
	v_fmac_f64_e32 v[74:75], v[38:39], v[68:69]
	ds_write_b128 v218, v[72:75]
	v_mul_f64 v[72:73], v[42:43], v[70:71]
	v_mul_f64 v[74:75], v[40:41], v[70:71]
	v_fma_f64 v[72:73], v[40:41], v[68:69], -v[72:73]
	v_fmac_f64_e32 v[74:75], v[42:43], v[68:69]
	ds_write_b128 v218, v[72:75] offset:1072
	v_mul_f64 v[72:73], v[46:47], v[70:71]
	v_mul_f64 v[74:75], v[44:45], v[70:71]
	v_fma_f64 v[72:73], v[44:45], v[68:69], -v[72:73]
	v_fmac_f64_e32 v[74:75], v[46:47], v[68:69]
	ds_write_b128 v218, v[72:75] offset:2144
	;; [unrolled: 5-line block ×3, first 2 shown]
	s_waitcnt lgkmcnt(0)
	s_barrier
	ds_read_b128 v[144:147], v219
	ds_read_b128 v[140:143], v219 offset:16
	ds_read_b128 v[136:139], v219 offset:32
	;; [unrolled: 1-line block ×3, first 2 shown]
	s_and_b64 vcc, exec, s[4:5]
	v_lshl_add_u64 v[96:97], v[210:211], 0, v[170:171]
	s_waitcnt lgkmcnt(0)
	s_barrier
	s_cbranch_vccnz .LBB123_134
; %bb.127:                              ;   in Loop: Header=BB123_102 Depth=1
	v_cmp_gt_i32_e32 vcc, s24, v229
	v_mov_b64_e32 v[72:73], 0
	v_mov_b64_e32 v[68:69], 0
	v_mov_b64_e32 v[70:71], 0
	s_and_saveexec_b64 s[18:19], vcc
	s_cbranch_execz .LBB123_129
; %bb.128:                              ;   in Loop: Header=BB123_102 Depth=1
	global_load_dwordx4 v[68:71], v[96:97], off offset:-8
.LBB123_129:                            ;   in Loop: Header=BB123_102 Depth=1
	s_or_b64 exec, exec, s[18:19]
	v_cmp_gt_i32_e32 vcc, s24, v230
	v_mov_b64_e32 v[74:75], 0
	s_and_saveexec_b64 s[18:19], vcc
	s_cbranch_execz .LBB123_131
; %bb.130:                              ;   in Loop: Header=BB123_102 Depth=1
	v_lshl_add_u64 v[72:73], v[188:189], 0, v[170:171]
	global_load_dwordx4 v[72:75], v[72:73], off
.LBB123_131:                            ;   in Loop: Header=BB123_102 Depth=1
	s_or_b64 exec, exec, s[18:19]
	v_cmp_gt_i32_e32 vcc, s24, v232
	v_mov_b64_e32 v[76:77], 0
	v_mov_b64_e32 v[78:79], 0
	s_and_saveexec_b64 s[18:19], vcc
	s_cbranch_execz .LBB123_133
; %bb.132:                              ;   in Loop: Header=BB123_102 Depth=1
	v_lshl_add_u64 v[76:77], v[184:185], 0, v[170:171]
	global_load_dwordx4 v[76:79], v[76:77], off
.LBB123_133:                            ;   in Loop: Header=BB123_102 Depth=1
	s_or_b64 exec, exec, s[18:19]
	v_cmp_gt_i32_e64 s[18:19], s24, v233
	s_branch .LBB123_136
.LBB123_134:                            ;   in Loop: Header=BB123_102 Depth=1
	s_mov_b64 s[18:19], 0
                                        ; implicit-def: $vgpr78_vgpr79
                                        ; implicit-def: $vgpr74_vgpr75
                                        ; implicit-def: $vgpr70_vgpr71
	s_cbranch_execz .LBB123_136
; %bb.135:                              ;   in Loop: Header=BB123_102 Depth=1
	s_waitcnt vmcnt(0)
	v_lshl_add_u64 v[72:73], v[188:189], 0, v[170:171]
	v_lshl_add_u64 v[76:77], v[204:205], 0, v[170:171]
	global_load_dwordx4 v[68:71], v[96:97], off offset:-8
	s_or_b64 s[18:19], s[18:19], exec
	global_load_dwordx4 v[72:75], v[72:73], off
	s_nop 0
	global_load_dwordx4 v[76:79], v[76:77], off offset:-8
.LBB123_136:                            ;   in Loop: Header=BB123_102 Depth=1
	v_mov_b64_e32 v[96:97], 0
	v_mov_b64_e32 v[98:99], 0
	s_and_saveexec_b64 s[22:23], s[18:19]
	s_cbranch_execz .LBB123_138
; %bb.137:                              ;   in Loop: Header=BB123_102 Depth=1
	v_lshl_add_u64 v[96:97], v[182:183], 0, v[170:171]
	global_load_dwordx4 v[96:99], v[96:97], off
.LBB123_138:                            ;   in Loop: Header=BB123_102 Depth=1
	s_or_b64 exec, exec, s[22:23]
	ds_read_b128 v[116:119], v217
	ds_read_b128 v[112:115], v216 offset:512
	ds_read_b128 v[108:111], v216 offset:528
	;; [unrolled: 1-line block ×4, first 2 shown]
	s_waitcnt vmcnt(0) lgkmcnt(4)
	v_mul_f64 v[120:121], v[70:71], v[118:119]
	v_mul_f64 v[122:123], v[68:69], v[118:119]
	v_fma_f64 v[120:121], v[68:69], v[116:117], -v[120:121]
	v_fmac_f64_e32 v[122:123], v[70:71], v[116:117]
	ds_write_b128 v218, v[120:123]
	v_mul_f64 v[120:121], v[74:75], v[118:119]
	v_mul_f64 v[122:123], v[72:73], v[118:119]
	v_fma_f64 v[120:121], v[72:73], v[116:117], -v[120:121]
	v_fmac_f64_e32 v[122:123], v[74:75], v[116:117]
	ds_write_b128 v218, v[120:123] offset:1072
	v_mul_f64 v[120:121], v[78:79], v[118:119]
	v_mul_f64 v[122:123], v[76:77], v[118:119]
	v_fma_f64 v[120:121], v[76:77], v[116:117], -v[120:121]
	v_fmac_f64_e32 v[122:123], v[78:79], v[116:117]
	ds_write_b128 v218, v[120:123] offset:2144
	;; [unrolled: 5-line block ×3, first 2 shown]
	s_waitcnt lgkmcnt(0)
	s_barrier
	ds_read_b128 v[160:163], v219
	ds_read_b128 v[156:159], v219 offset:16
	ds_read_b128 v[152:155], v219 offset:32
	ds_read_b128 v[148:151], v219 offset:48
	s_and_b64 vcc, exec, s[4:5]
	v_lshl_add_u64 v[128:129], v[180:181], 0, v[170:171]
	s_waitcnt lgkmcnt(0)
	s_barrier
	s_cbranch_vccnz .LBB123_146
; %bb.139:                              ;   in Loop: Header=BB123_102 Depth=1
	v_cmp_gt_i32_e32 vcc, s24, v234
	v_mov_b64_e32 v[120:121], 0
	v_mov_b64_e32 v[116:117], 0
	;; [unrolled: 1-line block ×3, first 2 shown]
	s_and_saveexec_b64 s[4:5], vcc
	s_cbranch_execz .LBB123_141
; %bb.140:                              ;   in Loop: Header=BB123_102 Depth=1
	global_load_dwordx4 v[116:119], v[128:129], off
.LBB123_141:                            ;   in Loop: Header=BB123_102 Depth=1
	s_or_b64 exec, exec, s[4:5]
	v_cmp_gt_i32_e32 vcc, s24, v235
	v_mov_b64_e32 v[122:123], 0
	s_and_saveexec_b64 s[4:5], vcc
	s_cbranch_execz .LBB123_143
; %bb.142:                              ;   in Loop: Header=BB123_102 Depth=1
	v_lshl_add_u64 v[120:121], v[178:179], 0, v[170:171]
	global_load_dwordx4 v[120:123], v[120:121], off
.LBB123_143:                            ;   in Loop: Header=BB123_102 Depth=1
	s_or_b64 exec, exec, s[4:5]
	v_cmp_gt_i32_e32 vcc, s24, v236
	v_mov_b64_e32 v[124:125], 0
	v_mov_b64_e32 v[126:127], 0
	s_and_saveexec_b64 s[4:5], vcc
	s_cbranch_execz .LBB123_145
; %bb.144:                              ;   in Loop: Header=BB123_102 Depth=1
	v_lshl_add_u64 v[124:125], v[176:177], 0, v[170:171]
	global_load_dwordx4 v[124:127], v[124:125], off
.LBB123_145:                            ;   in Loop: Header=BB123_102 Depth=1
	s_or_b64 exec, exec, s[4:5]
	v_cmp_gt_i32_e64 s[4:5], s24, v237
	s_branch .LBB123_148
.LBB123_146:                            ;   in Loop: Header=BB123_102 Depth=1
	s_mov_b64 s[4:5], 0
                                        ; implicit-def: $vgpr126_vgpr127
                                        ; implicit-def: $vgpr122_vgpr123
                                        ; implicit-def: $vgpr118_vgpr119
	s_cbranch_execz .LBB123_148
; %bb.147:                              ;   in Loop: Header=BB123_102 Depth=1
	s_waitcnt vmcnt(0)
	v_lshl_add_u64 v[120:121], v[178:179], 0, v[170:171]
	v_lshl_add_u64 v[124:125], v[192:193], 0, v[170:171]
	global_load_dwordx4 v[116:119], v[128:129], off
	s_or_b64 s[4:5], s[4:5], exec
	global_load_dwordx4 v[120:123], v[120:121], off
	s_nop 0
	global_load_dwordx4 v[124:127], v[124:125], off offset:-8
.LBB123_148:                            ;   in Loop: Header=BB123_102 Depth=1
	v_mov_b64_e32 v[128:129], 0
	v_mov_b64_e32 v[130:131], 0
	s_and_saveexec_b64 s[18:19], s[4:5]
	s_cbranch_execz .LBB123_150
; %bb.149:                              ;   in Loop: Header=BB123_102 Depth=1
	v_lshl_add_u64 v[128:129], v[172:173], 0, v[170:171]
	global_load_dwordx4 v[128:131], v[128:129], off
.LBB123_150:                            ;   in Loop: Header=BB123_102 Depth=1
	s_or_b64 exec, exec, s[18:19]
	v_add_f64 v[160:161], v[160:161], 0
	v_add_f64 v[144:145], v[144:145], 0
	;; [unrolled: 1-line block ×19, first 2 shown]
	ds_read_b128 v[140:143], v217
	ds_read_b128 v[132:135], v216 offset:768
	ds_read_b128 v[92:95], v216 offset:784
	;; [unrolled: 1-line block ×4, first 2 shown]
	s_waitcnt vmcnt(0) lgkmcnt(4)
	v_mul_f64 v[144:145], v[118:119], v[142:143]
	v_mul_f64 v[146:147], v[116:117], v[142:143]
	v_fma_f64 v[144:145], v[116:117], v[140:141], -v[144:145]
	v_fmac_f64_e32 v[146:147], v[118:119], v[140:141]
	ds_write_b128 v218, v[144:147]
	v_mul_f64 v[144:145], v[122:123], v[142:143]
	v_mul_f64 v[146:147], v[120:121], v[142:143]
	v_fma_f64 v[144:145], v[120:121], v[140:141], -v[144:145]
	v_fmac_f64_e32 v[146:147], v[122:123], v[140:141]
	ds_write_b128 v218, v[144:147] offset:1072
	v_mul_f64 v[144:145], v[126:127], v[142:143]
	v_mul_f64 v[146:147], v[124:125], v[142:143]
	v_fma_f64 v[144:145], v[124:125], v[140:141], -v[144:145]
	v_fmac_f64_e32 v[146:147], v[126:127], v[140:141]
	ds_write_b128 v218, v[144:147] offset:2144
	v_mul_f64 v[144:145], v[130:131], v[142:143]
	v_mul_f64 v[146:147], v[128:129], v[142:143]
	v_fma_f64 v[144:145], v[128:129], v[140:141], -v[144:145]
	v_fmac_f64_e32 v[146:147], v[130:131], v[140:141]
	v_add_f64 v[162:163], v[162:163], 0
	ds_write_b128 v218, v[144:147] offset:3216
	s_waitcnt lgkmcnt(0)
	s_barrier
	ds_read_b128 v[140:143], v219
	v_add_f64 v[158:159], v[162:163], v[158:159]
	v_add_f64 v[154:155], v[158:159], v[154:155]
	;; [unrolled: 1-line block ×4, first 2 shown]
	ds_read_b128 v[144:147], v219 offset:16
	ds_read_b128 v[152:155], v219 offset:32
	;; [unrolled: 1-line block ×3, first 2 shown]
	s_waitcnt lgkmcnt(3)
	v_add_f64 v[140:141], v[140:141], 0
	v_add_f64 v[142:143], v[142:143], 0
	v_cmp_gt_i32_e32 vcc, s24, v166
	s_waitcnt lgkmcnt(2)
	v_add_f64 v[140:141], v[140:141], v[144:145]
	v_add_f64 v[142:143], v[142:143], v[146:147]
	s_or_b64 s[4:5], s[14:15], vcc
	s_waitcnt lgkmcnt(1)
	v_add_f64 v[140:141], v[140:141], v[152:153]
	v_add_f64 v[142:143], v[142:143], v[154:155]
	s_and_b64 s[14:15], s[0:1], s[4:5]
	s_waitcnt lgkmcnt(0)
	v_add_f64 v[140:141], v[140:141], v[156:157]
	v_add_f64 v[142:143], v[142:143], v[158:159]
	s_barrier
	ds_write_b128 v231, v[80:83]
	ds_write_b128 v231, v[136:139] offset:256
	ds_write_b128 v231, v[148:151] offset:512
	;; [unrolled: 1-line block ×3, first 2 shown]
	s_waitcnt lgkmcnt(0)
	s_barrier
	s_and_saveexec_b64 s[4:5], s[14:15]
	s_cbranch_execz .LBB123_152
; %bb.151:                              ;   in Loop: Header=BB123_102 Depth=1
	ds_read_b128 v[80:83], v220
	ds_read_b128 v[136:139], v220 offset:16
	ds_read_b128 v[140:143], v220 offset:32
	;; [unrolled: 1-line block ×3, first 2 shown]
	v_ashrrev_i32_e32 v213, 31, v212
	s_waitcnt lgkmcnt(2)
	v_add_f64 v[80:81], v[136:137], v[80:81]
	v_add_f64 v[136:137], v[138:139], v[82:83]
	s_waitcnt lgkmcnt(1)
	v_add_f64 v[138:139], v[80:81], v[140:141]
	ds_read_b128 v[80:83], v220 offset:64
	v_add_f64 v[140:141], v[136:137], v[142:143]
	s_waitcnt lgkmcnt(1)
	v_add_f64 v[142:143], v[138:139], v[144:145]
	ds_read_b128 v[136:139], v220 offset:80
	;; [unrolled: 4-line block ×9, first 2 shown]
	v_add_f64 v[82:83], v[144:145], v[82:83]
	s_waitcnt lgkmcnt(1)
	v_add_f64 v[136:137], v[80:81], v[136:137]
	v_add_f64 v[144:145], v[82:83], v[138:139]
	ds_read_b128 v[80:83], v220 offset:208
	s_waitcnt lgkmcnt(1)
	v_add_f64 v[146:147], v[136:137], v[140:141]
	ds_read_b128 v[136:139], v220 offset:224
	v_add_f64 v[144:145], v[144:145], v[142:143]
	ds_read_b128 v[140:143], v221
	s_waitcnt lgkmcnt(2)
	v_add_f64 v[80:81], v[146:147], v[80:81]
	v_add_f64 v[82:83], v[144:145], v[82:83]
	s_waitcnt lgkmcnt(1)
	v_add_f64 v[80:81], v[80:81], v[136:137]
	v_add_f64 v[82:83], v[82:83], v[138:139]
	;; [unrolled: 3-line block ×3, first 2 shown]
	v_lshl_add_u64 v[136:137], v[212:213], 4, s[6:7]
	global_store_dwordx4 v[136:137], v[80:83], off
.LBB123_152:                            ;   in Loop: Header=BB123_102 Depth=1
	s_or_b64 exec, exec, s[4:5]
	s_nop 0
	v_mul_f64 v[80:81], v[6:7], v[34:35]
	v_fma_f64 v[80:81], v[4:5], v[32:33], -v[80:81]
	v_mul_f64 v[4:5], v[4:5], v[34:35]
	v_mul_f64 v[34:35], v[10:11], v[30:31]
	v_add_f64 v[0:1], v[0:1], v[80:81]
	v_fma_f64 v[34:35], v[8:9], v[28:29], -v[34:35]
	v_mul_f64 v[8:9], v[8:9], v[30:31]
	v_mul_f64 v[30:31], v[14:15], v[26:27]
	v_add_f64 v[0:1], v[0:1], v[34:35]
	v_fma_f64 v[30:31], v[12:13], v[24:25], -v[30:31]
	v_mul_f64 v[12:13], v[12:13], v[26:27]
	v_mul_f64 v[26:27], v[18:19], v[22:23]
	v_fmac_f64_e32 v[4:5], v[6:7], v[32:33]
	v_add_f64 v[0:1], v[0:1], v[30:31]
	v_fma_f64 v[26:27], v[16:17], v[20:21], -v[26:27]
	v_add_f64 v[2:3], v[2:3], v[4:5]
	v_mul_f64 v[4:5], v[38:39], v[66:67]
	v_add_f64 v[0:1], v[0:1], v[26:27]
	v_fma_f64 v[4:5], v[36:37], v[64:65], -v[4:5]
	v_add_f64 v[0:1], v[0:1], v[4:5]
	v_mul_f64 v[4:5], v[42:43], v[62:63]
	v_fma_f64 v[4:5], v[40:41], v[60:61], -v[4:5]
	v_add_f64 v[0:1], v[0:1], v[4:5]
	v_mul_f64 v[4:5], v[46:47], v[58:59]
	;; [unrolled: 3-line block ×4, first 2 shown]
	v_fmac_f64_e32 v[8:9], v[10:11], v[28:29]
	v_fma_f64 v[4:5], v[68:69], v[112:113], -v[4:5]
	v_mul_f64 v[16:17], v[16:17], v[22:23]
	v_add_f64 v[2:3], v[2:3], v[8:9]
	v_fmac_f64_e32 v[12:13], v[14:15], v[24:25]
	v_add_f64 v[0:1], v[0:1], v[4:5]
	v_mul_f64 v[4:5], v[74:75], v[110:111]
	v_add_f64 v[2:3], v[2:3], v[12:13]
	v_fmac_f64_e32 v[16:17], v[18:19], v[20:21]
	v_mul_f64 v[6:7], v[36:37], v[66:67]
	v_fma_f64 v[4:5], v[72:73], v[108:109], -v[4:5]
	v_add_f64 v[2:3], v[2:3], v[16:17]
	v_mul_f64 v[8:9], v[40:41], v[62:63]
	v_fmac_f64_e32 v[6:7], v[38:39], v[64:65]
	v_add_f64 v[0:1], v[0:1], v[4:5]
	v_mul_f64 v[4:5], v[78:79], v[106:107]
	v_mul_f64 v[10:11], v[44:45], v[58:59]
	v_add_f64 v[2:3], v[2:3], v[6:7]
	v_fmac_f64_e32 v[8:9], v[42:43], v[60:61]
	v_fma_f64 v[4:5], v[76:77], v[104:105], -v[4:5]
	v_mul_f64 v[12:13], v[48:49], v[54:55]
	v_add_f64 v[2:3], v[2:3], v[8:9]
	v_fmac_f64_e32 v[10:11], v[46:47], v[56:57]
	v_add_f64 v[0:1], v[0:1], v[4:5]
	v_mul_f64 v[4:5], v[98:99], v[102:103]
	v_add_f64 v[2:3], v[2:3], v[10:11]
	v_fmac_f64_e32 v[12:13], v[50:51], v[52:53]
	v_mul_f64 v[6:7], v[68:69], v[114:115]
	v_fma_f64 v[4:5], v[96:97], v[100:101], -v[4:5]
	v_add_f64 v[2:3], v[2:3], v[12:13]
	v_mul_f64 v[8:9], v[72:73], v[110:111]
	v_add_f64 v[0:1], v[0:1], v[4:5]
	v_fmac_f64_e32 v[6:7], v[70:71], v[112:113]
	v_mul_f64 v[4:5], v[118:119], v[134:135]
	v_mul_f64 v[10:11], v[76:77], v[106:107]
	v_add_f64 v[2:3], v[2:3], v[6:7]
	v_fmac_f64_e32 v[8:9], v[74:75], v[108:109]
	v_fma_f64 v[4:5], v[116:117], v[132:133], -v[4:5]
	v_mul_f64 v[12:13], v[96:97], v[102:103]
	v_add_f64 v[2:3], v[2:3], v[8:9]
	v_fmac_f64_e32 v[10:11], v[78:79], v[104:105]
	v_add_f64 v[0:1], v[0:1], v[4:5]
	v_mul_f64 v[4:5], v[122:123], v[94:95]
	v_add_f64 v[2:3], v[2:3], v[10:11]
	v_fmac_f64_e32 v[12:13], v[98:99], v[100:101]
	v_mul_f64 v[6:7], v[116:117], v[134:135]
	v_fma_f64 v[4:5], v[120:121], v[92:93], -v[4:5]
	v_add_f64 v[2:3], v[2:3], v[12:13]
	v_mul_f64 v[8:9], v[120:121], v[94:95]
	v_add_f64 v[0:1], v[0:1], v[4:5]
	v_mul_f64 v[4:5], v[126:127], v[90:91]
	v_fmac_f64_e32 v[6:7], v[118:119], v[132:133]
	v_fma_f64 v[4:5], v[124:125], v[88:89], -v[4:5]
	v_mul_f64 v[10:11], v[124:125], v[90:91]
	v_fmac_f64_e32 v[8:9], v[122:123], v[92:93]
	v_add_f64 v[2:3], v[2:3], v[6:7]
	v_add_f64 v[0:1], v[0:1], v[4:5]
	v_mul_f64 v[4:5], v[130:131], v[86:87]
	v_mul_f64 v[12:13], v[128:129], v[86:87]
	v_fmac_f64_e32 v[10:11], v[126:127], v[88:89]
	v_add_f64 v[2:3], v[2:3], v[8:9]
	v_fma_f64 v[4:5], v[128:129], v[84:85], -v[4:5]
	v_fmac_f64_e32 v[12:13], v[130:131], v[84:85]
	v_add_f64 v[2:3], v[2:3], v[10:11]
	s_add_i32 s4, s2, 1
	s_add_i32 s8, s8, s17
	;; [unrolled: 1-line block ×3, first 2 shown]
	v_add_f64 v[0:1], v[0:1], v[4:5]
	v_add_f64 v[2:3], v[2:3], v[12:13]
	v_add_u32_e32 v212, 64, v212
	v_lshl_add_u64 v[190:191], v[190:191], 0, s[10:11]
	v_lshl_add_u64 v[172:173], v[172:173], 0, s[10:11]
	;; [unrolled: 1-line block ×19, first 2 shown]
	s_cmp_ge_u32 s2, s30
	v_lshl_add_u64 v[210:211], v[210:211], 0, s[10:11]
	s_barrier
	s_cbranch_scc1 .LBB123_154
; %bb.153:                              ;   in Loop: Header=BB123_102 Depth=1
	s_mov_b32 s2, s4
	s_cmp_eq_u32 s3, s2
	s_cselect_b32 s24, s31, 0
	s_and_saveexec_b64 s[4:5], s[12:13]
	s_cbranch_execnz .LBB123_98
	s_branch .LBB123_102
.LBB123_154:
	s_movk_i32 s0, 0x430
	v_cmp_gt_i32_e32 vcc, s16, v166
	v_mad_u32_u24 v4, v165, s0, v167
	s_or_b64 s[0:1], s[20:21], vcc
	s_and_b64 s[0:1], s[12:13], s[0:1]
	ds_write_b128 v4, v[0:3]
	s_waitcnt lgkmcnt(0)
	s_barrier
	s_and_saveexec_b64 s[2:3], s[0:1]
	s_cbranch_execz .LBB123_156
; %bb.155:
	ds_read_b128 v[0:3], v167 offset:1072
	ds_read_b128 v[4:7], v167
	ds_read_b128 v[8:11], v167 offset:2144
	ds_read_b128 v[12:15], v167 offset:3216
	v_ashrrev_i32_e32 v165, 31, v164
	s_waitcnt lgkmcnt(2)
	v_add_f64 v[0:1], v[0:1], v[4:5]
	v_add_f64 v[2:3], v[2:3], v[6:7]
	s_waitcnt lgkmcnt(1)
	v_add_f64 v[0:1], v[0:1], v[8:9]
	v_add_f64 v[2:3], v[2:3], v[10:11]
	;; [unrolled: 3-line block ×3, first 2 shown]
	v_lshl_add_u64 v[4:5], v[164:165], 4, s[6:7]
	global_store_dwordx4 v[4:5], v[0:3], off
.LBB123_156:
	s_endpgm
	.section	.rodata,"a",@progbits
	.p2align	6, 0x0
	.amdhsa_kernel _ZL26rocblas_hemvn_kernel_upperILb0ELi64ELi4ELi33ELi32ELi16EiPK19rocblas_complex_numIdES3_PS1_EviT6_lT7_lT5_lS6_lS7_lS5_lT8_i
		.amdhsa_group_segment_fixed_size 19200
		.amdhsa_private_segment_fixed_size 0
		.amdhsa_kernarg_size 376
		.amdhsa_user_sgpr_count 2
		.amdhsa_user_sgpr_dispatch_ptr 0
		.amdhsa_user_sgpr_queue_ptr 0
		.amdhsa_user_sgpr_kernarg_segment_ptr 1
		.amdhsa_user_sgpr_dispatch_id 0
		.amdhsa_user_sgpr_kernarg_preload_length 0
		.amdhsa_user_sgpr_kernarg_preload_offset 0
		.amdhsa_user_sgpr_private_segment_size 0
		.amdhsa_uses_dynamic_stack 0
		.amdhsa_enable_private_segment 0
		.amdhsa_system_sgpr_workgroup_id_x 1
		.amdhsa_system_sgpr_workgroup_id_y 0
		.amdhsa_system_sgpr_workgroup_id_z 1
		.amdhsa_system_sgpr_workgroup_info 0
		.amdhsa_system_vgpr_workitem_id 1
		.amdhsa_next_free_vgpr 242
		.amdhsa_next_free_sgpr 40
		.amdhsa_accum_offset 244
		.amdhsa_reserve_vcc 1
		.amdhsa_float_round_mode_32 0
		.amdhsa_float_round_mode_16_64 0
		.amdhsa_float_denorm_mode_32 3
		.amdhsa_float_denorm_mode_16_64 3
		.amdhsa_dx10_clamp 1
		.amdhsa_ieee_mode 1
		.amdhsa_fp16_overflow 0
		.amdhsa_tg_split 0
		.amdhsa_exception_fp_ieee_invalid_op 0
		.amdhsa_exception_fp_denorm_src 0
		.amdhsa_exception_fp_ieee_div_zero 0
		.amdhsa_exception_fp_ieee_overflow 0
		.amdhsa_exception_fp_ieee_underflow 0
		.amdhsa_exception_fp_ieee_inexact 0
		.amdhsa_exception_int_div_zero 0
	.end_amdhsa_kernel
	.section	.text._ZL26rocblas_hemvn_kernel_upperILb0ELi64ELi4ELi33ELi32ELi16EiPK19rocblas_complex_numIdES3_PS1_EviT6_lT7_lT5_lS6_lS7_lS5_lT8_i,"axG",@progbits,_ZL26rocblas_hemvn_kernel_upperILb0ELi64ELi4ELi33ELi32ELi16EiPK19rocblas_complex_numIdES3_PS1_EviT6_lT7_lT5_lS6_lS7_lS5_lT8_i,comdat
.Lfunc_end123:
	.size	_ZL26rocblas_hemvn_kernel_upperILb0ELi64ELi4ELi33ELi32ELi16EiPK19rocblas_complex_numIdES3_PS1_EviT6_lT7_lT5_lS6_lS7_lS5_lT8_i, .Lfunc_end123-_ZL26rocblas_hemvn_kernel_upperILb0ELi64ELi4ELi33ELi32ELi16EiPK19rocblas_complex_numIdES3_PS1_EviT6_lT7_lT5_lS6_lS7_lS5_lT8_i
                                        ; -- End function
	.set _ZL26rocblas_hemvn_kernel_upperILb0ELi64ELi4ELi33ELi32ELi16EiPK19rocblas_complex_numIdES3_PS1_EviT6_lT7_lT5_lS6_lS7_lS5_lT8_i.num_vgpr, 242
	.set _ZL26rocblas_hemvn_kernel_upperILb0ELi64ELi4ELi33ELi32ELi16EiPK19rocblas_complex_numIdES3_PS1_EviT6_lT7_lT5_lS6_lS7_lS5_lT8_i.num_agpr, 0
	.set _ZL26rocblas_hemvn_kernel_upperILb0ELi64ELi4ELi33ELi32ELi16EiPK19rocblas_complex_numIdES3_PS1_EviT6_lT7_lT5_lS6_lS7_lS5_lT8_i.numbered_sgpr, 40
	.set _ZL26rocblas_hemvn_kernel_upperILb0ELi64ELi4ELi33ELi32ELi16EiPK19rocblas_complex_numIdES3_PS1_EviT6_lT7_lT5_lS6_lS7_lS5_lT8_i.num_named_barrier, 0
	.set _ZL26rocblas_hemvn_kernel_upperILb0ELi64ELi4ELi33ELi32ELi16EiPK19rocblas_complex_numIdES3_PS1_EviT6_lT7_lT5_lS6_lS7_lS5_lT8_i.private_seg_size, 0
	.set _ZL26rocblas_hemvn_kernel_upperILb0ELi64ELi4ELi33ELi32ELi16EiPK19rocblas_complex_numIdES3_PS1_EviT6_lT7_lT5_lS6_lS7_lS5_lT8_i.uses_vcc, 1
	.set _ZL26rocblas_hemvn_kernel_upperILb0ELi64ELi4ELi33ELi32ELi16EiPK19rocblas_complex_numIdES3_PS1_EviT6_lT7_lT5_lS6_lS7_lS5_lT8_i.uses_flat_scratch, 0
	.set _ZL26rocblas_hemvn_kernel_upperILb0ELi64ELi4ELi33ELi32ELi16EiPK19rocblas_complex_numIdES3_PS1_EviT6_lT7_lT5_lS6_lS7_lS5_lT8_i.has_dyn_sized_stack, 0
	.set _ZL26rocblas_hemvn_kernel_upperILb0ELi64ELi4ELi33ELi32ELi16EiPK19rocblas_complex_numIdES3_PS1_EviT6_lT7_lT5_lS6_lS7_lS5_lT8_i.has_recursion, 0
	.set _ZL26rocblas_hemvn_kernel_upperILb0ELi64ELi4ELi33ELi32ELi16EiPK19rocblas_complex_numIdES3_PS1_EviT6_lT7_lT5_lS6_lS7_lS5_lT8_i.has_indirect_call, 0
	.section	.AMDGPU.csdata,"",@progbits
; Kernel info:
; codeLenInByte = 10284
; TotalNumSgprs: 46
; NumVgprs: 242
; NumAgprs: 0
; TotalNumVgprs: 242
; ScratchSize: 0
; MemoryBound: 1
; FloatMode: 240
; IeeeMode: 1
; LDSByteSize: 19200 bytes/workgroup (compile time only)
; SGPRBlocks: 5
; VGPRBlocks: 30
; NumSGPRsForWavesPerEU: 46
; NumVGPRsForWavesPerEU: 242
; AccumOffset: 244
; Occupancy: 2
; WaveLimiterHint : 1
; COMPUTE_PGM_RSRC2:SCRATCH_EN: 0
; COMPUTE_PGM_RSRC2:USER_SGPR: 2
; COMPUTE_PGM_RSRC2:TRAP_HANDLER: 0
; COMPUTE_PGM_RSRC2:TGID_X_EN: 1
; COMPUTE_PGM_RSRC2:TGID_Y_EN: 0
; COMPUTE_PGM_RSRC2:TGID_Z_EN: 1
; COMPUTE_PGM_RSRC2:TIDIG_COMP_CNT: 1
; COMPUTE_PGM_RSRC3_GFX90A:ACCUM_OFFSET: 60
; COMPUTE_PGM_RSRC3_GFX90A:TG_SPLIT: 0
	.section	.text._ZL26rocblas_hemvn_kernel_upperILb0ELi64ELi4ELi33ELi32ELi16El19rocblas_complex_numIdEPKS1_PS1_EviT6_lT7_lT5_lS6_lS7_lS5_lT8_i,"axG",@progbits,_ZL26rocblas_hemvn_kernel_upperILb0ELi64ELi4ELi33ELi32ELi16El19rocblas_complex_numIdEPKS1_PS1_EviT6_lT7_lT5_lS6_lS7_lS5_lT8_i,comdat
	.globl	_ZL26rocblas_hemvn_kernel_upperILb0ELi64ELi4ELi33ELi32ELi16El19rocblas_complex_numIdEPKS1_PS1_EviT6_lT7_lT5_lS6_lS7_lS5_lT8_i ; -- Begin function _ZL26rocblas_hemvn_kernel_upperILb0ELi64ELi4ELi33ELi32ELi16El19rocblas_complex_numIdEPKS1_PS1_EviT6_lT7_lT5_lS6_lS7_lS5_lT8_i
	.p2align	8
	.type	_ZL26rocblas_hemvn_kernel_upperILb0ELi64ELi4ELi33ELi32ELi16El19rocblas_complex_numIdEPKS1_PS1_EviT6_lT7_lT5_lS6_lS7_lS5_lT8_i,@function
_ZL26rocblas_hemvn_kernel_upperILb0ELi64ELi4ELi33ELi32ELi16El19rocblas_complex_numIdEPKS1_PS1_EviT6_lT7_lT5_lS6_lS7_lS5_lT8_i: ; @_ZL26rocblas_hemvn_kernel_upperILb0ELi64ELi4ELi33ELi32ELi16El19rocblas_complex_numIdEPKS1_PS1_EviT6_lT7_lT5_lS6_lS7_lS5_lT8_i
; %bb.0:
	s_load_dwordx2 s[6:7], s[0:1], 0x94
	s_add_u32 s4, s0, 0x88
	s_addc_u32 s5, s1, 0
	s_waitcnt lgkmcnt(0)
	s_lshr_b32 s8, s6, 16
	s_and_b32 s6, s6, 0xffff
	s_and_b32 s7, s7, 0xffff
	s_mul_i32 s6, s8, s6
	s_mul_i32 s6, s6, s7
	s_cmpk_lg_i32 s6, 0x100
	s_cbranch_scc1 .LBB124_156
; %bb.1:
	s_load_dwordx4 s[8:11], s[0:1], 0x8
	s_waitcnt lgkmcnt(0)
	v_cmp_neq_f64_e64 s[6:7], s[8:9], 0
	v_cmp_neq_f64_e64 s[8:9], s[10:11], 0
	s_or_b64 s[6:7], s[6:7], s[8:9]
	s_mov_b64 s[8:9], -1
	s_and_b64 vcc, exec, s[6:7]
	s_cbranch_vccnz .LBB124_3
; %bb.2:
	s_load_dwordx4 s[8:11], s[0:1], 0x60
	s_waitcnt lgkmcnt(0)
	v_cmp_neq_f64_e64 s[8:9], s[8:9], 1.0
	v_cmp_neq_f64_e64 s[10:11], s[10:11], 0
	s_or_b64 s[8:9], s[8:9], s[10:11]
.LBB124_3:
	s_andn2_b64 vcc, exec, s[8:9]
	s_cbranch_vccnz .LBB124_156
; %bb.4:
	s_andn2_b64 vcc, exec, s[6:7]
	s_cbranch_vccnz .LBB124_156
; %bb.5:
	s_load_dwordx16 s[16:31], s[0:1], 0x20
	s_load_dword s33, s[4:5], 0x0
	s_load_dword s34, s[0:1], 0x0
	v_and_b32_e32 v202, 0x3ff, v0
	v_bfe_u32 v203, v0, 10, 10
	s_waitcnt lgkmcnt(0)
	s_mul_i32 s5, s31, s3
	s_mul_hi_u32 s6, s30, s3
	s_mul_i32 s4, s30, s3
	s_add_i32 s5, s6, s5
	s_lshl_b64 s[4:5], s[4:5], 4
	s_add_u32 s6, s24, s4
	s_addc_u32 s7, s25, s5
	s_lshl_b64 s[4:5], s[26:27], 4
	s_add_u32 s4, s6, s4
	s_addc_u32 s5, s7, s5
	s_ashr_i32 s31, s34, 31
	s_lshr_b32 s7, s31, 26
	s_lshl_b32 s26, s2, 6
	s_add_i32 s7, s34, s7
	s_andn2_b32 s7, s7, 63
	v_add_u32_e32 v164, s26, v202
	s_add_i32 s6, s33, -1
	s_sub_i32 s30, s34, s7
	v_ashrrev_i32_e32 v165, 31, v164
	s_cmp_eq_u32 s2, s6
	v_mul_lo_u32 v2, s28, v165
	v_mul_lo_u32 v3, s29, v164
	v_mad_u64_u32 v[0:1], s[6:7], s28, v164, 0
	v_add3_u32 v1, v1, v2, v3
	s_cselect_b32 s24, s30, 0
	v_lshl_add_u64 v[36:37], v[0:1], 4, s[4:5]
	v_cmp_eq_u32_e64 s[4:5], 0, v203
	s_and_saveexec_b64 s[6:7], s[4:5]
	s_cbranch_execz .LBB124_10
; %bb.6:
	s_cmp_lg_u32 s24, 0
	s_cselect_b64 s[8:9], -1, 0
	v_cmp_le_i32_e32 vcc, s24, v202
	v_mov_b32_e32 v0, 0x4700
	s_and_b64 s[8:9], s[8:9], vcc
	v_lshl_add_u32 v0, v202, 4, v0
	s_and_saveexec_b64 s[10:11], s[8:9]
	s_xor_b64 s[8:9], exec, s[10:11]
; %bb.7:
	v_mov_b32_e32 v2, 0
	v_mov_b32_e32 v3, v2
	;; [unrolled: 1-line block ×4, first 2 shown]
	ds_write_b128 v0, v[2:5]
                                        ; implicit-def: $vgpr0
; %bb.8:
	s_andn2_saveexec_b64 s[8:9], s[8:9]
	s_cbranch_execz .LBB124_10
; %bb.9:
	global_load_dwordx4 v[2:5], v[36:37], off
	s_waitcnt vmcnt(0)
	ds_write2_b64 v0, v[2:3], v[4:5] offset1:1
.LBB124_10:
	s_or_b64 exec, exec, s[6:7]
	s_mul_i32 s6, s23, s3
	s_mul_hi_u32 s7, s22, s3
	s_add_i32 s7, s7, s6
	s_mul_i32 s6, s22, s3
	s_lshl_b64 s[6:7], s[6:7], 4
	s_add_u32 s8, s16, s6
	s_addc_u32 s9, s17, s7
	s_lshl_b64 s[6:7], s[18:19], 4
	s_add_u32 s8, s8, s6
	s_addc_u32 s9, s9, s7
	s_ashr_i32 s27, s26, 31
	v_lshl_add_u32 v42, v203, 6, v202
	s_lshl_b64 s[6:7], s[26:27], 4
	v_and_b32_e32 v6, 31, v202
	v_lshrrev_b32_e32 v14, 5, v42
	s_add_u32 s6, s8, s6
	v_mov_b32_e32 v7, 0
	s_addc_u32 s7, s9, s7
	v_mad_u64_u32 v[38:39], s[8:9], s20, v14, v[6:7]
	v_mov_b32_e32 v0, v39
	v_mad_u64_u32 v[0:1], s[8:9], s21, v14, v[0:1]
	v_mov_b32_e32 v39, v0
	v_lshl_add_u64 v[0:1], v[38:39], 4, s[6:7]
	s_mul_hi_u32 s6, s20, s26
	s_mul_i32 s7, s20, s27
	s_add_i32 s6, s6, s7
	s_mul_i32 s7, s21, s26
	s_add_i32 s7, s6, s7
	s_cmp_eq_u32 s24, 0
	s_cselect_b64 s[18:19], -1, 0
	s_cmp_lg_u32 s24, 0
	s_mul_i32 s6, s20, s26
	s_cselect_b64 s[22:23], -1, 0
	v_lshl_add_u64 v[0:1], s[6:7], 4, v[0:1]
	s_and_b64 vcc, exec, s[22:23]
	v_cmp_gt_i32_e64 s[6:7], s24, v6
	v_lshlrev_b32_e32 v4, 4, v6
	v_lshlrev_b32_e32 v15, 4, v6
	s_cbranch_vccz .LBB124_28
; %bb.11:
	v_sub_co_u32_e32 v2, vcc, v0, v4
	s_ashr_i32 s25, s24, 31
	s_nop 0
	v_subbrev_co_u32_e32 v3, vcc, 0, v1, vcc
	v_lshl_add_u64 v[2:3], s[24:25], 4, v[2:3]
	v_lshl_add_u64 v[2:3], v[2:3], 0, -16
	s_movk_i32 s8, 0x210
	v_cndmask_b32_e64 v3, v3, v1, s[6:7]
	v_cndmask_b32_e64 v2, v2, v0, s[6:7]
	v_cmp_le_i32_e32 vcc, s24, v14
	v_mad_u32_u24 v7, v14, s8, v15
	s_and_saveexec_b64 s[8:9], vcc
	s_xor_b64 s[8:9], exec, s[8:9]
; %bb.12:
	v_mov_b32_e32 v8, 0
	v_mov_b32_e32 v9, v8
	;; [unrolled: 1-line block ×4, first 2 shown]
	ds_write_b128 v7, v[8:11]
                                        ; implicit-def: $vgpr7
; %bb.13:
	s_or_saveexec_b64 s[8:9], s[8:9]
	v_mul_u32_u24_e32 v5, 0x210, v14
	s_xor_b64 exec, exec, s[8:9]
	s_cbranch_execz .LBB124_15
; %bb.14:
	global_load_dwordx4 v[8:11], v[2:3], off
	s_waitcnt vmcnt(0)
	ds_write2_b64 v7, v[8:9], v[10:11] offset1:1
.LBB124_15:
	s_or_b64 exec, exec, s[8:9]
	v_add_u32_e32 v7, 8, v14
	v_cmp_le_i32_e32 vcc, s24, v7
	v_add_u32_e32 v7, v5, v15
	s_and_saveexec_b64 s[8:9], vcc
	s_xor_b64 s[8:9], exec, s[8:9]
; %bb.16:
	v_mov_b32_e32 v8, 0
	v_mov_b32_e32 v9, v8
	;; [unrolled: 1-line block ×4, first 2 shown]
	ds_write_b128 v7, v[8:11] offset:4224
; %bb.17:
	s_andn2_saveexec_b64 s[8:9], s[8:9]
	s_cbranch_execz .LBB124_19
; %bb.18:
	s_lshl_b64 s[10:11], s[20:21], 7
	v_lshl_add_u64 v[8:9], v[2:3], 0, s[10:11]
	global_load_dwordx4 v[8:11], v[8:9], off
	s_movk_i32 s10, 0x1080
	v_add3_u32 v12, v5, v15, s10
	s_waitcnt vmcnt(0)
	ds_write2_b64 v12, v[8:9], v[10:11] offset1:1
.LBB124_19:
	s_or_b64 exec, exec, s[8:9]
	v_add_u32_e32 v8, 16, v14
	v_cmp_le_i32_e32 vcc, s24, v8
	s_and_saveexec_b64 s[8:9], vcc
	s_xor_b64 s[8:9], exec, s[8:9]
; %bb.20:
	v_mov_b32_e32 v8, 0
	v_mov_b32_e32 v9, v8
	v_mov_b32_e32 v10, v8
	v_mov_b32_e32 v11, v8
	ds_write_b128 v7, v[8:11] offset:8448
; %bb.21:
	s_andn2_saveexec_b64 s[8:9], s[8:9]
	s_cbranch_execz .LBB124_23
; %bb.22:
	s_lshl_b64 s[10:11], s[20:21], 8
	v_lshl_add_u64 v[8:9], v[2:3], 0, s[10:11]
	global_load_dwordx4 v[8:11], v[8:9], off
	s_movk_i32 s10, 0x2100
	v_add3_u32 v12, v5, v15, s10
	s_waitcnt vmcnt(0)
	ds_write2_b64 v12, v[8:9], v[10:11] offset1:1
.LBB124_23:
	s_or_b64 exec, exec, s[8:9]
	v_add_u32_e32 v8, 24, v14
	v_cmp_le_i32_e32 vcc, s24, v8
	s_and_saveexec_b64 s[8:9], vcc
	s_xor_b64 s[8:9], exec, s[8:9]
; %bb.24:
	v_mov_b32_e32 v8, 0
	v_mov_b32_e32 v9, v8
	;; [unrolled: 1-line block ×4, first 2 shown]
	ds_write_b128 v7, v[8:11] offset:12672
                                        ; implicit-def: $vgpr5
; %bb.25:
	s_andn2_saveexec_b64 s[8:9], s[8:9]
	s_cbranch_execz .LBB124_27
; %bb.26:
	v_mov_b32_e32 v7, 0x180
	v_mad_u64_u32 v[8:9], s[10:11], s20, v7, v[2:3]
	s_mul_i32 s10, s21, 0x180
	s_nop 0
	v_add_u32_e32 v9, s10, v9
	global_load_dwordx4 v[8:11], v[8:9], off
	s_movk_i32 s10, 0x3180
	v_add3_u32 v5, v5, v15, s10
	s_waitcnt vmcnt(0)
	ds_write2_b64 v5, v[8:9], v[10:11] offset1:1
.LBB124_27:
	s_or_b64 exec, exec, s[8:9]
	v_mov_b32_e32 v5, 0
	v_lshl_add_u64 v[2:3], v[2:3], 0, v[4:5]
	s_lshl_b64 s[8:9], s[24:25], 4
	v_mov_b32_e32 v5, s9
	v_subrev_co_u32_e32 v2, vcc, s8, v2
	s_nop 1
	v_subb_co_u32_e32 v3, vcc, v3, v5, vcc
	v_lshl_add_u64 v[2:3], v[2:3], 0, 16
	v_cndmask_b32_e64 v9, v3, v1, s[6:7]
	v_cndmask_b32_e64 v8, v2, v0, s[6:7]
	s_branch .LBB124_30
.LBB124_28:
                                        ; implicit-def: $vgpr8_vgpr9
	s_cbranch_execz .LBB124_30
; %bb.29:
	s_lshl_b64 s[6:7], s[20:21], 7
	v_lshl_add_u64 v[2:3], v[0:1], 0, s[6:7]
	global_load_dwordx4 v[8:11], v[0:1], off
	global_load_dwordx4 v[16:19], v[2:3], off
	v_lshl_add_u64 v[2:3], v[2:3], 0, s[6:7]
	v_lshl_add_u64 v[12:13], v[2:3], 0, s[6:7]
	global_load_dwordx4 v[20:23], v[2:3], off
	global_load_dwordx4 v[24:27], v[12:13], off
	v_mul_u32_u24_e32 v2, 0x210, v14
	v_lshl_add_u32 v2, v6, 4, v2
	v_add_u32_e32 v3, 0x1080, v2
	v_add_u32_e32 v5, 0x2100, v2
	;; [unrolled: 1-line block ×3, first 2 shown]
	s_waitcnt vmcnt(3)
	ds_write2_b64 v2, v[8:9], v[10:11] offset1:1
	s_waitcnt vmcnt(2)
	ds_write2_b64 v3, v[16:17], v[18:19] offset1:1
	;; [unrolled: 2-line block ×4, first 2 shown]
	v_mov_b64_e32 v[8:9], v[0:1]
.LBB124_30:
	v_lshlrev_b32_e32 v7, 2, v14
	v_lshl_or_b32 v0, v6, 9, v15
	v_cmp_gt_u32_e64 s[6:7], v7, v6
	v_lshl_add_u32 v1, v7, 4, v0
	s_waitcnt lgkmcnt(0)
	s_barrier
	s_and_saveexec_b64 s[8:9], s[6:7]
	s_cbranch_execz .LBB124_32
; %bb.31:
	s_movk_i32 s10, 0x840
	v_mad_u32_u24 v0, v14, s10, v15
	ds_read_b128 v[10:13], v0
	s_waitcnt lgkmcnt(0)
	ds_write_b128 v1, v[10:13]
.LBB124_32:
	s_or_b64 exec, exec, s[8:9]
	v_or_b32_e32 v0, 1, v7
	v_cmp_ge_u32_e64 s[8:9], v7, v6
	s_and_saveexec_b64 s[10:11], s[8:9]
	s_cbranch_execz .LBB124_34
; %bb.33:
	s_movk_i32 s12, 0x210
	v_mad_u32_u24 v2, v0, s12, v15
	ds_read_b128 v[10:13], v2
	s_waitcnt lgkmcnt(0)
	ds_write_b128 v1, v[10:13] offset:16
.LBB124_34:
	s_or_b64 exec, exec, s[10:11]
	v_or_b32_e32 v2, 2, v7
	v_cmp_gt_u32_e64 s[10:11], v2, v6
	s_and_saveexec_b64 s[12:13], s[10:11]
	s_cbranch_execz .LBB124_36
; %bb.35:
	s_movk_i32 s14, 0x210
	v_mad_u32_u24 v2, v2, s14, v15
	ds_read_b128 v[10:13], v2
	s_waitcnt lgkmcnt(0)
	ds_write_b128 v1, v[10:13] offset:32
.LBB124_36:
	s_or_b64 exec, exec, s[12:13]
	v_or_b32_e32 v3, 3, v7
	v_cmp_gt_u32_e64 s[12:13], v3, v6
	v_cmp_le_u32_e32 vcc, v3, v6
                                        ; implicit-def: $vgpr2
	s_and_saveexec_b64 s[14:15], vcc
	s_xor_b64 s[14:15], exec, s[14:15]
; %bb.37:
	v_mul_u32_u24_e32 v2, 0x210, v3
                                        ; implicit-def: $vgpr3
                                        ; implicit-def: $vgpr1
; %bb.38:
	s_andn2_saveexec_b64 s[14:15], s[14:15]
	s_cbranch_execz .LBB124_40
; %bb.39:
	s_movk_i32 s16, 0x210
	v_mad_u32_u24 v2, v3, s16, v15
	ds_read_b128 v[10:13], v2
	v_mul_u32_u24_e32 v2, 0x210, v3
	s_waitcnt lgkmcnt(0)
	ds_write_b128 v1, v[10:13] offset:48
.LBB124_40:
	s_or_b64 exec, exec, s[14:15]
	s_movk_i32 s14, 0x840
	v_lshlrev_b32_e32 v17, 4, v7
	s_movk_i32 s25, 0x210
	s_waitcnt lgkmcnt(0)
	s_barrier
	v_mad_u32_u24 v20, v14, s14, v15
	ds_read_b128 v[10:13], v17 offset:18176
	ds_read_b128 v[22:25], v17 offset:18192
	ds_read_b128 v[26:29], v20
	ds_read_b128 v[30:33], v17 offset:18208
	ds_read_b128 v[46:49], v17 offset:18224
	v_mad_u32_u24 v21, v0, s25, v15
	ds_read_b128 v[50:53], v21
	s_waitcnt lgkmcnt(3)
	v_mul_f64 v[0:1], v[12:13], v[28:29]
	v_fma_f64 v[18:19], v[10:11], v[26:27], -v[0:1]
	v_mul_f64 v[10:11], v[10:11], v[28:29]
	v_fmac_f64_e32 v[10:11], v[12:13], v[26:27]
	v_add_f64 v[26:27], v[10:11], 0
	s_waitcnt lgkmcnt(0)
	v_mul_f64 v[10:11], v[24:25], v[52:53]
	v_fma_f64 v[28:29], v[22:23], v[50:51], -v[10:11]
	v_mul_f64 v[22:23], v[22:23], v[52:53]
	v_fmac_f64_e32 v[22:23], v[24:25], v[50:51]
	ds_read_b128 v[10:13], v21 offset:528
	v_add_u32_e32 v45, v15, v2
	v_add_f64 v[26:27], v[26:27], v[22:23]
	ds_read_b128 v[22:25], v45
	v_add_f64 v[18:19], v[18:19], 0
	s_waitcnt lgkmcnt(1)
	v_mul_f64 v[2:3], v[32:33], v[12:13]
	v_mul_f64 v[12:13], v[30:31], v[12:13]
	v_add_f64 v[18:19], v[18:19], v[28:29]
	v_fma_f64 v[2:3], v[30:31], v[10:11], -v[2:3]
	v_fmac_f64_e32 v[12:13], v[32:33], v[10:11]
	s_waitcnt lgkmcnt(0)
	v_mul_f64 v[10:11], v[48:49], v[24:25]
	v_add_f64 v[2:3], v[18:19], v[2:3]
	v_fma_f64 v[10:11], v[46:47], v[22:23], -v[10:11]
	v_mul_f64 v[18:19], v[46:47], v[24:25]
	v_add_f64 v[10:11], v[2:3], v[10:11]
	v_mul_u32_u24_e32 v2, 33, v6
	v_add_f64 v[12:13], v[26:27], v[12:13]
	v_fmac_f64_e32 v[18:19], v[48:49], v[22:23]
	v_lshlrev_b32_e32 v43, 4, v2
	v_mov_b64_e32 v[0:1], 0
	v_add_f64 v[12:13], v[12:13], v[18:19]
	v_lshl_add_u32 v44, v14, 4, v43
	v_cmp_gt_u32_e64 s[14:15], 32, v42
	v_mov_b64_e32 v[2:3], 0
	s_barrier
	ds_write_b128 v44, v[10:13]
	s_waitcnt lgkmcnt(0)
	s_barrier
	s_and_saveexec_b64 s[16:17], s[14:15]
	s_cbranch_execz .LBB124_42
; %bb.41:
	ds_read_b128 v[0:3], v43
	ds_read_b128 v[10:13], v43 offset:16
	ds_read_b128 v[22:25], v43 offset:32
	;; [unrolled: 1-line block ×3, first 2 shown]
	s_waitcnt lgkmcnt(2)
	v_add_f64 v[0:1], v[10:11], v[0:1]
	v_add_f64 v[10:11], v[12:13], v[2:3]
	s_waitcnt lgkmcnt(1)
	v_add_f64 v[12:13], v[0:1], v[22:23]
	ds_read_b128 v[0:3], v43 offset:64
	v_add_f64 v[10:11], v[10:11], v[24:25]
	s_waitcnt lgkmcnt(1)
	v_add_f64 v[18:19], v[12:13], v[26:27]
	v_add_f64 v[26:27], v[10:11], v[28:29]
	ds_read_b128 v[10:13], v43 offset:80
	ds_read_b128 v[22:25], v43 offset:96
	s_waitcnt lgkmcnt(2)
	v_add_f64 v[18:19], v[18:19], v[0:1]
	v_add_f64 v[26:27], v[26:27], v[2:3]
	ds_read_b128 v[0:3], v43 offset:112
	s_waitcnt lgkmcnt(2)
	v_add_f64 v[10:11], v[18:19], v[10:11]
	v_add_f64 v[12:13], v[26:27], v[12:13]
	s_waitcnt lgkmcnt(1)
	v_add_f64 v[10:11], v[10:11], v[22:23]
	v_add_f64 v[12:13], v[12:13], v[24:25]
	;; [unrolled: 3-line block ×3, first 2 shown]
.LBB124_42:
	s_or_b64 exec, exec, s[16:17]
	s_lshl_b64 s[16:17], s[20:21], 9
	v_lshl_add_u64 v[12:13], v[8:9], 0, s[16:17]
	s_mov_b64 s[16:17], 0x200
	v_lshl_add_u64 v[10:11], v[12:13], 0, s[16:17]
	v_mad_u32_u24 v16, v14, s25, v15
	s_and_b64 vcc, exec, s[22:23]
	s_barrier
	s_cbranch_vccz .LBB124_60
; %bb.43:
	v_sub_co_u32_e32 v8, vcc, v12, v4
	s_ashr_i32 s25, s24, 31
	s_nop 0
	v_subbrev_co_u32_e32 v9, vcc, 0, v13, vcc
	v_or_b32_e32 v5, 32, v6
	v_lshl_add_u64 v[8:9], s[24:25], 4, v[8:9]
	v_lshl_add_u64 v[8:9], v[8:9], 0, -16
	v_cmp_gt_i32_e32 vcc, s24, v5
	s_sub_i32 s35, s24, 32
	v_cmp_le_i32_e64 s[16:17], s35, v14
	v_cndmask_b32_e32 v9, v9, v11, vcc
	v_cndmask_b32_e32 v8, v8, v10, vcc
	s_and_saveexec_b64 s[36:37], s[16:17]
	s_xor_b64 s[16:17], exec, s[36:37]
; %bb.44:
	v_mov_b32_e32 v22, 0
	v_mov_b32_e32 v23, v22
	;; [unrolled: 1-line block ×4, first 2 shown]
	ds_write_b128 v16, v[22:25]
; %bb.45:
	s_andn2_saveexec_b64 s[16:17], s[16:17]
	s_cbranch_execz .LBB124_47
; %bb.46:
	global_load_dwordx4 v[22:25], v[8:9], off
	s_waitcnt vmcnt(0)
	ds_write2_b64 v16, v[22:23], v[24:25] offset1:1
.LBB124_47:
	s_or_b64 exec, exec, s[16:17]
	v_add_u32_e32 v5, 8, v14
	v_cmp_le_i32_e64 s[16:17], s35, v5
	s_and_saveexec_b64 s[36:37], s[16:17]
	s_xor_b64 s[16:17], exec, s[36:37]
	s_cbranch_execz .LBB124_49
; %bb.48:
	s_movk_i32 s36, 0x210
	v_mov_b32_e32 v22, 0
	v_mad_u32_u24 v5, v5, s36, v15
	v_mov_b32_e32 v23, v22
	v_mov_b32_e32 v24, v22
	;; [unrolled: 1-line block ×3, first 2 shown]
	ds_write_b128 v5, v[22:25]
                                        ; implicit-def: $vgpr5
.LBB124_49:
	s_andn2_saveexec_b64 s[16:17], s[16:17]
	s_cbranch_execz .LBB124_51
; %bb.50:
	s_lshl_b64 s[36:37], s[20:21], 7
	v_lshl_add_u64 v[18:19], v[8:9], 0, s[36:37]
	global_load_dwordx4 v[22:25], v[18:19], off
	s_movk_i32 s36, 0x210
	v_mad_u32_u24 v5, v5, s36, v15
	s_waitcnt vmcnt(0)
	ds_write2_b64 v5, v[22:23], v[24:25] offset1:1
.LBB124_51:
	s_or_b64 exec, exec, s[16:17]
	v_add_u32_e32 v5, 16, v14
	v_cmp_le_i32_e64 s[16:17], s35, v5
	s_and_saveexec_b64 s[36:37], s[16:17]
	s_xor_b64 s[16:17], exec, s[36:37]
	s_cbranch_execz .LBB124_53
; %bb.52:
	s_movk_i32 s36, 0x210
	v_mov_b32_e32 v22, 0
	v_mad_u32_u24 v5, v5, s36, v15
	v_mov_b32_e32 v23, v22
	v_mov_b32_e32 v24, v22
	;; [unrolled: 1-line block ×3, first 2 shown]
	ds_write_b128 v5, v[22:25]
                                        ; implicit-def: $vgpr5
.LBB124_53:
	s_andn2_saveexec_b64 s[16:17], s[16:17]
	s_cbranch_execz .LBB124_55
; %bb.54:
	s_lshl_b64 s[36:37], s[20:21], 8
	v_lshl_add_u64 v[18:19], v[8:9], 0, s[36:37]
	global_load_dwordx4 v[22:25], v[18:19], off
	s_movk_i32 s36, 0x210
	v_mad_u32_u24 v5, v5, s36, v15
	s_waitcnt vmcnt(0)
	ds_write2_b64 v5, v[22:23], v[24:25] offset1:1
.LBB124_55:
	s_or_b64 exec, exec, s[16:17]
	v_add_u32_e32 v5, 24, v14
	v_cmp_le_i32_e64 s[16:17], s35, v5
	s_and_saveexec_b64 s[36:37], s[16:17]
	s_xor_b64 s[16:17], exec, s[36:37]
	s_cbranch_execz .LBB124_57
; %bb.56:
	s_movk_i32 s35, 0x210
	v_mov_b32_e32 v22, 0
	v_mad_u32_u24 v5, v5, s35, v15
	v_mov_b32_e32 v23, v22
	v_mov_b32_e32 v24, v22
	;; [unrolled: 1-line block ×3, first 2 shown]
	ds_write_b128 v5, v[22:25]
                                        ; implicit-def: $vgpr5
.LBB124_57:
	s_andn2_saveexec_b64 s[16:17], s[16:17]
	s_cbranch_execz .LBB124_59
; %bb.58:
	v_mov_b32_e32 v18, 0x180
	v_mad_u64_u32 v[18:19], s[36:37], s20, v18, v[8:9]
	s_mul_i32 s35, s21, 0x180
	v_add_u32_e32 v19, s35, v19
	global_load_dwordx4 v[22:25], v[18:19], off
	s_movk_i32 s35, 0x210
	v_mad_u32_u24 v5, v5, s35, v15
	s_waitcnt vmcnt(0)
	ds_write2_b64 v5, v[22:23], v[24:25] offset1:1
.LBB124_59:
	s_or_b64 exec, exec, s[16:17]
	v_mov_b32_e32 v5, 0
	v_lshl_add_u64 v[8:9], v[8:9], 0, v[4:5]
	s_lshl_b64 s[16:17], s[24:25], 4
	v_mov_b32_e32 v5, s17
	v_subrev_co_u32_e64 v8, s[16:17], s16, v8
	s_nop 1
	v_subb_co_u32_e64 v9, s[16:17], v9, v5, s[16:17]
	s_mov_b64 s[16:17], 0x210
	s_nop 0
	v_lshl_add_u64 v[8:9], v[8:9], 0, s[16:17]
	v_cndmask_b32_e32 v9, v9, v11, vcc
	v_cndmask_b32_e32 v8, v8, v10, vcc
	s_branch .LBB124_62
.LBB124_60:
                                        ; implicit-def: $vgpr8_vgpr9
	s_cbranch_execz .LBB124_62
; %bb.61:
	s_lshl_b64 s[16:17], s[20:21], 7
	v_lshl_add_u64 v[8:9], v[12:13], 0, s[16:17]
	global_load_dwordx4 v[22:25], v[10:11], off
	global_load_dwordx4 v[26:29], v[8:9], off offset:512
	v_lshl_add_u64 v[8:9], v[8:9], 0, s[16:17]
	v_lshl_add_u64 v[12:13], v[8:9], 0, s[16:17]
	global_load_dwordx4 v[30:33], v[8:9], off offset:512
	global_load_dwordx4 v[46:49], v[12:13], off offset:512
	v_add_u32_e32 v8, 0x2100, v16
	v_add_u32_e32 v9, 0x3180, v16
	;; [unrolled: 1-line block ×3, first 2 shown]
	s_waitcnt vmcnt(3)
	ds_write2_b64 v16, v[22:23], v[24:25] offset1:1
	s_waitcnt vmcnt(2)
	ds_write2_b64 v5, v[26:27], v[28:29] offset1:1
	s_waitcnt vmcnt(1)
	ds_write2_b64 v8, v[30:31], v[32:33] offset1:1
	s_waitcnt vmcnt(0)
	ds_write2_b64 v9, v[46:47], v[48:49] offset1:1
	v_mov_b64_e32 v[8:9], v[10:11]
.LBB124_62:
	v_lshl_add_u32 v5, v7, 4, v43
	s_waitcnt lgkmcnt(0)
	s_barrier
	s_and_saveexec_b64 s[16:17], s[6:7]
	s_cbranch_execnz .LBB124_87
; %bb.63:
	s_or_b64 exec, exec, s[16:17]
	s_and_saveexec_b64 s[6:7], s[8:9]
	s_cbranch_execnz .LBB124_88
.LBB124_64:
	s_or_b64 exec, exec, s[6:7]
	v_add_u32_e32 v12, 0x210, v21
	s_and_saveexec_b64 s[6:7], s[10:11]
	s_cbranch_execnz .LBB124_89
.LBB124_65:
	s_or_b64 exec, exec, s[6:7]
	v_add_u32_e32 v13, 0x4700, v17
	s_and_saveexec_b64 s[6:7], s[12:13]
	s_cbranch_execz .LBB124_67
.LBB124_66:
	ds_read_b128 v[22:25], v45
	s_waitcnt lgkmcnt(0)
	ds_write_b128 v5, v[22:25] offset:48
.LBB124_67:
	s_or_b64 exec, exec, s[6:7]
	s_waitcnt lgkmcnt(0)
	s_barrier
	ds_read_b128 v[22:25], v13 offset:512
	ds_read_b128 v[26:29], v20
	ds_read_b128 v[30:33], v13 offset:528
	ds_read_b128 v[46:49], v13 offset:544
	;; [unrolled: 1-line block ×3, first 2 shown]
	ds_read_b128 v[54:57], v21
	v_cmp_eq_u32_e64 s[6:7], 1, v14
	s_waitcnt lgkmcnt(4)
	v_mul_f64 v[10:11], v[24:25], v[28:29]
	v_fma_f64 v[10:11], v[22:23], v[26:27], -v[10:11]
	v_mul_f64 v[18:19], v[22:23], v[28:29]
	s_waitcnt lgkmcnt(0)
	v_mul_f64 v[22:23], v[32:33], v[56:57]
	v_fmac_f64_e32 v[18:19], v[24:25], v[26:27]
	v_fma_f64 v[26:27], v[30:31], v[54:55], -v[22:23]
	v_mul_f64 v[28:29], v[30:31], v[56:57]
	ds_read_b128 v[22:25], v12
	v_add_f64 v[10:11], v[10:11], 0
	v_add_f64 v[18:19], v[18:19], 0
	v_fmac_f64_e32 v[28:29], v[32:33], v[54:55]
	v_add_f64 v[10:11], v[10:11], v[26:27]
	v_add_f64 v[18:19], v[18:19], v[28:29]
	ds_read_b128 v[26:29], v45
	s_waitcnt lgkmcnt(1)
	v_mul_f64 v[30:31], v[48:49], v[24:25]
	v_mul_f64 v[24:25], v[46:47], v[24:25]
	v_fmac_f64_e32 v[24:25], v[48:49], v[22:23]
	v_fma_f64 v[30:31], v[46:47], v[22:23], -v[30:31]
	v_add_f64 v[18:19], v[18:19], v[24:25]
	s_waitcnt lgkmcnt(0)
	v_mul_f64 v[22:23], v[52:53], v[28:29]
	v_mul_f64 v[24:25], v[50:51], v[28:29]
	v_add_f64 v[10:11], v[10:11], v[30:31]
	v_fma_f64 v[22:23], v[50:51], v[26:27], -v[22:23]
	v_fmac_f64_e32 v[24:25], v[52:53], v[26:27]
	v_add_f64 v[22:23], v[10:11], v[22:23]
	v_add_f64 v[24:25], v[18:19], v[24:25]
	s_barrier
	ds_write_b128 v44, v[22:25]
	s_waitcnt lgkmcnt(0)
	s_barrier
	s_and_saveexec_b64 s[8:9], s[6:7]
	s_cbranch_execz .LBB124_69
; %bb.68:
	ds_read_b128 v[0:3], v43
	ds_read_b128 v[22:25], v43 offset:16
	ds_read_b128 v[26:29], v43 offset:32
	;; [unrolled: 1-line block ×3, first 2 shown]
	s_waitcnt lgkmcnt(2)
	v_add_f64 v[0:1], v[22:23], v[0:1]
	v_add_f64 v[10:11], v[24:25], v[2:3]
	s_waitcnt lgkmcnt(1)
	v_add_f64 v[18:19], v[0:1], v[26:27]
	ds_read_b128 v[0:3], v43 offset:64
	ds_read_b128 v[22:25], v43 offset:80
	v_add_f64 v[10:11], v[10:11], v[28:29]
	s_waitcnt lgkmcnt(2)
	v_add_f64 v[18:19], v[18:19], v[30:31]
	v_add_f64 v[10:11], v[10:11], v[32:33]
	ds_read_b128 v[26:29], v43 offset:96
	s_waitcnt lgkmcnt(2)
	v_add_f64 v[18:19], v[18:19], v[0:1]
	v_add_f64 v[10:11], v[10:11], v[2:3]
	ds_read_b128 v[0:3], v43 offset:112
	s_waitcnt lgkmcnt(2)
	v_add_f64 v[18:19], v[18:19], v[22:23]
	v_add_f64 v[10:11], v[10:11], v[24:25]
	s_waitcnt lgkmcnt(1)
	v_add_f64 v[18:19], v[18:19], v[26:27]
	v_add_f64 v[10:11], v[10:11], v[28:29]
	;; [unrolled: 3-line block ×3, first 2 shown]
.LBB124_69:
	s_or_b64 exec, exec, s[8:9]
	s_movk_i32 s8, 0xfe00
	s_mov_b32 s9, -1
	v_lshl_add_u64 v[10:11], v[8:9], 0, s[8:9]
	s_and_b64 vcc, exec, s[22:23]
	s_barrier
	s_cbranch_vccz .LBB124_90
; %bb.70:
	v_sub_co_u32_e32 v18, vcc, v8, v4
	s_ashr_i32 s25, s24, 31
	s_nop 0
	v_subbrev_co_u32_e32 v19, vcc, 0, v9, vcc
	s_movk_i32 s8, 0xfdf0
	v_lshl_add_u64 v[18:19], s[24:25], 4, v[18:19]
	s_mov_b32 s9, -1
	v_lshl_add_u64 v[18:19], v[18:19], 0, s[8:9]
	v_cmp_gt_i32_e32 vcc, s24, v6
	s_sub_i32 s10, s24, 32
	v_cmp_le_i32_e64 s[8:9], s10, v14
	v_cndmask_b32_e32 v7, v19, v11, vcc
	v_cndmask_b32_e32 v6, v18, v10, vcc
	s_and_saveexec_b64 s[12:13], s[8:9]
	s_xor_b64 s[8:9], exec, s[12:13]
; %bb.71:
	v_mov_b32_e32 v22, 0
	v_mov_b32_e32 v23, v22
	;; [unrolled: 1-line block ×4, first 2 shown]
	ds_write_b128 v16, v[22:25]
; %bb.72:
	s_andn2_saveexec_b64 s[8:9], s[8:9]
	s_cbranch_execz .LBB124_74
; %bb.73:
	global_load_dwordx4 v[22:25], v[6:7], off
	s_waitcnt vmcnt(0)
	ds_write2_b64 v16, v[22:23], v[24:25] offset1:1
.LBB124_74:
	s_or_b64 exec, exec, s[8:9]
	v_add_u32_e32 v17, 8, v14
	v_cmp_le_i32_e64 s[8:9], s10, v17
	s_and_saveexec_b64 s[12:13], s[8:9]
	s_xor_b64 s[8:9], exec, s[12:13]
	s_cbranch_execz .LBB124_76
; %bb.75:
	s_movk_i32 s11, 0x210
	v_mov_b32_e32 v22, 0
	v_mad_u32_u24 v5, v17, s11, v15
	v_mov_b32_e32 v23, v22
	v_mov_b32_e32 v24, v22
	;; [unrolled: 1-line block ×3, first 2 shown]
	ds_write_b128 v5, v[22:25]
.LBB124_76:
	s_andn2_saveexec_b64 s[8:9], s[8:9]
	s_cbranch_execz .LBB124_78
; %bb.77:
	s_lshl_b64 s[12:13], s[20:21], 7
	v_lshl_add_u64 v[18:19], v[6:7], 0, s[12:13]
	global_load_dwordx4 v[22:25], v[18:19], off
	s_movk_i32 s11, 0x210
	v_mad_u32_u24 v5, v17, s11, v15
	s_waitcnt vmcnt(0)
	ds_write2_b64 v5, v[22:23], v[24:25] offset1:1
.LBB124_78:
	s_or_b64 exec, exec, s[8:9]
	v_add_u32_e32 v18, 16, v14
	v_cmp_le_i32_e64 s[8:9], s10, v18
	s_and_saveexec_b64 s[12:13], s[8:9]
	s_xor_b64 s[8:9], exec, s[12:13]
	s_cbranch_execz .LBB124_80
; %bb.79:
	s_movk_i32 s11, 0x210
	v_mov_b32_e32 v22, 0
	v_mad_u32_u24 v5, v18, s11, v15
	v_mov_b32_e32 v23, v22
	v_mov_b32_e32 v24, v22
	;; [unrolled: 1-line block ×3, first 2 shown]
	ds_write_b128 v5, v[22:25]
.LBB124_80:
	s_andn2_saveexec_b64 s[8:9], s[8:9]
	s_cbranch_execz .LBB124_82
; %bb.81:
	s_lshl_b64 s[12:13], s[20:21], 8
	v_lshl_add_u64 v[22:23], v[6:7], 0, s[12:13]
	global_load_dwordx4 v[22:25], v[22:23], off
	s_movk_i32 s11, 0x210
	v_mad_u32_u24 v5, v18, s11, v15
	s_waitcnt vmcnt(0)
	ds_write2_b64 v5, v[22:23], v[24:25] offset1:1
.LBB124_82:
	s_or_b64 exec, exec, s[8:9]
	v_add_u32_e32 v19, 24, v14
	v_cmp_le_i32_e64 s[8:9], s10, v19
	s_and_saveexec_b64 s[10:11], s[8:9]
	s_xor_b64 s[8:9], exec, s[10:11]
	s_cbranch_execz .LBB124_84
; %bb.83:
	s_movk_i32 s10, 0x210
	v_mov_b32_e32 v22, 0
	v_mad_u32_u24 v5, v19, s10, v15
	v_mov_b32_e32 v23, v22
	v_mov_b32_e32 v24, v22
	;; [unrolled: 1-line block ×3, first 2 shown]
	ds_write_b128 v5, v[22:25]
.LBB124_84:
	s_andn2_saveexec_b64 s[8:9], s[8:9]
	s_cbranch_execz .LBB124_86
; %bb.85:
	v_mov_b32_e32 v5, 0x180
	v_mad_u64_u32 v[22:23], s[10:11], s20, v5, v[6:7]
	s_mul_i32 s10, s21, 0x180
	s_nop 0
	v_add_u32_e32 v23, s10, v23
	global_load_dwordx4 v[22:25], v[22:23], off
	s_movk_i32 s10, 0x210
	v_mad_u32_u24 v5, v19, s10, v15
	s_waitcnt vmcnt(0)
	ds_write2_b64 v5, v[22:23], v[24:25] offset1:1
.LBB124_86:
	s_or_b64 exec, exec, s[8:9]
	v_mov_b32_e32 v5, 0
	v_lshl_add_u64 v[4:5], v[6:7], 0, v[4:5]
	s_lshl_b64 s[8:9], s[24:25], 4
	v_mov_b32_e32 v6, s9
	v_subrev_co_u32_e64 v4, s[8:9], s8, v4
	s_nop 1
	v_subb_co_u32_e64 v5, s[8:9], v5, v6, s[8:9]
	v_lshl_add_u64 v[4:5], v[4:5], 0, 16
	v_cndmask_b32_e32 v41, v5, v11, vcc
	v_cndmask_b32_e32 v40, v4, v10, vcc
	s_branch .LBB124_92
.LBB124_87:
	ds_read_b128 v[10:13], v20
	s_waitcnt lgkmcnt(0)
	ds_write_b128 v5, v[10:13]
	s_or_b64 exec, exec, s[16:17]
	s_and_saveexec_b64 s[6:7], s[8:9]
	s_cbranch_execz .LBB124_64
.LBB124_88:
	ds_read_b128 v[10:13], v21
	s_waitcnt lgkmcnt(0)
	ds_write_b128 v5, v[10:13] offset:16
	s_or_b64 exec, exec, s[6:7]
	v_add_u32_e32 v12, 0x210, v21
	s_and_saveexec_b64 s[6:7], s[10:11]
	s_cbranch_execz .LBB124_65
.LBB124_89:
	ds_read_b128 v[22:25], v12
	s_waitcnt lgkmcnt(0)
	ds_write_b128 v5, v[22:25] offset:32
	s_or_b64 exec, exec, s[6:7]
	v_add_u32_e32 v13, 0x4700, v17
	s_and_saveexec_b64 s[6:7], s[12:13]
	s_cbranch_execnz .LBB124_66
	s_branch .LBB124_67
.LBB124_90:
                                        ; implicit-def: $vgpr40_vgpr41
                                        ; implicit-def: $vgpr17
                                        ; implicit-def: $vgpr18
                                        ; implicit-def: $vgpr19
	s_cbranch_execz .LBB124_92
; %bb.91:
	s_lshl_b64 s[8:9], s[20:21], 7
	v_lshl_add_u64 v[8:9], v[8:9], 0, s[8:9]
	global_load_dwordx4 v[4:7], v[10:11], off
	global_load_dwordx4 v[22:25], v[8:9], off offset:-512
	v_lshl_add_u64 v[8:9], v[8:9], 0, s[8:9]
	v_lshl_add_u64 v[18:19], v[8:9], 0, s[8:9]
	global_load_dwordx4 v[26:29], v[8:9], off offset:-512
	global_load_dwordx4 v[30:33], v[18:19], off offset:-512
	v_add_u32_e32 v17, 8, v14
	s_movk_i32 s8, 0x210
	v_add_u32_e32 v18, 16, v14
	v_add_u32_e32 v19, 24, v14
	v_mad_u32_u24 v8, v17, s8, v15
	v_mov_b64_e32 v[40:41], v[10:11]
	v_add_u32_e32 v9, 0x1080, v8
	v_add_u32_e32 v15, 0x2100, v8
	s_waitcnt vmcnt(3)
	ds_write2_b64 v16, v[4:5], v[6:7] offset1:1
	s_waitcnt vmcnt(2)
	ds_write2_b64 v8, v[22:23], v[24:25] offset1:1
	;; [unrolled: 2-line block ×4, first 2 shown]
.LBB124_92:
	v_lshlrev_b32_e32 v8, 4, v14
	v_add_u32_e32 v4, v43, v8
	s_waitcnt lgkmcnt(0)
	s_barrier
	ds_read_b128 v[4:7], v4
	ds_read_b128 v[22:25], v8 offset:18176
	v_lshlrev_b32_e32 v8, 4, v17
	v_add_u32_e32 v9, v43, v8
	ds_read_b128 v[46:49], v9
	ds_read_b128 v[14:17], v8 offset:18176
	s_waitcnt lgkmcnt(2)
	v_mul_f64 v[8:9], v[6:7], v[24:25]
	v_fma_f64 v[8:9], v[4:5], v[22:23], -v[8:9]
	v_mul_f64 v[66:67], v[4:5], v[24:25]
	v_add_f64 v[4:5], v[8:9], 0
	s_waitcnt lgkmcnt(0)
	v_mul_f64 v[8:9], v[48:49], v[16:17]
	v_fma_f64 v[8:9], v[46:47], v[14:15], -v[8:9]
	v_add_f64 v[4:5], v[4:5], v[8:9]
	v_lshlrev_b32_e32 v8, 4, v18
	v_add_u32_e32 v9, v43, v8
	ds_read_b128 v[50:53], v9
	ds_read_b128 v[54:57], v8 offset:18176
	v_lshlrev_b32_e32 v8, 4, v19
	v_add_u32_e32 v9, v43, v8
	ds_read_b128 v[58:61], v9
	ds_read_b128 v[62:65], v8 offset:18176
	v_mul_f64 v[68:69], v[46:47], v[16:17]
	s_waitcnt lgkmcnt(2)
	v_mul_f64 v[8:9], v[52:53], v[56:57]
	v_fma_f64 v[8:9], v[50:51], v[54:55], -v[8:9]
	v_add_f64 v[4:5], v[4:5], v[8:9]
	s_waitcnt lgkmcnt(0)
	v_mul_f64 v[8:9], v[60:61], v[64:65]
	v_fmac_f64_e32 v[66:67], v[6:7], v[22:23]
	v_fma_f64 v[8:9], v[58:59], v[62:63], -v[8:9]
	v_fmac_f64_e32 v[68:69], v[48:49], v[14:15]
	v_add_f64 v[14:15], v[66:67], 0
	v_add_f64 v[46:47], v[4:5], v[8:9]
	ds_read_b128 v[16:19], v13 offset:528
	ds_read_b128 v[8:11], v13 offset:544
	ds_read_b128 v[28:31], v13 offset:512
	ds_read_b128 v[32:35], v20
	ds_read_b128 v[4:7], v13 offset:560
	ds_read_b128 v[24:27], v21
	v_add_f64 v[48:49], v[14:15], v[68:69]
	ds_read_b128 v[20:23], v12
	ds_read_b128 v[12:15], v45
	v_mul_f64 v[50:51], v[50:51], v[56:57]
	v_mul_f64 v[56:57], v[58:59], v[64:65]
	v_fmac_f64_e32 v[50:51], v[52:53], v[54:55]
	v_add_f64 v[48:49], v[48:49], v[50:51]
	v_fmac_f64_e32 v[56:57], v[60:61], v[62:63]
	v_add_f64 v[48:49], v[48:49], v[56:57]
	s_waitcnt lgkmcnt(0)
	s_barrier
	ds_write_b128 v44, v[46:49]
	s_waitcnt lgkmcnt(0)
	s_barrier
	s_and_saveexec_b64 s[8:9], s[6:7]
	s_cbranch_execz .LBB124_94
; %bb.93:
	ds_read_b128 v[46:49], v43
	ds_read_b128 v[50:53], v43 offset:16
	ds_read_b128 v[54:57], v43 offset:32
	;; [unrolled: 1-line block ×3, first 2 shown]
	s_waitcnt lgkmcnt(3)
	v_add_f64 v[0:1], v[0:1], v[46:47]
	v_add_f64 v[2:3], v[2:3], v[48:49]
	s_waitcnt lgkmcnt(2)
	v_add_f64 v[0:1], v[0:1], v[50:51]
	v_add_f64 v[46:47], v[2:3], v[52:53]
	s_waitcnt lgkmcnt(1)
	v_add_f64 v[48:49], v[0:1], v[54:55]
	ds_read_b128 v[0:3], v43 offset:64
	v_add_f64 v[46:47], v[46:47], v[56:57]
	s_waitcnt lgkmcnt(1)
	v_add_f64 v[50:51], v[48:49], v[58:59]
	v_add_f64 v[54:55], v[46:47], v[60:61]
	ds_read_b128 v[46:49], v43 offset:80
	s_waitcnt lgkmcnt(1)
	v_add_f64 v[56:57], v[50:51], v[0:1]
	ds_read_b128 v[50:53], v43 offset:96
	v_add_f64 v[54:55], v[54:55], v[2:3]
	ds_read_b128 v[0:3], v43 offset:112
	s_waitcnt lgkmcnt(2)
	v_add_f64 v[46:47], v[56:57], v[46:47]
	v_add_f64 v[48:49], v[54:55], v[48:49]
	s_waitcnt lgkmcnt(1)
	v_add_f64 v[46:47], v[46:47], v[50:51]
	v_add_f64 v[48:49], v[48:49], v[52:53]
	;; [unrolled: 3-line block ×3, first 2 shown]
.LBB124_94:
	s_or_b64 exec, exec, s[8:9]
	v_mul_f64 v[46:47], v[30:31], v[34:35]
	v_fma_f64 v[46:47], v[28:29], v[32:33], -v[46:47]
	v_mul_f64 v[28:29], v[28:29], v[34:35]
	v_fmac_f64_e32 v[28:29], v[30:31], v[32:33]
	v_mul_f64 v[32:33], v[18:19], v[26:27]
	v_fma_f64 v[32:33], v[16:17], v[24:25], -v[32:33]
	v_mul_f64 v[16:17], v[16:17], v[26:27]
	v_fmac_f64_e32 v[16:17], v[18:19], v[24:25]
	v_mul_f64 v[24:25], v[10:11], v[22:23]
	v_add_f64 v[28:29], v[28:29], 0
	v_fma_f64 v[24:25], v[8:9], v[20:21], -v[24:25]
	v_mul_f64 v[8:9], v[8:9], v[22:23]
	v_add_f64 v[30:31], v[46:47], 0
	v_add_f64 v[16:17], v[28:29], v[16:17]
	v_fmac_f64_e32 v[8:9], v[10:11], v[20:21]
	v_add_f64 v[18:19], v[30:31], v[32:33]
	v_add_f64 v[8:9], v[16:17], v[8:9]
	v_mul_f64 v[16:17], v[6:7], v[14:15]
	v_mul_f64 v[14:15], v[4:5], v[14:15]
	v_add_f64 v[10:11], v[18:19], v[24:25]
	v_fma_f64 v[16:17], v[4:5], v[12:13], -v[16:17]
	v_fmac_f64_e32 v[14:15], v[6:7], v[12:13]
	v_add_f64 v[4:5], v[10:11], v[16:17]
	v_add_f64 v[6:7], v[8:9], v[14:15]
	s_barrier
	ds_write_b128 v44, v[4:7]
	s_waitcnt lgkmcnt(0)
	s_barrier
	s_and_saveexec_b64 s[6:7], s[14:15]
	s_cbranch_execz .LBB124_96
; %bb.95:
	ds_read_b128 v[4:7], v43
	ds_read_b128 v[8:11], v43 offset:16
	ds_read_b128 v[12:15], v43 offset:32
	;; [unrolled: 1-line block ×3, first 2 shown]
	s_waitcnt lgkmcnt(3)
	v_add_f64 v[0:1], v[0:1], v[4:5]
	v_add_f64 v[2:3], v[2:3], v[6:7]
	s_waitcnt lgkmcnt(2)
	v_add_f64 v[0:1], v[0:1], v[8:9]
	v_add_f64 v[4:5], v[2:3], v[10:11]
	s_waitcnt lgkmcnt(1)
	v_add_f64 v[6:7], v[0:1], v[12:13]
	ds_read_b128 v[0:3], v43 offset:64
	v_add_f64 v[4:5], v[4:5], v[14:15]
	s_waitcnt lgkmcnt(1)
	v_add_f64 v[8:9], v[6:7], v[16:17]
	v_add_f64 v[12:13], v[4:5], v[18:19]
	ds_read_b128 v[4:7], v43 offset:80
	s_waitcnt lgkmcnt(1)
	v_add_f64 v[14:15], v[8:9], v[0:1]
	ds_read_b128 v[8:11], v43 offset:96
	v_add_f64 v[12:13], v[12:13], v[2:3]
	ds_read_b128 v[0:3], v43 offset:112
	s_waitcnt lgkmcnt(2)
	v_add_f64 v[4:5], v[14:15], v[4:5]
	v_add_f64 v[6:7], v[12:13], v[6:7]
	s_waitcnt lgkmcnt(1)
	v_add_f64 v[4:5], v[4:5], v[8:9]
	v_add_f64 v[6:7], v[6:7], v[10:11]
	;; [unrolled: 3-line block ×3, first 2 shown]
.LBB124_96:
	s_or_b64 exec, exec, s[6:7]
	s_load_dwordx2 s[0:1], s[0:1], 0x78
	s_mul_hi_u32 s6, s34, s3
	s_mul_i32 s31, s31, s3
	s_add_i32 s6, s6, s31
	s_mul_i32 s3, s34, s3
	s_mul_i32 s6, s6, s33
	s_mul_hi_u32 s7, s3, s33
	s_add_i32 s7, s7, s6
	s_mul_i32 s6, s3, s33
	s_lshl_b64 s[6:7], s[6:7], 4
	s_waitcnt lgkmcnt(0)
	s_add_u32 s3, s0, s6
	s_addc_u32 s6, s1, s7
	s_mul_hi_i32 s1, s34, s2
	s_mul_i32 s0, s34, s2
	s_lshl_b64 s[0:1], s[0:1], 4
	s_add_u32 s8, s3, s0
	s_addc_u32 s9, s6, s1
	s_add_i32 s0, s2, 1
	s_cmp_ge_u32 s0, s33
	v_lshlrev_b32_e32 v166, 4, v202
	s_barrier
	s_cbranch_scc1 .LBB124_154
; %bb.97:
	s_mul_i32 s0, s28, s27
	s_mul_hi_u32 s1, s28, s26
	s_add_i32 s0, s1, s0
	s_mul_i32 s1, s29, s26
	s_add_i32 s1, s0, s1
	s_mul_i32 s0, s28, s26
	s_lshl_b64 s[0:1], s[0:1], 4
	v_mov_b32_e32 v4, s1
	v_subrev_co_u32_e32 v168, vcc, s0, v36
	s_movk_i32 s0, 0x10c0
	s_nop 0
	v_subb_co_u32_e32 v169, vcc, v37, v4, vcc
	v_lshrrev_b32_e32 v4, 4, v42
	v_lshlrev_b32_e32 v6, 6, v4
	v_mul_i32_i24_e32 v44, 0xffffffd0, v4
	v_and_b32_e32 v4, 48, v202
	v_and_b32_e32 v5, 15, v202
	v_lshlrev_b32_e32 v43, 6, v203
	v_mad_u32_u24 v208, v203, s0, v166
	s_movk_i32 s0, 0x430
	v_lshlrev_b32_e32 v4, 4, v4
	v_mad_u32_u24 v210, v5, s0, v4
	v_or_b32_e32 v4, 0xf0, v166
	v_add_u32_e32 v7, 0x200, v43
	v_mad_u32_u24 v209, v5, s0, v6
	v_mad_u32_u24 v211, v5, s0, v4
	v_mad_u64_u32 v[4:5], s[0:1], s20, v7, 0
	v_mov_b32_e32 v6, v5
	v_lshlrev_b64 v[8:9], 4, v[38:39]
	v_mad_u64_u32 v[6:7], s[0:1], s21, v7, v[6:7]
	v_sub_co_u32_e32 v4, vcc, v4, v8
	v_add_u32_e32 v11, 0x530, v43
	s_nop 0
	v_subb_co_u32_e32 v5, vcc, v6, v9, vcc
	v_mad_u64_u32 v[6:7], s[0:1], s20, v11, 0
	v_mov_b32_e32 v10, v7
	v_mad_u64_u32 v[10:11], s[0:1], s21, v11, v[10:11]
	v_sub_co_u32_e32 v6, vcc, v6, v8
	v_add_u32_e32 v13, 0x220, v43
	s_nop 0
	v_subb_co_u32_e32 v7, vcc, v10, v9, vcc
	v_mad_u64_u32 v[10:11], s[0:1], s20, v13, 0
	v_mov_b32_e32 v12, v11
	v_mad_u64_u32 v[12:13], s[0:1], s21, v13, v[12:13]
	v_sub_co_u32_e32 v10, vcc, v10, v8
	v_add_u32_e32 v15, 0x520, v43
	s_nop 0
	v_subb_co_u32_e32 v11, vcc, v12, v9, vcc
	v_mad_u64_u32 v[12:13], s[0:1], s20, v15, 0
	v_mov_b32_e32 v14, v13
	v_mad_u64_u32 v[14:15], s[0:1], s21, v15, v[14:15]
	v_sub_co_u32_e32 v12, vcc, v12, v8
	v_add_u32_e32 v17, 0x210, v43
	s_nop 0
	v_subb_co_u32_e32 v13, vcc, v14, v9, vcc
	v_mad_u64_u32 v[14:15], s[0:1], s20, v17, 0
	v_mov_b32_e32 v16, v15
	v_mad_u64_u32 v[16:17], s[0:1], s21, v17, v[16:17]
	v_sub_co_u32_e32 v14, vcc, v14, v8
	v_add_u32_e32 v19, 0x510, v43
	s_nop 0
	v_subb_co_u32_e32 v15, vcc, v16, v9, vcc
	v_mad_u64_u32 v[16:17], s[0:1], s20, v19, 0
	v_mov_b32_e32 v18, v17
	v_mad_u64_u32 v[18:19], s[0:1], s21, v19, v[18:19]
	v_sub_co_u32_e32 v16, vcc, v16, v8
	v_add_u32_e32 v21, 0x230, v43
	s_nop 0
	v_subb_co_u32_e32 v17, vcc, v18, v9, vcc
	v_mad_u64_u32 v[18:19], s[0:1], s20, v21, 0
	v_mov_b32_e32 v20, v19
	v_mad_u64_u32 v[20:21], s[0:1], s21, v21, v[20:21]
	v_sub_co_u32_e32 v18, vcc, v18, v8
	v_add_u32_e32 v23, 0x500, v43
	s_nop 0
	v_subb_co_u32_e32 v19, vcc, v20, v9, vcc
	v_mad_u64_u32 v[20:21], s[0:1], s20, v23, 0
	v_mov_b32_e32 v22, v21
	v_mad_u64_u32 v[22:23], s[0:1], s21, v23, v[22:23]
	v_sub_co_u32_e32 v20, vcc, v20, v8
	v_add_u32_e32 v25, 0x300, v43
	s_nop 0
	v_subb_co_u32_e32 v21, vcc, v22, v9, vcc
	v_mad_u64_u32 v[22:23], s[0:1], s20, v25, 0
	v_mov_b32_e32 v24, v23
	v_mad_u64_u32 v[24:25], s[0:1], s21, v25, v[24:25]
	v_sub_co_u32_e32 v22, vcc, v22, v8
	v_add_u32_e32 v27, 0x430, v43
	s_nop 0
	v_subb_co_u32_e32 v23, vcc, v24, v9, vcc
	v_mad_u64_u32 v[24:25], s[0:1], s20, v27, 0
	v_mov_b32_e32 v26, v25
	v_mad_u64_u32 v[26:27], s[0:1], s21, v27, v[26:27]
	v_sub_co_u32_e32 v24, vcc, v24, v8
	v_add_u32_e32 v29, 0x310, v43
	s_nop 0
	v_subb_co_u32_e32 v25, vcc, v26, v9, vcc
	v_mad_u64_u32 v[26:27], s[0:1], s20, v29, 0
	v_mov_b32_e32 v28, v27
	v_mad_u64_u32 v[28:29], s[0:1], s21, v29, v[28:29]
	v_sub_co_u32_e32 v26, vcc, v26, v8
	v_add_u32_e32 v31, 0x420, v43
	s_nop 0
	v_subb_co_u32_e32 v27, vcc, v28, v9, vcc
	v_mad_u64_u32 v[28:29], s[0:1], s20, v31, 0
	v_mov_b32_e32 v30, v29
	v_mad_u64_u32 v[30:31], s[0:1], s21, v31, v[30:31]
	v_sub_co_u32_e32 v28, vcc, v28, v8
	v_add_u32_e32 v33, 0x320, v43
	s_nop 0
	v_subb_co_u32_e32 v29, vcc, v30, v9, vcc
	v_mad_u64_u32 v[30:31], s[0:1], s20, v33, 0
	v_mov_b32_e32 v32, v31
	v_mad_u64_u32 v[32:33], s[0:1], s21, v33, v[32:33]
	v_sub_co_u32_e32 v30, vcc, v30, v8
	v_add_u32_e32 v35, 0x410, v43
	s_nop 0
	v_subb_co_u32_e32 v31, vcc, v32, v9, vcc
	v_mad_u64_u32 v[32:33], s[0:1], s20, v35, 0
	v_mov_b32_e32 v34, v33
	v_mad_u64_u32 v[34:35], s[0:1], s21, v35, v[34:35]
	v_sub_co_u32_e32 v32, vcc, v32, v8
	v_add_u32_e32 v37, 0x330, v43
	s_nop 0
	v_subb_co_u32_e32 v33, vcc, v34, v9, vcc
	v_mad_u64_u32 v[34:35], s[0:1], s20, v37, 0
	v_mov_b32_e32 v36, v35
	v_mad_u64_u32 v[36:37], s[0:1], s21, v37, v[36:37]
	v_sub_co_u32_e32 v34, vcc, v34, v8
	v_add_u32_e32 v39, 0x400, v43
	s_nop 0
	v_subb_co_u32_e32 v35, vcc, v36, v9, vcc
	v_mad_u64_u32 v[36:37], s[0:1], s20, v39, 0
	v_or_b32_e32 v4, 8, v4
	v_mov_b32_e32 v38, v37
	v_mad_u64_u32 v[38:39], s[0:1], s21, v39, v[38:39]
	v_lshl_add_u64 v[170:171], v[40:41], 0, v[4:5]
	v_sub_co_u32_e32 v4, vcc, v36, v8
	v_lshlrev_b32_e32 v204, 2, v203
	v_or_b32_e32 v14, 8, v14
	v_or_b32_e32 v18, 8, v18
	;; [unrolled: 1-line block ×6, first 2 shown]
	v_mov_b32_e32 v167, 0
	v_subb_co_u32_e32 v5, vcc, v38, v9, vcc
	v_or_b32_e32 v4, 8, v4
	s_add_i32 s3, s33, -2
	v_add_u32_e32 v205, 0x4300, v166
	v_add_u32_e32 v206, 0x4300, v43
	;; [unrolled: 1-line block ×3, first 2 shown]
	v_cmp_gt_u32_e64 s[6:7], 64, v42
	v_or_b32_e32 v212, 1, v204
	v_or_b32_e32 v213, 2, v204
	;; [unrolled: 1-line block ×3, first 2 shown]
	v_add_u32_e32 v215, 16, v204
	v_add_u32_e32 v216, 17, v204
	;; [unrolled: 1-line block ×12, first 2 shown]
	s_add_i32 s22, s26, 64
	s_lshl_b64 s[10:11], s[20:21], 10
	v_lshl_add_u64 v[172:173], v[40:41], 0, v[6:7]
	v_lshl_add_u64 v[174:175], v[40:41], 0, v[10:11]
	;; [unrolled: 1-line block ×15, first 2 shown]
	v_add_u32_e32 v227, v209, v44
	v_mov_b32_e32 v228, v167
	v_mov_b32_e32 v229, v167
	;; [unrolled: 1-line block ×4, first 2 shown]
	s_cmp_eq_u32 s3, s2
	s_cselect_b32 s20, s30, 0
	s_and_saveexec_b64 s[0:1], s[4:5]
	s_cbranch_execz .LBB124_102
.LBB124_98:
	s_cmp_lg_u32 s20, 0
	s_cselect_b64 s[12:13], -1, 0
	v_cmp_le_i32_e32 vcc, s20, v202
	s_and_b64 s[12:13], s[12:13], vcc
	s_and_saveexec_b64 s[14:15], s[12:13]
	s_xor_b64 s[12:13], exec, s[14:15]
; %bb.99:
	ds_write_b128 v205, v[228:231]
; %bb.100:
	s_andn2_saveexec_b64 s[12:13], s[12:13]
	s_cbranch_execz .LBB124_102
; %bb.101:
	s_ashr_i32 s12, s22, 31
	s_mul_hi_u32 s13, s28, s22
	s_mul_i32 s12, s28, s12
	s_add_i32 s12, s13, s12
	s_mul_i32 s13, s29, s22
	s_add_i32 s13, s12, s13
	s_mul_i32 s12, s28, s22
	v_lshl_add_u64 v[4:5], s[12:13], 4, v[168:169]
	global_load_dwordx4 v[4:7], v[4:5], off
	s_waitcnt vmcnt(0)
	ds_write2_b64 v205, v[4:5], v[6:7] offset1:1
.LBB124_102:                            ; =>This Inner Loop Header: Depth=1
	s_or_b64 exec, exec, s[0:1]
	s_cmp_eq_u32 s20, 0
	s_cselect_b64 s[12:13], -1, 0
	s_cmp_lg_u32 s20, 0
	s_cselect_b64 s[14:15], -1, 0
	v_lshl_add_u64 v[16:17], v[170:171], 0, v[166:167]
	s_and_b64 vcc, exec, s[14:15]
	s_waitcnt lgkmcnt(0)
	s_barrier
	s_cbranch_vccz .LBB124_110
; %bb.103:                              ;   in Loop: Header=BB124_102 Depth=1
	v_cmp_gt_i32_e32 vcc, s20, v204
	v_mov_b64_e32 v[8:9], 0
	v_mov_b64_e32 v[4:5], 0
	;; [unrolled: 1-line block ×3, first 2 shown]
	s_and_saveexec_b64 s[0:1], vcc
	s_cbranch_execz .LBB124_105
; %bb.104:                              ;   in Loop: Header=BB124_102 Depth=1
	global_load_dwordx4 v[4:7], v[16:17], off offset:-8
.LBB124_105:                            ;   in Loop: Header=BB124_102 Depth=1
	s_or_b64 exec, exec, s[0:1]
	v_cmp_gt_i32_e32 vcc, s20, v212
	v_mov_b64_e32 v[10:11], 0
	s_and_saveexec_b64 s[0:1], vcc
	s_cbranch_execz .LBB124_107
; %bb.106:                              ;   in Loop: Header=BB124_102 Depth=1
	v_lshl_add_u64 v[8:9], v[178:179], 0, v[166:167]
	global_load_dwordx4 v[8:11], v[8:9], off offset:-8
.LBB124_107:                            ;   in Loop: Header=BB124_102 Depth=1
	s_or_b64 exec, exec, s[0:1]
	v_cmp_gt_i32_e32 vcc, s20, v213
	v_mov_b64_e32 v[12:13], 0
	v_mov_b64_e32 v[14:15], 0
	s_and_saveexec_b64 s[0:1], vcc
	s_cbranch_execz .LBB124_109
; %bb.108:                              ;   in Loop: Header=BB124_102 Depth=1
	v_lshl_add_u64 v[12:13], v[174:175], 0, v[166:167]
	global_load_dwordx4 v[12:15], v[12:13], off
.LBB124_109:                            ;   in Loop: Header=BB124_102 Depth=1
	s_or_b64 exec, exec, s[0:1]
	v_cmp_gt_i32_e64 s[0:1], s20, v214
	s_branch .LBB124_112
.LBB124_110:                            ;   in Loop: Header=BB124_102 Depth=1
	s_mov_b64 s[0:1], 0
                                        ; implicit-def: $vgpr14_vgpr15
                                        ; implicit-def: $vgpr10_vgpr11
                                        ; implicit-def: $vgpr6_vgpr7
	s_cbranch_execz .LBB124_112
; %bb.111:                              ;   in Loop: Header=BB124_102 Depth=1
	s_waitcnt vmcnt(0)
	v_lshl_add_u64 v[8:9], v[178:179], 0, v[166:167]
	v_lshl_add_u64 v[12:13], v[174:175], 0, v[166:167]
	global_load_dwordx4 v[4:7], v[16:17], off offset:-8
	s_or_b64 s[0:1], s[0:1], exec
	global_load_dwordx4 v[8:11], v[8:9], off offset:-8
	s_nop 0
	global_load_dwordx4 v[12:15], v[12:13], off
.LBB124_112:                            ;   in Loop: Header=BB124_102 Depth=1
	v_mov_b64_e32 v[16:17], 0
	v_mov_b64_e32 v[18:19], 0
	s_and_saveexec_b64 s[16:17], s[0:1]
	s_cbranch_execz .LBB124_114
; %bb.113:                              ;   in Loop: Header=BB124_102 Depth=1
	v_lshl_add_u64 v[16:17], v[182:183], 0, v[166:167]
	global_load_dwordx4 v[16:19], v[16:17], off offset:-8
.LBB124_114:                            ;   in Loop: Header=BB124_102 Depth=1
	s_or_b64 exec, exec, s[16:17]
	ds_read_b128 v[36:39], v207
	ds_read_b128 v[32:35], v206
	ds_read_b128 v[28:31], v206 offset:16
	ds_read_b128 v[24:27], v206 offset:32
	ds_read_b128 v[20:23], v206 offset:48
	s_waitcnt vmcnt(0) lgkmcnt(4)
	v_mul_f64 v[40:41], v[6:7], v[38:39]
	v_mul_f64 v[42:43], v[4:5], v[38:39]
	v_fma_f64 v[40:41], v[4:5], v[36:37], -v[40:41]
	v_fmac_f64_e32 v[42:43], v[6:7], v[36:37]
	ds_write_b128 v208, v[40:43]
	v_mul_f64 v[40:41], v[10:11], v[38:39]
	v_mul_f64 v[42:43], v[8:9], v[38:39]
	v_fma_f64 v[40:41], v[8:9], v[36:37], -v[40:41]
	v_fmac_f64_e32 v[42:43], v[10:11], v[36:37]
	ds_write_b128 v208, v[40:43] offset:1072
	v_mul_f64 v[40:41], v[14:15], v[38:39]
	v_mul_f64 v[42:43], v[12:13], v[38:39]
	v_fma_f64 v[40:41], v[12:13], v[36:37], -v[40:41]
	v_fmac_f64_e32 v[42:43], v[14:15], v[36:37]
	ds_write_b128 v208, v[40:43] offset:2144
	v_mul_f64 v[40:41], v[18:19], v[38:39]
	v_mul_f64 v[42:43], v[16:17], v[38:39]
	v_fma_f64 v[40:41], v[16:17], v[36:37], -v[40:41]
	v_fmac_f64_e32 v[42:43], v[18:19], v[36:37]
	ds_write_b128 v208, v[40:43] offset:3216
	s_waitcnt lgkmcnt(0)
	s_barrier
	ds_read_b128 v[92:95], v209
	ds_read_b128 v[88:91], v209 offset:16
	ds_read_b128 v[84:87], v209 offset:32
	;; [unrolled: 1-line block ×3, first 2 shown]
	v_cndmask_b32_e64 v36, 0, 1, s[14:15]
	v_cmp_ne_u32_e64 s[0:1], 1, v36
	s_andn2_b64 vcc, exec, s[14:15]
	v_lshl_add_u64 v[48:49], v[186:187], 0, v[166:167]
	s_waitcnt lgkmcnt(0)
	s_barrier
	s_cbranch_vccnz .LBB124_122
; %bb.115:                              ;   in Loop: Header=BB124_102 Depth=1
	v_cmp_gt_i32_e32 vcc, s20, v215
	v_mov_b64_e32 v[40:41], 0
	v_mov_b64_e32 v[36:37], 0
	;; [unrolled: 1-line block ×3, first 2 shown]
	s_and_saveexec_b64 s[14:15], vcc
	s_cbranch_execz .LBB124_117
; %bb.116:                              ;   in Loop: Header=BB124_102 Depth=1
	global_load_dwordx4 v[36:39], v[48:49], off offset:-8
.LBB124_117:                            ;   in Loop: Header=BB124_102 Depth=1
	s_or_b64 exec, exec, s[14:15]
	v_cmp_gt_i32_e32 vcc, s20, v216
	v_mov_b64_e32 v[42:43], 0
	s_and_saveexec_b64 s[14:15], vcc
	s_cbranch_execz .LBB124_119
; %bb.118:                              ;   in Loop: Header=BB124_102 Depth=1
	v_lshl_add_u64 v[40:41], v[190:191], 0, v[166:167]
	global_load_dwordx4 v[40:43], v[40:41], off offset:-8
.LBB124_119:                            ;   in Loop: Header=BB124_102 Depth=1
	s_or_b64 exec, exec, s[14:15]
	v_cmp_gt_i32_e32 vcc, s20, v217
	v_mov_b64_e32 v[44:45], 0
	v_mov_b64_e32 v[46:47], 0
	s_and_saveexec_b64 s[14:15], vcc
	s_cbranch_execz .LBB124_121
; %bb.120:                              ;   in Loop: Header=BB124_102 Depth=1
	v_lshl_add_u64 v[44:45], v[194:195], 0, v[166:167]
	global_load_dwordx4 v[44:47], v[44:45], off offset:-8
.LBB124_121:                            ;   in Loop: Header=BB124_102 Depth=1
	s_or_b64 exec, exec, s[14:15]
	v_cmp_gt_i32_e64 s[14:15], s20, v218
	s_branch .LBB124_124
.LBB124_122:                            ;   in Loop: Header=BB124_102 Depth=1
	s_mov_b64 s[14:15], 0
                                        ; implicit-def: $vgpr46_vgpr47
                                        ; implicit-def: $vgpr42_vgpr43
                                        ; implicit-def: $vgpr38_vgpr39
	s_cbranch_execz .LBB124_124
; %bb.123:                              ;   in Loop: Header=BB124_102 Depth=1
	s_waitcnt vmcnt(0)
	v_lshl_add_u64 v[40:41], v[190:191], 0, v[166:167]
	v_lshl_add_u64 v[44:45], v[194:195], 0, v[166:167]
	global_load_dwordx4 v[36:39], v[48:49], off offset:-8
	s_or_b64 s[14:15], s[14:15], exec
	global_load_dwordx4 v[40:43], v[40:41], off offset:-8
	s_nop 0
	global_load_dwordx4 v[44:47], v[44:45], off offset:-8
.LBB124_124:                            ;   in Loop: Header=BB124_102 Depth=1
	v_mov_b64_e32 v[48:49], 0
	v_mov_b64_e32 v[50:51], 0
	s_and_saveexec_b64 s[16:17], s[14:15]
	s_cbranch_execz .LBB124_126
; %bb.125:                              ;   in Loop: Header=BB124_102 Depth=1
	v_lshl_add_u64 v[48:49], v[198:199], 0, v[166:167]
	global_load_dwordx4 v[48:51], v[48:49], off offset:-8
.LBB124_126:                            ;   in Loop: Header=BB124_102 Depth=1
	s_or_b64 exec, exec, s[16:17]
	ds_read_b128 v[68:71], v207
	ds_read_b128 v[64:67], v206 offset:256
	ds_read_b128 v[60:63], v206 offset:272
	;; [unrolled: 1-line block ×4, first 2 shown]
	s_waitcnt vmcnt(0) lgkmcnt(4)
	v_mul_f64 v[72:73], v[38:39], v[70:71]
	v_mul_f64 v[74:75], v[36:37], v[70:71]
	v_fma_f64 v[72:73], v[36:37], v[68:69], -v[72:73]
	v_fmac_f64_e32 v[74:75], v[38:39], v[68:69]
	ds_write_b128 v208, v[72:75]
	v_mul_f64 v[72:73], v[42:43], v[70:71]
	v_mul_f64 v[74:75], v[40:41], v[70:71]
	v_fma_f64 v[72:73], v[40:41], v[68:69], -v[72:73]
	v_fmac_f64_e32 v[74:75], v[42:43], v[68:69]
	ds_write_b128 v208, v[72:75] offset:1072
	v_mul_f64 v[72:73], v[46:47], v[70:71]
	v_mul_f64 v[74:75], v[44:45], v[70:71]
	v_fma_f64 v[72:73], v[44:45], v[68:69], -v[72:73]
	v_fmac_f64_e32 v[74:75], v[46:47], v[68:69]
	ds_write_b128 v208, v[72:75] offset:2144
	;; [unrolled: 5-line block ×3, first 2 shown]
	s_waitcnt lgkmcnt(0)
	s_barrier
	ds_read_b128 v[144:147], v209
	ds_read_b128 v[140:143], v209 offset:16
	ds_read_b128 v[136:139], v209 offset:32
	;; [unrolled: 1-line block ×3, first 2 shown]
	s_and_b64 vcc, exec, s[0:1]
	v_lshl_add_u64 v[96:97], v[200:201], 0, v[166:167]
	s_waitcnt lgkmcnt(0)
	s_barrier
	s_cbranch_vccnz .LBB124_134
; %bb.127:                              ;   in Loop: Header=BB124_102 Depth=1
	v_cmp_gt_i32_e32 vcc, s20, v219
	v_mov_b64_e32 v[72:73], 0
	v_mov_b64_e32 v[68:69], 0
	;; [unrolled: 1-line block ×3, first 2 shown]
	s_and_saveexec_b64 s[14:15], vcc
	s_cbranch_execz .LBB124_129
; %bb.128:                              ;   in Loop: Header=BB124_102 Depth=1
	global_load_dwordx4 v[68:71], v[96:97], off offset:-8
.LBB124_129:                            ;   in Loop: Header=BB124_102 Depth=1
	s_or_b64 exec, exec, s[14:15]
	v_cmp_gt_i32_e32 vcc, s20, v220
	v_mov_b64_e32 v[74:75], 0
	s_and_saveexec_b64 s[14:15], vcc
	s_cbranch_execz .LBB124_131
; %bb.130:                              ;   in Loop: Header=BB124_102 Depth=1
	v_lshl_add_u64 v[72:73], v[196:197], 0, v[166:167]
	global_load_dwordx4 v[72:75], v[72:73], off
.LBB124_131:                            ;   in Loop: Header=BB124_102 Depth=1
	s_or_b64 exec, exec, s[14:15]
	v_cmp_gt_i32_e32 vcc, s20, v221
	v_mov_b64_e32 v[76:77], 0
	v_mov_b64_e32 v[78:79], 0
	s_and_saveexec_b64 s[14:15], vcc
	s_cbranch_execz .LBB124_133
; %bb.132:                              ;   in Loop: Header=BB124_102 Depth=1
	v_lshl_add_u64 v[76:77], v[192:193], 0, v[166:167]
	global_load_dwordx4 v[76:79], v[76:77], off
.LBB124_133:                            ;   in Loop: Header=BB124_102 Depth=1
	s_or_b64 exec, exec, s[14:15]
	v_cmp_gt_i32_e64 s[14:15], s20, v222
	s_branch .LBB124_136
.LBB124_134:                            ;   in Loop: Header=BB124_102 Depth=1
	s_mov_b64 s[14:15], 0
                                        ; implicit-def: $vgpr78_vgpr79
                                        ; implicit-def: $vgpr74_vgpr75
                                        ; implicit-def: $vgpr70_vgpr71
	s_cbranch_execz .LBB124_136
; %bb.135:                              ;   in Loop: Header=BB124_102 Depth=1
	s_waitcnt vmcnt(0)
	v_lshl_add_u64 v[72:73], v[196:197], 0, v[166:167]
	v_lshl_add_u64 v[76:77], v[192:193], 0, v[166:167]
	global_load_dwordx4 v[68:71], v[96:97], off offset:-8
	s_or_b64 s[14:15], s[14:15], exec
	global_load_dwordx4 v[72:75], v[72:73], off
	s_nop 0
	global_load_dwordx4 v[76:79], v[76:77], off
.LBB124_136:                            ;   in Loop: Header=BB124_102 Depth=1
	v_mov_b64_e32 v[96:97], 0
	v_mov_b64_e32 v[98:99], 0
	s_and_saveexec_b64 s[16:17], s[14:15]
	s_cbranch_execz .LBB124_138
; %bb.137:                              ;   in Loop: Header=BB124_102 Depth=1
	v_lshl_add_u64 v[96:97], v[188:189], 0, v[166:167]
	global_load_dwordx4 v[96:99], v[96:97], off
.LBB124_138:                            ;   in Loop: Header=BB124_102 Depth=1
	s_or_b64 exec, exec, s[16:17]
	ds_read_b128 v[116:119], v207
	ds_read_b128 v[112:115], v206 offset:512
	ds_read_b128 v[108:111], v206 offset:528
	;; [unrolled: 1-line block ×4, first 2 shown]
	s_waitcnt vmcnt(0) lgkmcnt(4)
	v_mul_f64 v[120:121], v[70:71], v[118:119]
	v_mul_f64 v[122:123], v[68:69], v[118:119]
	v_fma_f64 v[120:121], v[68:69], v[116:117], -v[120:121]
	v_fmac_f64_e32 v[122:123], v[70:71], v[116:117]
	ds_write_b128 v208, v[120:123]
	v_mul_f64 v[120:121], v[74:75], v[118:119]
	v_mul_f64 v[122:123], v[72:73], v[118:119]
	v_fma_f64 v[120:121], v[72:73], v[116:117], -v[120:121]
	v_fmac_f64_e32 v[122:123], v[74:75], v[116:117]
	ds_write_b128 v208, v[120:123] offset:1072
	v_mul_f64 v[120:121], v[78:79], v[118:119]
	v_mul_f64 v[122:123], v[76:77], v[118:119]
	v_fma_f64 v[120:121], v[76:77], v[116:117], -v[120:121]
	v_fmac_f64_e32 v[122:123], v[78:79], v[116:117]
	ds_write_b128 v208, v[120:123] offset:2144
	;; [unrolled: 5-line block ×3, first 2 shown]
	s_waitcnt lgkmcnt(0)
	s_barrier
	ds_read_b128 v[160:163], v209
	ds_read_b128 v[156:159], v209 offset:16
	ds_read_b128 v[152:155], v209 offset:32
	;; [unrolled: 1-line block ×3, first 2 shown]
	s_and_b64 vcc, exec, s[0:1]
	v_lshl_add_u64 v[128:129], v[184:185], 0, v[166:167]
	s_waitcnt lgkmcnt(0)
	s_barrier
	s_cbranch_vccnz .LBB124_146
; %bb.139:                              ;   in Loop: Header=BB124_102 Depth=1
	v_cmp_gt_i32_e32 vcc, s20, v223
	v_mov_b64_e32 v[120:121], 0
	v_mov_b64_e32 v[116:117], 0
	;; [unrolled: 1-line block ×3, first 2 shown]
	s_and_saveexec_b64 s[0:1], vcc
	s_cbranch_execz .LBB124_141
; %bb.140:                              ;   in Loop: Header=BB124_102 Depth=1
	global_load_dwordx4 v[116:119], v[128:129], off
.LBB124_141:                            ;   in Loop: Header=BB124_102 Depth=1
	s_or_b64 exec, exec, s[0:1]
	v_cmp_gt_i32_e32 vcc, s20, v224
	v_mov_b64_e32 v[122:123], 0
	s_and_saveexec_b64 s[0:1], vcc
	s_cbranch_execz .LBB124_143
; %bb.142:                              ;   in Loop: Header=BB124_102 Depth=1
	v_lshl_add_u64 v[120:121], v[180:181], 0, v[166:167]
	global_load_dwordx4 v[120:123], v[120:121], off
.LBB124_143:                            ;   in Loop: Header=BB124_102 Depth=1
	s_or_b64 exec, exec, s[0:1]
	v_cmp_gt_i32_e32 vcc, s20, v225
	v_mov_b64_e32 v[124:125], 0
	v_mov_b64_e32 v[126:127], 0
	s_and_saveexec_b64 s[0:1], vcc
	s_cbranch_execz .LBB124_145
; %bb.144:                              ;   in Loop: Header=BB124_102 Depth=1
	v_lshl_add_u64 v[124:125], v[176:177], 0, v[166:167]
	global_load_dwordx4 v[124:127], v[124:125], off
.LBB124_145:                            ;   in Loop: Header=BB124_102 Depth=1
	s_or_b64 exec, exec, s[0:1]
	v_cmp_gt_i32_e64 s[0:1], s20, v226
	s_branch .LBB124_148
.LBB124_146:                            ;   in Loop: Header=BB124_102 Depth=1
	s_mov_b64 s[0:1], 0
                                        ; implicit-def: $vgpr126_vgpr127
                                        ; implicit-def: $vgpr122_vgpr123
                                        ; implicit-def: $vgpr118_vgpr119
	s_cbranch_execz .LBB124_148
; %bb.147:                              ;   in Loop: Header=BB124_102 Depth=1
	s_waitcnt vmcnt(0)
	v_lshl_add_u64 v[120:121], v[180:181], 0, v[166:167]
	v_lshl_add_u64 v[124:125], v[176:177], 0, v[166:167]
	global_load_dwordx4 v[116:119], v[128:129], off
	s_or_b64 s[0:1], s[0:1], exec
	global_load_dwordx4 v[120:123], v[120:121], off
	s_nop 0
	global_load_dwordx4 v[124:127], v[124:125], off
.LBB124_148:                            ;   in Loop: Header=BB124_102 Depth=1
	v_mov_b64_e32 v[128:129], 0
	v_mov_b64_e32 v[130:131], 0
	s_and_saveexec_b64 s[14:15], s[0:1]
	s_cbranch_execz .LBB124_150
; %bb.149:                              ;   in Loop: Header=BB124_102 Depth=1
	v_lshl_add_u64 v[128:129], v[172:173], 0, v[166:167]
	global_load_dwordx4 v[128:131], v[128:129], off
.LBB124_150:                            ;   in Loop: Header=BB124_102 Depth=1
	s_or_b64 exec, exec, s[14:15]
	v_add_f64 v[160:161], v[160:161], 0
	v_add_f64 v[144:145], v[144:145], 0
	;; [unrolled: 1-line block ×19, first 2 shown]
	ds_read_b128 v[140:143], v207
	ds_read_b128 v[132:135], v206 offset:768
	ds_read_b128 v[92:95], v206 offset:784
	;; [unrolled: 1-line block ×4, first 2 shown]
	s_waitcnt vmcnt(0) lgkmcnt(4)
	v_mul_f64 v[144:145], v[118:119], v[142:143]
	v_mul_f64 v[146:147], v[116:117], v[142:143]
	v_fma_f64 v[144:145], v[116:117], v[140:141], -v[144:145]
	v_fmac_f64_e32 v[146:147], v[118:119], v[140:141]
	ds_write_b128 v208, v[144:147]
	v_mul_f64 v[144:145], v[122:123], v[142:143]
	v_mul_f64 v[146:147], v[120:121], v[142:143]
	v_fma_f64 v[144:145], v[120:121], v[140:141], -v[144:145]
	v_fmac_f64_e32 v[146:147], v[122:123], v[140:141]
	ds_write_b128 v208, v[144:147] offset:1072
	v_mul_f64 v[144:145], v[126:127], v[142:143]
	v_mul_f64 v[146:147], v[124:125], v[142:143]
	v_fma_f64 v[144:145], v[124:125], v[140:141], -v[144:145]
	v_fmac_f64_e32 v[146:147], v[126:127], v[140:141]
	ds_write_b128 v208, v[144:147] offset:2144
	v_mul_f64 v[144:145], v[130:131], v[142:143]
	v_mul_f64 v[146:147], v[128:129], v[142:143]
	v_fma_f64 v[144:145], v[128:129], v[140:141], -v[144:145]
	v_fmac_f64_e32 v[146:147], v[130:131], v[140:141]
	v_add_f64 v[162:163], v[162:163], 0
	ds_write_b128 v208, v[144:147] offset:3216
	s_waitcnt lgkmcnt(0)
	s_barrier
	ds_read_b128 v[140:143], v209
	v_add_f64 v[158:159], v[162:163], v[158:159]
	v_add_f64 v[154:155], v[158:159], v[154:155]
	;; [unrolled: 1-line block ×4, first 2 shown]
	ds_read_b128 v[144:147], v209 offset:16
	ds_read_b128 v[152:155], v209 offset:32
	;; [unrolled: 1-line block ×3, first 2 shown]
	s_waitcnt lgkmcnt(3)
	v_add_f64 v[140:141], v[140:141], 0
	v_add_f64 v[142:143], v[142:143], 0
	v_cmp_gt_i32_e32 vcc, s20, v202
	s_waitcnt lgkmcnt(2)
	v_add_f64 v[140:141], v[140:141], v[144:145]
	v_add_f64 v[142:143], v[142:143], v[146:147]
	s_or_b64 s[0:1], s[12:13], vcc
	s_waitcnt lgkmcnt(1)
	v_add_f64 v[140:141], v[140:141], v[152:153]
	v_add_f64 v[142:143], v[142:143], v[154:155]
	s_and_b64 s[12:13], s[6:7], s[0:1]
	s_waitcnt lgkmcnt(0)
	v_add_f64 v[140:141], v[140:141], v[156:157]
	v_add_f64 v[142:143], v[142:143], v[158:159]
	s_barrier
	ds_write_b128 v227, v[80:83]
	ds_write_b128 v227, v[136:139] offset:256
	ds_write_b128 v227, v[148:151] offset:512
	ds_write_b128 v227, v[140:143] offset:768
	s_waitcnt lgkmcnt(0)
	s_barrier
	s_and_saveexec_b64 s[0:1], s[12:13]
	s_cbranch_execz .LBB124_152
; %bb.151:                              ;   in Loop: Header=BB124_102 Depth=1
	ds_read_b128 v[80:83], v210
	ds_read_b128 v[136:139], v210 offset:16
	ds_read_b128 v[140:143], v210 offset:32
	;; [unrolled: 1-line block ×3, first 2 shown]
	s_waitcnt lgkmcnt(2)
	v_add_f64 v[80:81], v[136:137], v[80:81]
	v_add_f64 v[136:137], v[138:139], v[82:83]
	s_waitcnt lgkmcnt(1)
	v_add_f64 v[138:139], v[80:81], v[140:141]
	ds_read_b128 v[80:83], v210 offset:64
	v_add_f64 v[140:141], v[136:137], v[142:143]
	s_waitcnt lgkmcnt(1)
	v_add_f64 v[142:143], v[138:139], v[144:145]
	ds_read_b128 v[136:139], v210 offset:80
	;; [unrolled: 4-line block ×9, first 2 shown]
	v_add_f64 v[82:83], v[144:145], v[82:83]
	s_waitcnt lgkmcnt(1)
	v_add_f64 v[136:137], v[80:81], v[136:137]
	v_add_f64 v[144:145], v[82:83], v[138:139]
	ds_read_b128 v[80:83], v210 offset:208
	s_waitcnt lgkmcnt(1)
	v_add_f64 v[146:147], v[136:137], v[140:141]
	ds_read_b128 v[136:139], v210 offset:224
	v_add_f64 v[144:145], v[144:145], v[142:143]
	ds_read_b128 v[140:143], v211
	s_waitcnt lgkmcnt(2)
	v_add_f64 v[80:81], v[146:147], v[80:81]
	v_add_f64 v[82:83], v[144:145], v[82:83]
	s_waitcnt lgkmcnt(1)
	v_add_f64 v[80:81], v[80:81], v[136:137]
	v_add_u32_e32 v136, s22, v202
	v_add_f64 v[82:83], v[82:83], v[138:139]
	v_ashrrev_i32_e32 v137, 31, v136
	s_waitcnt lgkmcnt(0)
	v_add_f64 v[80:81], v[80:81], v[140:141]
	v_add_f64 v[82:83], v[82:83], v[142:143]
	v_lshl_add_u64 v[136:137], v[136:137], 4, s[8:9]
	global_store_dwordx4 v[136:137], v[80:83], off
.LBB124_152:                            ;   in Loop: Header=BB124_102 Depth=1
	s_or_b64 exec, exec, s[0:1]
	s_nop 0
	v_mul_f64 v[80:81], v[6:7], v[34:35]
	v_fma_f64 v[80:81], v[4:5], v[32:33], -v[80:81]
	v_mul_f64 v[4:5], v[4:5], v[34:35]
	v_mul_f64 v[34:35], v[10:11], v[30:31]
	v_add_f64 v[0:1], v[0:1], v[80:81]
	v_fma_f64 v[34:35], v[8:9], v[28:29], -v[34:35]
	v_mul_f64 v[8:9], v[8:9], v[30:31]
	v_mul_f64 v[30:31], v[14:15], v[26:27]
	v_add_f64 v[0:1], v[0:1], v[34:35]
	v_fma_f64 v[30:31], v[12:13], v[24:25], -v[30:31]
	v_mul_f64 v[12:13], v[12:13], v[26:27]
	v_mul_f64 v[26:27], v[18:19], v[22:23]
	v_fmac_f64_e32 v[4:5], v[6:7], v[32:33]
	v_add_f64 v[0:1], v[0:1], v[30:31]
	v_fma_f64 v[26:27], v[16:17], v[20:21], -v[26:27]
	v_add_f64 v[2:3], v[2:3], v[4:5]
	v_mul_f64 v[4:5], v[38:39], v[66:67]
	v_add_f64 v[0:1], v[0:1], v[26:27]
	v_fma_f64 v[4:5], v[36:37], v[64:65], -v[4:5]
	v_add_f64 v[0:1], v[0:1], v[4:5]
	v_mul_f64 v[4:5], v[42:43], v[62:63]
	v_fma_f64 v[4:5], v[40:41], v[60:61], -v[4:5]
	v_add_f64 v[0:1], v[0:1], v[4:5]
	v_mul_f64 v[4:5], v[46:47], v[58:59]
	;; [unrolled: 3-line block ×4, first 2 shown]
	v_fmac_f64_e32 v[8:9], v[10:11], v[28:29]
	v_fma_f64 v[4:5], v[68:69], v[112:113], -v[4:5]
	v_mul_f64 v[16:17], v[16:17], v[22:23]
	v_add_f64 v[2:3], v[2:3], v[8:9]
	v_fmac_f64_e32 v[12:13], v[14:15], v[24:25]
	v_add_f64 v[0:1], v[0:1], v[4:5]
	v_mul_f64 v[4:5], v[74:75], v[110:111]
	v_add_f64 v[2:3], v[2:3], v[12:13]
	v_fmac_f64_e32 v[16:17], v[18:19], v[20:21]
	v_mul_f64 v[6:7], v[36:37], v[66:67]
	v_fma_f64 v[4:5], v[72:73], v[108:109], -v[4:5]
	v_add_f64 v[2:3], v[2:3], v[16:17]
	v_mul_f64 v[8:9], v[40:41], v[62:63]
	v_fmac_f64_e32 v[6:7], v[38:39], v[64:65]
	v_add_f64 v[0:1], v[0:1], v[4:5]
	v_mul_f64 v[4:5], v[78:79], v[106:107]
	v_mul_f64 v[10:11], v[44:45], v[58:59]
	v_add_f64 v[2:3], v[2:3], v[6:7]
	v_fmac_f64_e32 v[8:9], v[42:43], v[60:61]
	v_fma_f64 v[4:5], v[76:77], v[104:105], -v[4:5]
	v_mul_f64 v[12:13], v[48:49], v[54:55]
	v_add_f64 v[2:3], v[2:3], v[8:9]
	v_fmac_f64_e32 v[10:11], v[46:47], v[56:57]
	v_add_f64 v[0:1], v[0:1], v[4:5]
	v_mul_f64 v[4:5], v[98:99], v[102:103]
	v_add_f64 v[2:3], v[2:3], v[10:11]
	v_fmac_f64_e32 v[12:13], v[50:51], v[52:53]
	v_mul_f64 v[6:7], v[68:69], v[114:115]
	v_fma_f64 v[4:5], v[96:97], v[100:101], -v[4:5]
	v_add_f64 v[2:3], v[2:3], v[12:13]
	v_mul_f64 v[8:9], v[72:73], v[110:111]
	v_add_f64 v[0:1], v[0:1], v[4:5]
	v_fmac_f64_e32 v[6:7], v[70:71], v[112:113]
	v_mul_f64 v[4:5], v[118:119], v[134:135]
	v_mul_f64 v[10:11], v[76:77], v[106:107]
	v_add_f64 v[2:3], v[2:3], v[6:7]
	v_fmac_f64_e32 v[8:9], v[74:75], v[108:109]
	v_fma_f64 v[4:5], v[116:117], v[132:133], -v[4:5]
	v_mul_f64 v[12:13], v[96:97], v[102:103]
	v_add_f64 v[2:3], v[2:3], v[8:9]
	v_fmac_f64_e32 v[10:11], v[78:79], v[104:105]
	v_add_f64 v[0:1], v[0:1], v[4:5]
	v_mul_f64 v[4:5], v[122:123], v[94:95]
	v_add_f64 v[2:3], v[2:3], v[10:11]
	v_fmac_f64_e32 v[12:13], v[98:99], v[100:101]
	v_mul_f64 v[6:7], v[116:117], v[134:135]
	v_fma_f64 v[4:5], v[120:121], v[92:93], -v[4:5]
	v_add_f64 v[2:3], v[2:3], v[12:13]
	v_mul_f64 v[8:9], v[120:121], v[94:95]
	v_add_f64 v[0:1], v[0:1], v[4:5]
	v_mul_f64 v[4:5], v[126:127], v[90:91]
	v_fmac_f64_e32 v[6:7], v[118:119], v[132:133]
	v_fma_f64 v[4:5], v[124:125], v[88:89], -v[4:5]
	v_mul_f64 v[10:11], v[124:125], v[90:91]
	v_fmac_f64_e32 v[8:9], v[122:123], v[92:93]
	v_add_f64 v[2:3], v[2:3], v[6:7]
	v_add_f64 v[0:1], v[0:1], v[4:5]
	v_mul_f64 v[4:5], v[130:131], v[86:87]
	v_mul_f64 v[12:13], v[128:129], v[86:87]
	v_fmac_f64_e32 v[10:11], v[126:127], v[88:89]
	v_add_f64 v[2:3], v[2:3], v[8:9]
	v_fma_f64 v[4:5], v[128:129], v[84:85], -v[4:5]
	v_fmac_f64_e32 v[12:13], v[130:131], v[84:85]
	v_add_f64 v[2:3], v[2:3], v[10:11]
	s_add_i32 s0, s2, 1
	s_add_i32 s22, s22, 64
	;; [unrolled: 1-line block ×3, first 2 shown]
	v_add_f64 v[0:1], v[0:1], v[4:5]
	v_add_f64 v[2:3], v[2:3], v[12:13]
	v_lshl_add_u64 v[170:171], v[170:171], 0, s[10:11]
	v_lshl_add_u64 v[172:173], v[172:173], 0, s[10:11]
	;; [unrolled: 1-line block ×15, first 2 shown]
	s_cmp_ge_u32 s1, s33
	v_lshl_add_u64 v[200:201], v[200:201], 0, s[10:11]
	s_barrier
	s_cbranch_scc1 .LBB124_154
; %bb.153:                              ;   in Loop: Header=BB124_102 Depth=1
	s_mov_b32 s2, s0
	s_cmp_eq_u32 s3, s2
	s_cselect_b32 s20, s30, 0
	s_and_saveexec_b64 s[0:1], s[4:5]
	s_cbranch_execnz .LBB124_98
	s_branch .LBB124_102
.LBB124_154:
	s_movk_i32 s0, 0x430
	v_cmp_gt_i32_e32 vcc, s24, v202
	v_mad_u32_u24 v4, v203, s0, v166
	s_or_b64 s[0:1], s[18:19], vcc
	s_and_b64 s[0:1], s[4:5], s[0:1]
	ds_write_b128 v4, v[0:3]
	s_waitcnt lgkmcnt(0)
	s_barrier
	s_and_saveexec_b64 s[2:3], s[0:1]
	s_cbranch_execz .LBB124_156
; %bb.155:
	ds_read_b128 v[0:3], v166 offset:1072
	ds_read_b128 v[4:7], v166
	ds_read_b128 v[8:11], v166 offset:2144
	ds_read_b128 v[12:15], v166 offset:3216
	s_waitcnt lgkmcnt(2)
	v_add_f64 v[0:1], v[0:1], v[4:5]
	v_add_f64 v[2:3], v[2:3], v[6:7]
	s_waitcnt lgkmcnt(1)
	v_add_f64 v[0:1], v[0:1], v[8:9]
	v_add_f64 v[2:3], v[2:3], v[10:11]
	;; [unrolled: 3-line block ×3, first 2 shown]
	v_lshl_add_u64 v[4:5], v[164:165], 4, s[8:9]
	global_store_dwordx4 v[4:5], v[0:3], off
.LBB124_156:
	s_endpgm
	.section	.rodata,"a",@progbits
	.p2align	6, 0x0
	.amdhsa_kernel _ZL26rocblas_hemvn_kernel_upperILb0ELi64ELi4ELi33ELi32ELi16El19rocblas_complex_numIdEPKS1_PS1_EviT6_lT7_lT5_lS6_lS7_lS5_lT8_i
		.amdhsa_group_segment_fixed_size 19200
		.amdhsa_private_segment_fixed_size 0
		.amdhsa_kernarg_size 392
		.amdhsa_user_sgpr_count 2
		.amdhsa_user_sgpr_dispatch_ptr 0
		.amdhsa_user_sgpr_queue_ptr 0
		.amdhsa_user_sgpr_kernarg_segment_ptr 1
		.amdhsa_user_sgpr_dispatch_id 0
		.amdhsa_user_sgpr_kernarg_preload_length 0
		.amdhsa_user_sgpr_kernarg_preload_offset 0
		.amdhsa_user_sgpr_private_segment_size 0
		.amdhsa_uses_dynamic_stack 0
		.amdhsa_enable_private_segment 0
		.amdhsa_system_sgpr_workgroup_id_x 1
		.amdhsa_system_sgpr_workgroup_id_y 0
		.amdhsa_system_sgpr_workgroup_id_z 1
		.amdhsa_system_sgpr_workgroup_info 0
		.amdhsa_system_vgpr_workitem_id 1
		.amdhsa_next_free_vgpr 232
		.amdhsa_next_free_sgpr 38
		.amdhsa_accum_offset 232
		.amdhsa_reserve_vcc 1
		.amdhsa_float_round_mode_32 0
		.amdhsa_float_round_mode_16_64 0
		.amdhsa_float_denorm_mode_32 3
		.amdhsa_float_denorm_mode_16_64 3
		.amdhsa_dx10_clamp 1
		.amdhsa_ieee_mode 1
		.amdhsa_fp16_overflow 0
		.amdhsa_tg_split 0
		.amdhsa_exception_fp_ieee_invalid_op 0
		.amdhsa_exception_fp_denorm_src 0
		.amdhsa_exception_fp_ieee_div_zero 0
		.amdhsa_exception_fp_ieee_overflow 0
		.amdhsa_exception_fp_ieee_underflow 0
		.amdhsa_exception_fp_ieee_inexact 0
		.amdhsa_exception_int_div_zero 0
	.end_amdhsa_kernel
	.section	.text._ZL26rocblas_hemvn_kernel_upperILb0ELi64ELi4ELi33ELi32ELi16El19rocblas_complex_numIdEPKS1_PS1_EviT6_lT7_lT5_lS6_lS7_lS5_lT8_i,"axG",@progbits,_ZL26rocblas_hemvn_kernel_upperILb0ELi64ELi4ELi33ELi32ELi16El19rocblas_complex_numIdEPKS1_PS1_EviT6_lT7_lT5_lS6_lS7_lS5_lT8_i,comdat
.Lfunc_end124:
	.size	_ZL26rocblas_hemvn_kernel_upperILb0ELi64ELi4ELi33ELi32ELi16El19rocblas_complex_numIdEPKS1_PS1_EviT6_lT7_lT5_lS6_lS7_lS5_lT8_i, .Lfunc_end124-_ZL26rocblas_hemvn_kernel_upperILb0ELi64ELi4ELi33ELi32ELi16El19rocblas_complex_numIdEPKS1_PS1_EviT6_lT7_lT5_lS6_lS7_lS5_lT8_i
                                        ; -- End function
	.set _ZL26rocblas_hemvn_kernel_upperILb0ELi64ELi4ELi33ELi32ELi16El19rocblas_complex_numIdEPKS1_PS1_EviT6_lT7_lT5_lS6_lS7_lS5_lT8_i.num_vgpr, 232
	.set _ZL26rocblas_hemvn_kernel_upperILb0ELi64ELi4ELi33ELi32ELi16El19rocblas_complex_numIdEPKS1_PS1_EviT6_lT7_lT5_lS6_lS7_lS5_lT8_i.num_agpr, 0
	.set _ZL26rocblas_hemvn_kernel_upperILb0ELi64ELi4ELi33ELi32ELi16El19rocblas_complex_numIdEPKS1_PS1_EviT6_lT7_lT5_lS6_lS7_lS5_lT8_i.numbered_sgpr, 38
	.set _ZL26rocblas_hemvn_kernel_upperILb0ELi64ELi4ELi33ELi32ELi16El19rocblas_complex_numIdEPKS1_PS1_EviT6_lT7_lT5_lS6_lS7_lS5_lT8_i.num_named_barrier, 0
	.set _ZL26rocblas_hemvn_kernel_upperILb0ELi64ELi4ELi33ELi32ELi16El19rocblas_complex_numIdEPKS1_PS1_EviT6_lT7_lT5_lS6_lS7_lS5_lT8_i.private_seg_size, 0
	.set _ZL26rocblas_hemvn_kernel_upperILb0ELi64ELi4ELi33ELi32ELi16El19rocblas_complex_numIdEPKS1_PS1_EviT6_lT7_lT5_lS6_lS7_lS5_lT8_i.uses_vcc, 1
	.set _ZL26rocblas_hemvn_kernel_upperILb0ELi64ELi4ELi33ELi32ELi16El19rocblas_complex_numIdEPKS1_PS1_EviT6_lT7_lT5_lS6_lS7_lS5_lT8_i.uses_flat_scratch, 0
	.set _ZL26rocblas_hemvn_kernel_upperILb0ELi64ELi4ELi33ELi32ELi16El19rocblas_complex_numIdEPKS1_PS1_EviT6_lT7_lT5_lS6_lS7_lS5_lT8_i.has_dyn_sized_stack, 0
	.set _ZL26rocblas_hemvn_kernel_upperILb0ELi64ELi4ELi33ELi32ELi16El19rocblas_complex_numIdEPKS1_PS1_EviT6_lT7_lT5_lS6_lS7_lS5_lT8_i.has_recursion, 0
	.set _ZL26rocblas_hemvn_kernel_upperILb0ELi64ELi4ELi33ELi32ELi16El19rocblas_complex_numIdEPKS1_PS1_EviT6_lT7_lT5_lS6_lS7_lS5_lT8_i.has_indirect_call, 0
	.section	.AMDGPU.csdata,"",@progbits
; Kernel info:
; codeLenInByte = 10412
; TotalNumSgprs: 44
; NumVgprs: 232
; NumAgprs: 0
; TotalNumVgprs: 232
; ScratchSize: 0
; MemoryBound: 1
; FloatMode: 240
; IeeeMode: 1
; LDSByteSize: 19200 bytes/workgroup (compile time only)
; SGPRBlocks: 5
; VGPRBlocks: 28
; NumSGPRsForWavesPerEU: 44
; NumVGPRsForWavesPerEU: 232
; AccumOffset: 232
; Occupancy: 2
; WaveLimiterHint : 0
; COMPUTE_PGM_RSRC2:SCRATCH_EN: 0
; COMPUTE_PGM_RSRC2:USER_SGPR: 2
; COMPUTE_PGM_RSRC2:TRAP_HANDLER: 0
; COMPUTE_PGM_RSRC2:TGID_X_EN: 1
; COMPUTE_PGM_RSRC2:TGID_Y_EN: 0
; COMPUTE_PGM_RSRC2:TGID_Z_EN: 1
; COMPUTE_PGM_RSRC2:TIDIG_COMP_CNT: 1
; COMPUTE_PGM_RSRC3_GFX90A:ACCUM_OFFSET: 57
; COMPUTE_PGM_RSRC3_GFX90A:TG_SPLIT: 0
	.section	.text._ZL26rocblas_hemvn_kernel_upperILb0ELi64ELi4ELi33ELi32ELi16Ei19rocblas_complex_numIdEPKS1_PS1_EviT6_lT7_lT5_lS6_lS7_lS5_lT8_i,"axG",@progbits,_ZL26rocblas_hemvn_kernel_upperILb0ELi64ELi4ELi33ELi32ELi16Ei19rocblas_complex_numIdEPKS1_PS1_EviT6_lT7_lT5_lS6_lS7_lS5_lT8_i,comdat
	.globl	_ZL26rocblas_hemvn_kernel_upperILb0ELi64ELi4ELi33ELi32ELi16Ei19rocblas_complex_numIdEPKS1_PS1_EviT6_lT7_lT5_lS6_lS7_lS5_lT8_i ; -- Begin function _ZL26rocblas_hemvn_kernel_upperILb0ELi64ELi4ELi33ELi32ELi16Ei19rocblas_complex_numIdEPKS1_PS1_EviT6_lT7_lT5_lS6_lS7_lS5_lT8_i
	.p2align	8
	.type	_ZL26rocblas_hemvn_kernel_upperILb0ELi64ELi4ELi33ELi32ELi16Ei19rocblas_complex_numIdEPKS1_PS1_EviT6_lT7_lT5_lS6_lS7_lS5_lT8_i,@function
_ZL26rocblas_hemvn_kernel_upperILb0ELi64ELi4ELi33ELi32ELi16Ei19rocblas_complex_numIdEPKS1_PS1_EviT6_lT7_lT5_lS6_lS7_lS5_lT8_i: ; @_ZL26rocblas_hemvn_kernel_upperILb0ELi64ELi4ELi33ELi32ELi16Ei19rocblas_complex_numIdEPKS1_PS1_EviT6_lT7_lT5_lS6_lS7_lS5_lT8_i
; %bb.0:
	s_load_dwordx2 s[4:5], s[0:1], 0x94
	s_add_u32 s12, s0, 0x88
	s_addc_u32 s13, s1, 0
	s_waitcnt lgkmcnt(0)
	s_lshr_b32 s6, s4, 16
	s_and_b32 s4, s4, 0xffff
	s_and_b32 s5, s5, 0xffff
	s_mul_i32 s4, s6, s4
	s_mul_i32 s4, s4, s5
	s_cmpk_lg_i32 s4, 0x100
	s_cbranch_scc1 .LBB125_156
; %bb.1:
	s_load_dwordx4 s[16:19], s[0:1], 0x8
	s_load_dwordx4 s[8:11], s[0:1], 0x58
	s_load_dwordx2 s[6:7], s[0:1], 0x68
	s_waitcnt lgkmcnt(0)
	v_cmp_neq_f64_e64 s[4:5], s[16:17], 0
	v_cmp_neq_f64_e64 s[14:15], s[18:19], 0
	s_or_b64 s[4:5], s[4:5], s[14:15]
	s_mov_b64 s[14:15], -1
	s_and_b64 vcc, exec, s[4:5]
	s_cbranch_vccnz .LBB125_3
; %bb.2:
	v_cmp_neq_f64_e64 s[10:11], s[10:11], 1.0
	v_cmp_neq_f64_e64 s[6:7], s[6:7], 0
	s_or_b64 s[14:15], s[10:11], s[6:7]
.LBB125_3:
	s_andn2_b64 vcc, exec, s[14:15]
	s_cbranch_vccnz .LBB125_156
; %bb.4:
	s_andn2_b64 vcc, exec, s[4:5]
	s_cbranch_vccnz .LBB125_156
; %bb.5:
	s_load_dword s30, s[12:13], 0x0
	s_load_dword s34, s[0:1], 0x0
	s_load_dwordx4 s[4:7], s[0:1], 0x38
	s_load_dwordx2 s[10:11], s[0:1], 0x48
	s_load_dword s33, s[0:1], 0x50
	s_mul_i32 s9, s9, s3
	s_mul_hi_u32 s12, s8, s3
	s_add_i32 s9, s12, s9
	s_mul_i32 s8, s8, s3
	s_lshl_b64 s[8:9], s[8:9], 4
	s_waitcnt lgkmcnt(0)
	s_add_u32 s8, s6, s8
	s_addc_u32 s9, s7, s9
	s_lshl_b64 s[6:7], s[10:11], 4
	s_add_u32 s6, s8, s6
	s_addc_u32 s7, s9, s7
	s_ashr_i32 s35, s34, 31
	s_lshr_b32 s9, s35, 26
	v_and_b32_e32 v166, 0x3ff, v0
	s_lshl_b32 s24, s2, 6
	s_add_i32 s9, s34, s9
	s_andn2_b32 s9, s9, 63
	v_add_u32_e32 v164, s24, v166
	v_bfe_u32 v165, v0, 10, 10
	s_add_i32 s8, s30, -1
	s_sub_i32 s31, s34, s9
	v_mul_lo_u32 v0, s33, v164
	s_cmp_eq_u32 s2, s8
	v_ashrrev_i32_e32 v1, 31, v0
	s_cselect_b32 s18, s31, 0
	v_lshl_add_u64 v[36:37], v[0:1], 4, s[6:7]
	v_cmp_eq_u32_e64 s[14:15], 0, v165
	s_and_saveexec_b64 s[6:7], s[14:15]
	s_cbranch_execz .LBB125_10
; %bb.6:
	s_cmp_lg_u32 s18, 0
	s_cselect_b64 s[8:9], -1, 0
	v_cmp_le_i32_e32 vcc, s18, v166
	v_mov_b32_e32 v0, 0x4700
	s_and_b64 s[8:9], s[8:9], vcc
	v_lshl_add_u32 v0, v166, 4, v0
	s_and_saveexec_b64 s[10:11], s[8:9]
	s_xor_b64 s[8:9], exec, s[10:11]
; %bb.7:
	v_mov_b32_e32 v2, 0
	v_mov_b32_e32 v3, v2
	;; [unrolled: 1-line block ×4, first 2 shown]
	ds_write_b128 v0, v[2:5]
                                        ; implicit-def: $vgpr0
; %bb.8:
	s_andn2_saveexec_b64 s[8:9], s[8:9]
	s_cbranch_execz .LBB125_10
; %bb.9:
	global_load_dwordx4 v[2:5], v[36:37], off
	s_waitcnt vmcnt(0)
	ds_write2_b64 v0, v[2:3], v[4:5] offset1:1
.LBB125_10:
	s_or_b64 exec, exec, s[6:7]
	s_load_dwordx4 s[8:11], s[0:1], 0x20
	s_load_dword s22, s[0:1], 0x30
	s_mul_i32 s5, s5, s3
	s_mul_hi_u32 s6, s4, s3
	s_add_i32 s5, s6, s5
	s_mul_i32 s4, s4, s3
	s_lshl_b64 s[4:5], s[4:5], 4
	s_waitcnt lgkmcnt(0)
	s_add_u32 s6, s8, s4
	s_addc_u32 s7, s9, s5
	s_lshl_b64 s[4:5], s[10:11], 4
	s_add_u32 s6, s6, s4
	s_addc_u32 s7, s7, s5
	s_ashr_i32 s25, s24, 31
	v_lshl_add_u32 v42, v165, 6, v166
	s_lshl_b64 s[4:5], s[24:25], 4
	v_and_b32_e32 v6, 31, v166
	v_lshrrev_b32_e32 v14, 5, v42
	s_add_u32 s4, s6, s4
	s_addc_u32 s5, s7, s5
	v_mad_u64_u32 v[38:39], s[6:7], s22, v14, v[6:7]
	v_ashrrev_i32_e32 v39, 31, v38
	v_lshl_add_u64 v[0:1], v[38:39], 4, s[4:5]
	s_mul_i32 s4, s22, s24
	s_ashr_i32 s5, s4, 31
	s_cmp_eq_u32 s18, 0
	s_cselect_b64 s[20:21], -1, 0
	s_cmp_lg_u32 s18, 0
	s_cselect_b64 s[28:29], -1, 0
	v_lshl_add_u64 v[0:1], s[4:5], 4, v[0:1]
	s_and_b64 vcc, exec, s[28:29]
	v_cmp_gt_i32_e64 s[4:5], s18, v6
	v_lshlrev_b32_e32 v4, 4, v6
	s_cbranch_vccz .LBB125_28
; %bb.11:
	v_sub_co_u32_e32 v2, vcc, v0, v4
	s_ashr_i32 s19, s18, 31
	s_nop 0
	v_subbrev_co_u32_e32 v3, vcc, 0, v1, vcc
	v_lshl_add_u64 v[2:3], s[18:19], 4, v[2:3]
	v_lshl_add_u64 v[2:3], v[2:3], 0, -16
	s_movk_i32 s6, 0x210
	v_cndmask_b32_e64 v3, v3, v1, s[4:5]
	v_cndmask_b32_e64 v2, v2, v0, s[4:5]
	v_cmp_le_i32_e32 vcc, s18, v14
	v_mad_u32_u24 v7, v14, s6, v4
	s_and_saveexec_b64 s[6:7], vcc
	s_xor_b64 s[6:7], exec, s[6:7]
; %bb.12:
	v_mov_b32_e32 v8, 0
	v_mov_b32_e32 v9, v8
	;; [unrolled: 1-line block ×4, first 2 shown]
	ds_write_b128 v7, v[8:11]
                                        ; implicit-def: $vgpr7
; %bb.13:
	s_or_saveexec_b64 s[6:7], s[6:7]
	v_mul_u32_u24_e32 v5, 0x210, v14
	s_xor_b64 exec, exec, s[6:7]
	s_cbranch_execz .LBB125_15
; %bb.14:
	global_load_dwordx4 v[8:11], v[2:3], off
	s_waitcnt vmcnt(0)
	ds_write2_b64 v7, v[8:9], v[10:11] offset1:1
.LBB125_15:
	s_or_b64 exec, exec, s[6:7]
	v_add_u32_e32 v7, 8, v14
	v_cmp_le_i32_e32 vcc, s18, v7
	v_add_u32_e32 v7, v5, v4
	s_and_saveexec_b64 s[6:7], vcc
	s_xor_b64 s[6:7], exec, s[6:7]
; %bb.16:
	v_mov_b32_e32 v8, 0
	v_mov_b32_e32 v9, v8
	;; [unrolled: 1-line block ×4, first 2 shown]
	ds_write_b128 v7, v[8:11] offset:4224
; %bb.17:
	s_andn2_saveexec_b64 s[6:7], s[6:7]
	s_cbranch_execz .LBB125_19
; %bb.18:
	s_lshl_b32 s8, s22, 3
	s_ashr_i32 s9, s8, 31
	v_lshl_add_u64 v[8:9], s[8:9], 4, v[2:3]
	global_load_dwordx4 v[8:11], v[8:9], off
	s_movk_i32 s8, 0x1080
	v_add3_u32 v12, v5, v4, s8
	s_waitcnt vmcnt(0)
	ds_write2_b64 v12, v[8:9], v[10:11] offset1:1
.LBB125_19:
	s_or_b64 exec, exec, s[6:7]
	v_add_u32_e32 v8, 16, v14
	v_cmp_le_i32_e32 vcc, s18, v8
	s_and_saveexec_b64 s[6:7], vcc
	s_xor_b64 s[6:7], exec, s[6:7]
; %bb.20:
	v_mov_b32_e32 v8, 0
	v_mov_b32_e32 v9, v8
	;; [unrolled: 1-line block ×4, first 2 shown]
	ds_write_b128 v7, v[8:11] offset:8448
; %bb.21:
	s_andn2_saveexec_b64 s[6:7], s[6:7]
	s_cbranch_execz .LBB125_23
; %bb.22:
	s_lshl_b32 s8, s22, 4
	s_ashr_i32 s9, s8, 31
	v_lshl_add_u64 v[8:9], s[8:9], 4, v[2:3]
	global_load_dwordx4 v[8:11], v[8:9], off
	s_movk_i32 s8, 0x2100
	v_add3_u32 v12, v5, v4, s8
	s_waitcnt vmcnt(0)
	ds_write2_b64 v12, v[8:9], v[10:11] offset1:1
.LBB125_23:
	s_or_b64 exec, exec, s[6:7]
	v_add_u32_e32 v8, 24, v14
	v_cmp_le_i32_e32 vcc, s18, v8
	s_and_saveexec_b64 s[6:7], vcc
	s_xor_b64 s[6:7], exec, s[6:7]
; %bb.24:
	v_mov_b32_e32 v8, 0
	v_mov_b32_e32 v9, v8
	;; [unrolled: 1-line block ×4, first 2 shown]
	ds_write_b128 v7, v[8:11] offset:12672
                                        ; implicit-def: $vgpr5
; %bb.25:
	s_andn2_saveexec_b64 s[6:7], s[6:7]
	s_cbranch_execz .LBB125_27
; %bb.26:
	s_mul_i32 s8, s22, 24
	s_ashr_i32 s9, s8, 31
	v_lshl_add_u64 v[8:9], s[8:9], 4, v[2:3]
	global_load_dwordx4 v[8:11], v[8:9], off
	s_movk_i32 s8, 0x3180
	v_add3_u32 v5, v5, v4, s8
	s_waitcnt vmcnt(0)
	ds_write2_b64 v5, v[8:9], v[10:11] offset1:1
.LBB125_27:
	s_or_b64 exec, exec, s[6:7]
	v_mov_b32_e32 v5, 0
	v_lshl_add_u64 v[2:3], v[2:3], 0, v[4:5]
	s_lshl_b64 s[6:7], s[18:19], 4
	v_mov_b32_e32 v5, s7
	v_subrev_co_u32_e32 v2, vcc, s6, v2
	s_nop 1
	v_subb_co_u32_e32 v3, vcc, v3, v5, vcc
	v_lshl_add_u64 v[2:3], v[2:3], 0, 16
	v_cndmask_b32_e64 v9, v3, v1, s[4:5]
	v_cndmask_b32_e64 v8, v2, v0, s[4:5]
	s_branch .LBB125_30
.LBB125_28:
                                        ; implicit-def: $vgpr8_vgpr9
	s_cbranch_execz .LBB125_30
; %bb.29:
	s_lshl_b32 s4, s22, 3
	s_ashr_i32 s5, s4, 31
	s_ashr_i32 s23, s22, 31
	v_lshl_add_u64 v[2:3], s[4:5], 4, v[0:1]
	s_lshl_b64 s[4:5], s[22:23], 7
	global_load_dwordx4 v[8:11], v[0:1], off
	global_load_dwordx4 v[16:19], v[2:3], off
	v_lshl_add_u64 v[2:3], v[2:3], 0, s[4:5]
	v_lshl_add_u64 v[12:13], v[2:3], 0, s[4:5]
	global_load_dwordx4 v[20:23], v[2:3], off
	global_load_dwordx4 v[24:27], v[12:13], off
	v_mul_u32_u24_e32 v2, 0x210, v14
	v_lshl_add_u32 v2, v6, 4, v2
	v_add_u32_e32 v3, 0x1080, v2
	v_add_u32_e32 v5, 0x2100, v2
	;; [unrolled: 1-line block ×3, first 2 shown]
	s_waitcnt vmcnt(3)
	ds_write2_b64 v2, v[8:9], v[10:11] offset1:1
	s_waitcnt vmcnt(2)
	ds_write2_b64 v3, v[16:17], v[18:19] offset1:1
	;; [unrolled: 2-line block ×4, first 2 shown]
	v_mov_b64_e32 v[8:9], v[0:1]
.LBB125_30:
	v_lshlrev_b32_e32 v7, 2, v14
	v_lshl_or_b32 v0, v6, 9, v4
	v_cmp_gt_u32_e64 s[6:7], v7, v6
	v_lshl_add_u32 v1, v7, 4, v0
	s_waitcnt lgkmcnt(0)
	s_barrier
	s_and_saveexec_b64 s[4:5], s[6:7]
	s_cbranch_execz .LBB125_32
; %bb.31:
	s_movk_i32 s8, 0x840
	v_mad_u32_u24 v0, v14, s8, v4
	ds_read_b128 v[10:13], v0
	s_waitcnt lgkmcnt(0)
	ds_write_b128 v1, v[10:13]
.LBB125_32:
	s_or_b64 exec, exec, s[4:5]
	v_or_b32_e32 v0, 1, v7
	v_cmp_ge_u32_e64 s[8:9], v7, v6
	s_and_saveexec_b64 s[4:5], s[8:9]
	s_cbranch_execz .LBB125_34
; %bb.33:
	s_movk_i32 s10, 0x210
	v_mad_u32_u24 v2, v0, s10, v4
	ds_read_b128 v[10:13], v2
	s_waitcnt lgkmcnt(0)
	ds_write_b128 v1, v[10:13] offset:16
.LBB125_34:
	s_or_b64 exec, exec, s[4:5]
	v_or_b32_e32 v2, 2, v7
	v_cmp_gt_u32_e64 s[10:11], v2, v6
	s_and_saveexec_b64 s[4:5], s[10:11]
	s_cbranch_execz .LBB125_36
; %bb.35:
	s_movk_i32 s12, 0x210
	v_mad_u32_u24 v2, v2, s12, v4
	ds_read_b128 v[10:13], v2
	s_waitcnt lgkmcnt(0)
	ds_write_b128 v1, v[10:13] offset:32
.LBB125_36:
	s_or_b64 exec, exec, s[4:5]
	v_or_b32_e32 v3, 3, v7
	v_cmp_gt_u32_e64 s[12:13], v3, v6
	v_cmp_le_u32_e32 vcc, v3, v6
                                        ; implicit-def: $vgpr2
	s_and_saveexec_b64 s[4:5], vcc
	s_xor_b64 s[4:5], exec, s[4:5]
; %bb.37:
	v_mul_u32_u24_e32 v2, 0x210, v3
                                        ; implicit-def: $vgpr3
                                        ; implicit-def: $vgpr1
; %bb.38:
	s_andn2_saveexec_b64 s[4:5], s[4:5]
	s_cbranch_execz .LBB125_40
; %bb.39:
	s_movk_i32 s16, 0x210
	v_mad_u32_u24 v2, v3, s16, v4
	ds_read_b128 v[10:13], v2
	v_mul_u32_u24_e32 v2, 0x210, v3
	s_waitcnt lgkmcnt(0)
	ds_write_b128 v1, v[10:13] offset:48
.LBB125_40:
	s_or_b64 exec, exec, s[4:5]
	s_movk_i32 s4, 0x840
	v_mad_u32_u24 v15, v14, s4, v4
	v_lshlrev_b32_e32 v16, 4, v7
	s_movk_i32 s4, 0x210
	s_waitcnt lgkmcnt(0)
	s_barrier
	ds_read_b128 v[10:13], v16 offset:18176
	ds_read_b128 v[22:25], v16 offset:18192
	ds_read_b128 v[26:29], v15
	ds_read_b128 v[30:33], v16 offset:18208
	ds_read_b128 v[46:49], v16 offset:18224
	v_mad_u32_u24 v20, v0, s4, v4
	ds_read_b128 v[50:53], v20
	s_waitcnt lgkmcnt(3)
	v_mul_f64 v[0:1], v[12:13], v[28:29]
	v_fma_f64 v[18:19], v[10:11], v[26:27], -v[0:1]
	v_mul_f64 v[10:11], v[10:11], v[28:29]
	v_fmac_f64_e32 v[10:11], v[12:13], v[26:27]
	v_add_f64 v[26:27], v[10:11], 0
	s_waitcnt lgkmcnt(0)
	v_mul_f64 v[10:11], v[24:25], v[52:53]
	v_fma_f64 v[28:29], v[22:23], v[50:51], -v[10:11]
	v_mul_f64 v[22:23], v[22:23], v[52:53]
	v_fmac_f64_e32 v[22:23], v[24:25], v[50:51]
	ds_read_b128 v[10:13], v20 offset:528
	v_add_u32_e32 v45, v4, v2
	v_add_f64 v[26:27], v[26:27], v[22:23]
	ds_read_b128 v[22:25], v45
	v_add_f64 v[18:19], v[18:19], 0
	s_waitcnt lgkmcnt(1)
	v_mul_f64 v[2:3], v[32:33], v[12:13]
	v_mul_f64 v[12:13], v[30:31], v[12:13]
	v_add_f64 v[18:19], v[18:19], v[28:29]
	v_fma_f64 v[2:3], v[30:31], v[10:11], -v[2:3]
	v_fmac_f64_e32 v[12:13], v[32:33], v[10:11]
	s_waitcnt lgkmcnt(0)
	v_mul_f64 v[10:11], v[48:49], v[24:25]
	v_add_f64 v[2:3], v[18:19], v[2:3]
	v_fma_f64 v[10:11], v[46:47], v[22:23], -v[10:11]
	v_mul_f64 v[18:19], v[46:47], v[24:25]
	v_add_f64 v[10:11], v[2:3], v[10:11]
	v_mul_u32_u24_e32 v2, 33, v6
	v_add_f64 v[12:13], v[26:27], v[12:13]
	v_fmac_f64_e32 v[18:19], v[48:49], v[22:23]
	v_lshlrev_b32_e32 v43, 4, v2
	v_mov_b64_e32 v[0:1], 0
	v_add_f64 v[12:13], v[12:13], v[18:19]
	v_lshl_add_u32 v44, v14, 4, v43
	v_cmp_gt_u32_e64 s[4:5], 32, v42
	v_mov_b64_e32 v[2:3], 0
	s_barrier
	ds_write_b128 v44, v[10:13]
	s_waitcnt lgkmcnt(0)
	s_barrier
	s_and_saveexec_b64 s[16:17], s[4:5]
	s_cbranch_execz .LBB125_42
; %bb.41:
	ds_read_b128 v[0:3], v43
	ds_read_b128 v[10:13], v43 offset:16
	ds_read_b128 v[22:25], v43 offset:32
	;; [unrolled: 1-line block ×3, first 2 shown]
	s_waitcnt lgkmcnt(2)
	v_add_f64 v[0:1], v[10:11], v[0:1]
	v_add_f64 v[10:11], v[12:13], v[2:3]
	s_waitcnt lgkmcnt(1)
	v_add_f64 v[12:13], v[0:1], v[22:23]
	ds_read_b128 v[0:3], v43 offset:64
	v_add_f64 v[10:11], v[10:11], v[24:25]
	s_waitcnt lgkmcnt(1)
	v_add_f64 v[18:19], v[12:13], v[26:27]
	v_add_f64 v[26:27], v[10:11], v[28:29]
	ds_read_b128 v[10:13], v43 offset:80
	ds_read_b128 v[22:25], v43 offset:96
	s_waitcnt lgkmcnt(2)
	v_add_f64 v[18:19], v[18:19], v[0:1]
	v_add_f64 v[26:27], v[26:27], v[2:3]
	ds_read_b128 v[0:3], v43 offset:112
	s_waitcnt lgkmcnt(2)
	v_add_f64 v[10:11], v[18:19], v[10:11]
	v_add_f64 v[12:13], v[26:27], v[12:13]
	s_waitcnt lgkmcnt(1)
	v_add_f64 v[10:11], v[10:11], v[22:23]
	v_add_f64 v[12:13], v[12:13], v[24:25]
	;; [unrolled: 3-line block ×3, first 2 shown]
.LBB125_42:
	s_or_b64 exec, exec, s[16:17]
	s_lshl_b32 s26, s22, 5
	s_ashr_i32 s27, s26, 31
	v_lshl_add_u64 v[12:13], s[26:27], 4, v[8:9]
	s_mov_b64 s[16:17], 0x200
	v_lshl_add_u64 v[10:11], v[12:13], 0, s[16:17]
	s_and_b64 vcc, exec, s[28:29]
	s_barrier
	s_cbranch_vccz .LBB125_60
; %bb.43:
	v_sub_co_u32_e32 v8, vcc, v12, v4
	s_ashr_i32 s19, s18, 31
	s_nop 0
	v_subbrev_co_u32_e32 v9, vcc, 0, v13, vcc
	v_or_b32_e32 v5, 32, v6
	v_lshl_add_u64 v[8:9], s[18:19], 4, v[8:9]
	v_lshl_add_u64 v[8:9], v[8:9], 0, -16
	v_cmp_gt_i32_e32 vcc, s18, v5
	s_sub_i32 s23, s18, 32
	s_movk_i32 s25, 0x210
	v_cndmask_b32_e32 v9, v9, v11, vcc
	v_cndmask_b32_e32 v8, v8, v10, vcc
	v_cmp_le_i32_e64 s[16:17], s23, v14
	v_mad_u32_u24 v17, v14, s25, v4
	s_and_saveexec_b64 s[36:37], s[16:17]
	s_xor_b64 s[16:17], exec, s[36:37]
; %bb.44:
	v_mov_b32_e32 v22, 0
	v_mov_b32_e32 v23, v22
	v_mov_b32_e32 v24, v22
	v_mov_b32_e32 v25, v22
	ds_write_b128 v17, v[22:25]
                                        ; implicit-def: $vgpr17
; %bb.45:
	s_or_saveexec_b64 s[16:17], s[16:17]
	v_mul_u32_u24_e32 v5, 0x210, v14
	s_xor_b64 exec, exec, s[16:17]
	s_cbranch_execz .LBB125_47
; %bb.46:
	global_load_dwordx4 v[22:25], v[8:9], off
	s_waitcnt vmcnt(0)
	ds_write2_b64 v17, v[22:23], v[24:25] offset1:1
.LBB125_47:
	s_or_b64 exec, exec, s[16:17]
	v_add_u32_e32 v17, 8, v14
	v_cmp_le_i32_e64 s[16:17], s23, v17
	v_add_u32_e32 v17, v5, v4
	s_and_saveexec_b64 s[36:37], s[16:17]
	s_xor_b64 s[16:17], exec, s[36:37]
; %bb.48:
	v_mov_b32_e32 v22, 0
	v_mov_b32_e32 v23, v22
	;; [unrolled: 1-line block ×4, first 2 shown]
	ds_write_b128 v17, v[22:25] offset:4224
; %bb.49:
	s_andn2_saveexec_b64 s[16:17], s[16:17]
	s_cbranch_execz .LBB125_51
; %bb.50:
	s_lshl_b32 s36, s22, 3
	s_ashr_i32 s37, s36, 31
	v_lshl_add_u64 v[18:19], s[36:37], 4, v[8:9]
	global_load_dwordx4 v[22:25], v[18:19], off
	s_movk_i32 s25, 0x1080
	v_add3_u32 v18, v5, v4, s25
	s_waitcnt vmcnt(0)
	ds_write2_b64 v18, v[22:23], v[24:25] offset1:1
.LBB125_51:
	s_or_b64 exec, exec, s[16:17]
	v_add_u32_e32 v18, 16, v14
	v_cmp_le_i32_e64 s[16:17], s23, v18
	s_and_saveexec_b64 s[36:37], s[16:17]
	s_xor_b64 s[16:17], exec, s[36:37]
; %bb.52:
	v_mov_b32_e32 v22, 0
	v_mov_b32_e32 v23, v22
	;; [unrolled: 1-line block ×4, first 2 shown]
	ds_write_b128 v17, v[22:25] offset:8448
; %bb.53:
	s_andn2_saveexec_b64 s[16:17], s[16:17]
	s_cbranch_execz .LBB125_55
; %bb.54:
	s_lshl_b32 s36, s22, 4
	s_ashr_i32 s37, s36, 31
	v_lshl_add_u64 v[18:19], s[36:37], 4, v[8:9]
	global_load_dwordx4 v[22:25], v[18:19], off
	s_movk_i32 s25, 0x2100
	v_add3_u32 v18, v5, v4, s25
	s_waitcnt vmcnt(0)
	ds_write2_b64 v18, v[22:23], v[24:25] offset1:1
.LBB125_55:
	s_or_b64 exec, exec, s[16:17]
	v_add_u32_e32 v18, 24, v14
	v_cmp_le_i32_e64 s[16:17], s23, v18
	s_and_saveexec_b64 s[36:37], s[16:17]
	s_xor_b64 s[16:17], exec, s[36:37]
; %bb.56:
	v_mov_b32_e32 v22, 0
	v_mov_b32_e32 v23, v22
	;; [unrolled: 1-line block ×4, first 2 shown]
	ds_write_b128 v17, v[22:25] offset:12672
                                        ; implicit-def: $vgpr5
; %bb.57:
	s_andn2_saveexec_b64 s[16:17], s[16:17]
	s_cbranch_execz .LBB125_59
; %bb.58:
	s_mul_i32 s36, s22, 24
	s_ashr_i32 s37, s36, 31
	v_lshl_add_u64 v[18:19], s[36:37], 4, v[8:9]
	global_load_dwordx4 v[22:25], v[18:19], off
	s_movk_i32 s23, 0x3180
	v_add3_u32 v5, v5, v4, s23
	s_waitcnt vmcnt(0)
	ds_write2_b64 v5, v[22:23], v[24:25] offset1:1
.LBB125_59:
	s_or_b64 exec, exec, s[16:17]
	v_mov_b32_e32 v5, 0
	v_lshl_add_u64 v[8:9], v[8:9], 0, v[4:5]
	s_lshl_b64 s[16:17], s[18:19], 4
	v_mov_b32_e32 v5, s17
	v_subrev_co_u32_e64 v8, s[16:17], s16, v8
	s_nop 1
	v_subb_co_u32_e64 v9, s[16:17], v9, v5, s[16:17]
	s_mov_b64 s[16:17], 0x210
	s_nop 0
	v_lshl_add_u64 v[8:9], v[8:9], 0, s[16:17]
	v_cndmask_b32_e32 v9, v9, v11, vcc
	v_cndmask_b32_e32 v8, v8, v10, vcc
	s_branch .LBB125_62
.LBB125_60:
                                        ; implicit-def: $vgpr8_vgpr9
	s_cbranch_execz .LBB125_62
; %bb.61:
	s_lshl_b32 s16, s22, 3
	s_ashr_i32 s17, s16, 31
	s_ashr_i32 s23, s22, 31
	v_lshl_add_u64 v[8:9], s[16:17], 4, v[12:13]
	s_lshl_b64 s[16:17], s[22:23], 7
	global_load_dwordx4 v[22:25], v[10:11], off
	global_load_dwordx4 v[26:29], v[8:9], off offset:512
	v_lshl_add_u64 v[8:9], v[8:9], 0, s[16:17]
	v_lshl_add_u64 v[12:13], v[8:9], 0, s[16:17]
	global_load_dwordx4 v[30:33], v[8:9], off offset:512
	global_load_dwordx4 v[46:49], v[12:13], off offset:512
	s_movk_i32 s16, 0x210
	v_mad_u32_u24 v5, v14, s16, v4
	v_add_u32_e32 v8, 0x1080, v5
	v_add_u32_e32 v9, 0x2100, v5
	;; [unrolled: 1-line block ×3, first 2 shown]
	s_waitcnt vmcnt(3)
	ds_write2_b64 v5, v[22:23], v[24:25] offset1:1
	s_waitcnt vmcnt(2)
	ds_write2_b64 v8, v[26:27], v[28:29] offset1:1
	;; [unrolled: 2-line block ×4, first 2 shown]
	v_mov_b64_e32 v[8:9], v[10:11]
.LBB125_62:
	v_lshl_add_u32 v5, v7, 4, v43
	s_waitcnt lgkmcnt(0)
	s_barrier
	s_and_saveexec_b64 s[16:17], s[6:7]
	s_cbranch_execnz .LBB125_87
; %bb.63:
	s_or_b64 exec, exec, s[16:17]
	s_and_saveexec_b64 s[6:7], s[8:9]
	s_cbranch_execnz .LBB125_88
.LBB125_64:
	s_or_b64 exec, exec, s[6:7]
	v_add_u32_e32 v12, 0x210, v20
	s_and_saveexec_b64 s[6:7], s[10:11]
	s_cbranch_execnz .LBB125_89
.LBB125_65:
	s_or_b64 exec, exec, s[6:7]
	v_add_u32_e32 v13, 0x4700, v16
	s_and_saveexec_b64 s[6:7], s[12:13]
	s_cbranch_execz .LBB125_67
.LBB125_66:
	ds_read_b128 v[16:19], v45
	s_waitcnt lgkmcnt(0)
	ds_write_b128 v5, v[16:19] offset:48
.LBB125_67:
	s_or_b64 exec, exec, s[6:7]
	s_waitcnt lgkmcnt(0)
	s_barrier
	ds_read_b128 v[16:19], v13 offset:512
	ds_read_b128 v[22:25], v15
	ds_read_b128 v[26:29], v13 offset:528
	ds_read_b128 v[30:33], v13 offset:544
	;; [unrolled: 1-line block ×3, first 2 shown]
	ds_read_b128 v[50:53], v20
	v_cmp_eq_u32_e64 s[6:7], 1, v14
	s_waitcnt lgkmcnt(4)
	v_mul_f64 v[10:11], v[18:19], v[24:25]
	v_fma_f64 v[10:11], v[16:17], v[22:23], -v[10:11]
	v_mul_f64 v[16:17], v[16:17], v[24:25]
	v_fmac_f64_e32 v[16:17], v[18:19], v[22:23]
	v_add_f64 v[22:23], v[16:17], 0
	s_waitcnt lgkmcnt(0)
	v_mul_f64 v[16:17], v[28:29], v[52:53]
	v_fma_f64 v[24:25], v[26:27], v[50:51], -v[16:17]
	v_mul_f64 v[26:27], v[26:27], v[52:53]
	v_add_f64 v[10:11], v[10:11], 0
	ds_read_b128 v[16:19], v12
	v_fmac_f64_e32 v[26:27], v[28:29], v[50:51]
	v_add_f64 v[10:11], v[10:11], v[24:25]
	v_add_f64 v[26:27], v[22:23], v[26:27]
	ds_read_b128 v[22:25], v45
	s_waitcnt lgkmcnt(1)
	v_mul_f64 v[28:29], v[32:33], v[18:19]
	v_mul_f64 v[18:19], v[30:31], v[18:19]
	v_fma_f64 v[28:29], v[30:31], v[16:17], -v[28:29]
	v_fmac_f64_e32 v[18:19], v[32:33], v[16:17]
	s_waitcnt lgkmcnt(0)
	v_mul_f64 v[16:17], v[48:49], v[24:25]
	v_mul_f64 v[24:25], v[46:47], v[24:25]
	v_add_f64 v[10:11], v[10:11], v[28:29]
	v_add_f64 v[18:19], v[26:27], v[18:19]
	v_fma_f64 v[16:17], v[46:47], v[22:23], -v[16:17]
	v_fmac_f64_e32 v[24:25], v[48:49], v[22:23]
	v_add_f64 v[16:17], v[10:11], v[16:17]
	v_add_f64 v[18:19], v[18:19], v[24:25]
	s_barrier
	ds_write_b128 v44, v[16:19]
	s_waitcnt lgkmcnt(0)
	s_barrier
	s_and_saveexec_b64 s[8:9], s[6:7]
	s_cbranch_execz .LBB125_69
; %bb.68:
	ds_read_b128 v[0:3], v43
	ds_read_b128 v[16:19], v43 offset:16
	ds_read_b128 v[22:25], v43 offset:32
	;; [unrolled: 1-line block ×3, first 2 shown]
	s_waitcnt lgkmcnt(2)
	v_add_f64 v[0:1], v[16:17], v[0:1]
	v_add_f64 v[10:11], v[18:19], v[2:3]
	s_waitcnt lgkmcnt(1)
	v_add_f64 v[16:17], v[0:1], v[22:23]
	ds_read_b128 v[0:3], v43 offset:64
	v_add_f64 v[10:11], v[10:11], v[24:25]
	s_waitcnt lgkmcnt(1)
	v_add_f64 v[22:23], v[16:17], v[26:27]
	ds_read_b128 v[16:19], v43 offset:80
	;; [unrolled: 4-line block ×3, first 2 shown]
	v_add_f64 v[10:11], v[10:11], v[2:3]
	ds_read_b128 v[0:3], v43 offset:112
	s_waitcnt lgkmcnt(2)
	v_add_f64 v[16:17], v[26:27], v[16:17]
	v_add_f64 v[10:11], v[10:11], v[18:19]
	s_waitcnt lgkmcnt(1)
	v_add_f64 v[16:17], v[16:17], v[22:23]
	v_add_f64 v[10:11], v[10:11], v[24:25]
	;; [unrolled: 3-line block ×3, first 2 shown]
.LBB125_69:
	s_or_b64 exec, exec, s[8:9]
	s_movk_i32 s8, 0xfe00
	s_mov_b32 s9, -1
	v_lshl_add_u64 v[10:11], v[8:9], 0, s[8:9]
	s_and_b64 vcc, exec, s[28:29]
	s_barrier
	s_cbranch_vccz .LBB125_90
; %bb.70:
	v_sub_co_u32_e32 v16, vcc, v8, v4
	s_ashr_i32 s19, s18, 31
	s_nop 0
	v_subbrev_co_u32_e32 v17, vcc, 0, v9, vcc
	s_movk_i32 s8, 0xfdf0
	v_lshl_add_u64 v[16:17], s[18:19], 4, v[16:17]
	s_mov_b32 s9, -1
	v_lshl_add_u64 v[16:17], v[16:17], 0, s[8:9]
	v_cmp_gt_i32_e32 vcc, s18, v6
	s_sub_i32 s10, s18, 32
	s_movk_i32 s11, 0x210
	v_cndmask_b32_e32 v7, v17, v11, vcc
	v_cndmask_b32_e32 v6, v16, v10, vcc
	v_cmp_le_i32_e64 s[8:9], s10, v14
	v_mad_u32_u24 v16, v14, s11, v4
	s_and_saveexec_b64 s[12:13], s[8:9]
	s_xor_b64 s[8:9], exec, s[12:13]
; %bb.71:
	v_mov_b32_e32 v22, 0
	v_mov_b32_e32 v23, v22
	;; [unrolled: 1-line block ×4, first 2 shown]
	ds_write_b128 v16, v[22:25]
                                        ; implicit-def: $vgpr16
; %bb.72:
	s_or_saveexec_b64 s[8:9], s[8:9]
	v_mul_u32_u24_e32 v5, 0x210, v14
	s_xor_b64 exec, exec, s[8:9]
	s_cbranch_execz .LBB125_74
; %bb.73:
	global_load_dwordx4 v[22:25], v[6:7], off
	s_waitcnt vmcnt(0)
	ds_write2_b64 v16, v[22:23], v[24:25] offset1:1
.LBB125_74:
	s_or_b64 exec, exec, s[8:9]
	v_add_u32_e32 v16, 8, v14
	v_cmp_le_i32_e64 s[8:9], s10, v16
	v_add_u32_e32 v19, v5, v4
	s_and_saveexec_b64 s[12:13], s[8:9]
	s_xor_b64 s[8:9], exec, s[12:13]
; %bb.75:
	v_mov_b32_e32 v22, 0
	v_mov_b32_e32 v23, v22
	;; [unrolled: 1-line block ×4, first 2 shown]
	ds_write_b128 v19, v[22:25] offset:4224
; %bb.76:
	s_andn2_saveexec_b64 s[8:9], s[8:9]
	s_cbranch_execz .LBB125_78
; %bb.77:
	s_lshl_b32 s12, s22, 3
	s_ashr_i32 s13, s12, 31
	v_lshl_add_u64 v[22:23], s[12:13], 4, v[6:7]
	global_load_dwordx4 v[22:25], v[22:23], off
	s_movk_i32 s11, 0x1080
	v_add3_u32 v17, v5, v4, s11
	s_waitcnt vmcnt(0)
	ds_write2_b64 v17, v[22:23], v[24:25] offset1:1
.LBB125_78:
	s_or_b64 exec, exec, s[8:9]
	v_add_u32_e32 v17, 16, v14
	v_cmp_le_i32_e64 s[8:9], s10, v17
	s_and_saveexec_b64 s[12:13], s[8:9]
	s_xor_b64 s[8:9], exec, s[12:13]
; %bb.79:
	v_mov_b32_e32 v22, 0
	v_mov_b32_e32 v23, v22
	v_mov_b32_e32 v24, v22
	v_mov_b32_e32 v25, v22
	ds_write_b128 v19, v[22:25] offset:8448
; %bb.80:
	s_andn2_saveexec_b64 s[8:9], s[8:9]
	s_cbranch_execz .LBB125_82
; %bb.81:
	s_lshl_b32 s12, s22, 4
	s_ashr_i32 s13, s12, 31
	v_lshl_add_u64 v[22:23], s[12:13], 4, v[6:7]
	global_load_dwordx4 v[22:25], v[22:23], off
	s_movk_i32 s11, 0x2100
	v_add3_u32 v18, v5, v4, s11
	s_waitcnt vmcnt(0)
	ds_write2_b64 v18, v[22:23], v[24:25] offset1:1
.LBB125_82:
	s_or_b64 exec, exec, s[8:9]
	v_add_u32_e32 v18, 24, v14
	v_cmp_le_i32_e64 s[8:9], s10, v18
	s_and_saveexec_b64 s[10:11], s[8:9]
	s_xor_b64 s[8:9], exec, s[10:11]
; %bb.83:
	v_mov_b32_e32 v22, 0
	v_mov_b32_e32 v23, v22
	;; [unrolled: 1-line block ×4, first 2 shown]
	ds_write_b128 v19, v[22:25] offset:12672
                                        ; implicit-def: $vgpr5
; %bb.84:
	s_andn2_saveexec_b64 s[8:9], s[8:9]
	s_cbranch_execz .LBB125_86
; %bb.85:
	s_mul_i32 s10, s22, 24
	s_ashr_i32 s11, s10, 31
	v_lshl_add_u64 v[22:23], s[10:11], 4, v[6:7]
	global_load_dwordx4 v[22:25], v[22:23], off
	s_movk_i32 s10, 0x3180
	v_add3_u32 v5, v5, v4, s10
	s_waitcnt vmcnt(0)
	ds_write2_b64 v5, v[22:23], v[24:25] offset1:1
.LBB125_86:
	s_or_b64 exec, exec, s[8:9]
	v_mov_b32_e32 v5, 0
	v_lshl_add_u64 v[6:7], v[6:7], 0, v[4:5]
	s_lshl_b64 s[8:9], s[18:19], 4
	v_mov_b32_e32 v5, s9
	v_subrev_co_u32_e64 v6, s[8:9], s8, v6
	s_nop 1
	v_subb_co_u32_e64 v7, s[8:9], v7, v5, s[8:9]
	v_lshl_add_u64 v[6:7], v[6:7], 0, 16
	v_cndmask_b32_e32 v41, v7, v11, vcc
	v_cndmask_b32_e32 v40, v6, v10, vcc
	s_branch .LBB125_92
.LBB125_87:
	ds_read_b128 v[10:13], v15
	s_waitcnt lgkmcnt(0)
	ds_write_b128 v5, v[10:13]
	s_or_b64 exec, exec, s[16:17]
	s_and_saveexec_b64 s[6:7], s[8:9]
	s_cbranch_execz .LBB125_64
.LBB125_88:
	ds_read_b128 v[10:13], v20
	s_waitcnt lgkmcnt(0)
	ds_write_b128 v5, v[10:13] offset:16
	s_or_b64 exec, exec, s[6:7]
	v_add_u32_e32 v12, 0x210, v20
	s_and_saveexec_b64 s[6:7], s[10:11]
	s_cbranch_execz .LBB125_65
.LBB125_89:
	ds_read_b128 v[22:25], v12
	s_waitcnt lgkmcnt(0)
	ds_write_b128 v5, v[22:25] offset:32
	s_or_b64 exec, exec, s[6:7]
	v_add_u32_e32 v13, 0x4700, v16
	s_and_saveexec_b64 s[6:7], s[12:13]
	s_cbranch_execnz .LBB125_66
	s_branch .LBB125_67
.LBB125_90:
                                        ; implicit-def: $vgpr40_vgpr41
                                        ; implicit-def: $vgpr16
                                        ; implicit-def: $vgpr17
                                        ; implicit-def: $vgpr18
	s_cbranch_execz .LBB125_92
; %bb.91:
	s_lshl_b32 s8, s22, 3
	s_ashr_i32 s9, s8, 31
	s_ashr_i32 s23, s22, 31
	v_lshl_add_u64 v[16:17], s[8:9], 4, v[8:9]
	s_lshl_b64 s[8:9], s[22:23], 7
	global_load_dwordx4 v[6:9], v[10:11], off
	global_load_dwordx4 v[22:25], v[16:17], off offset:-512
	v_lshl_add_u64 v[16:17], v[16:17], 0, s[8:9]
	v_lshl_add_u64 v[18:19], v[16:17], 0, s[8:9]
	global_load_dwordx4 v[26:29], v[16:17], off offset:-512
	global_load_dwordx4 v[30:33], v[18:19], off offset:-512
	s_movk_i32 s8, 0x210
	v_add_u32_e32 v16, 8, v14
	v_add_u32_e32 v17, 16, v14
	;; [unrolled: 1-line block ×3, first 2 shown]
	v_mad_u32_u24 v4, v14, s8, v4
	v_mov_b64_e32 v[40:41], v[10:11]
	v_add_u32_e32 v5, 0x1080, v4
	v_add_u32_e32 v19, 0x2100, v4
	;; [unrolled: 1-line block ×3, first 2 shown]
	s_waitcnt vmcnt(3)
	ds_write2_b64 v4, v[6:7], v[8:9] offset1:1
	s_waitcnt vmcnt(2)
	ds_write2_b64 v5, v[22:23], v[24:25] offset1:1
	;; [unrolled: 2-line block ×4, first 2 shown]
.LBB125_92:
	v_lshlrev_b32_e32 v8, 4, v14
	v_add_u32_e32 v4, v43, v8
	s_waitcnt lgkmcnt(0)
	s_barrier
	ds_read_b128 v[4:7], v4
	ds_read_b128 v[22:25], v8 offset:18176
	v_lshlrev_b32_e32 v8, 4, v16
	v_add_u32_e32 v9, v43, v8
	ds_read_b128 v[46:49], v9
	ds_read_b128 v[26:29], v8 offset:18176
	s_waitcnt lgkmcnt(2)
	v_mul_f64 v[8:9], v[6:7], v[24:25]
	v_fma_f64 v[8:9], v[4:5], v[22:23], -v[8:9]
	v_mul_f64 v[66:67], v[4:5], v[24:25]
	v_add_f64 v[4:5], v[8:9], 0
	s_waitcnt lgkmcnt(0)
	v_mul_f64 v[8:9], v[48:49], v[28:29]
	v_fma_f64 v[8:9], v[46:47], v[26:27], -v[8:9]
	v_add_f64 v[4:5], v[4:5], v[8:9]
	v_lshlrev_b32_e32 v8, 4, v17
	v_add_u32_e32 v9, v43, v8
	ds_read_b128 v[50:53], v9
	ds_read_b128 v[54:57], v8 offset:18176
	v_lshlrev_b32_e32 v8, 4, v18
	v_add_u32_e32 v9, v43, v8
	ds_read_b128 v[58:61], v9
	ds_read_b128 v[62:65], v8 offset:18176
	v_mul_f64 v[68:69], v[46:47], v[28:29]
	s_waitcnt lgkmcnt(2)
	v_mul_f64 v[8:9], v[52:53], v[56:57]
	v_fma_f64 v[8:9], v[50:51], v[54:55], -v[8:9]
	v_add_f64 v[4:5], v[4:5], v[8:9]
	s_waitcnt lgkmcnt(0)
	v_mul_f64 v[8:9], v[60:61], v[64:65]
	v_fma_f64 v[8:9], v[58:59], v[62:63], -v[8:9]
	v_fmac_f64_e32 v[66:67], v[6:7], v[22:23]
	v_add_f64 v[46:47], v[4:5], v[8:9]
	ds_read_b128 v[16:19], v13 offset:528
	ds_read_b128 v[8:11], v13 offset:544
	;; [unrolled: 1-line block ×3, first 2 shown]
	ds_read_b128 v[32:35], v15
	v_fmac_f64_e32 v[68:69], v[48:49], v[26:27]
	v_add_f64 v[14:15], v[66:67], 0
	ds_read_b128 v[4:7], v13 offset:560
	ds_read_b128 v[24:27], v20
	v_add_f64 v[48:49], v[14:15], v[68:69]
	ds_read_b128 v[20:23], v12
	ds_read_b128 v[12:15], v45
	v_mul_f64 v[50:51], v[50:51], v[56:57]
	v_mul_f64 v[56:57], v[58:59], v[64:65]
	v_fmac_f64_e32 v[50:51], v[52:53], v[54:55]
	v_add_f64 v[48:49], v[48:49], v[50:51]
	v_fmac_f64_e32 v[56:57], v[60:61], v[62:63]
	v_add_f64 v[48:49], v[48:49], v[56:57]
	s_waitcnt lgkmcnt(0)
	s_barrier
	ds_write_b128 v44, v[46:49]
	s_waitcnt lgkmcnt(0)
	s_barrier
	s_and_saveexec_b64 s[8:9], s[6:7]
	s_cbranch_execz .LBB125_94
; %bb.93:
	ds_read_b128 v[46:49], v43
	ds_read_b128 v[50:53], v43 offset:16
	ds_read_b128 v[54:57], v43 offset:32
	ds_read_b128 v[58:61], v43 offset:48
	s_waitcnt lgkmcnt(3)
	v_add_f64 v[0:1], v[0:1], v[46:47]
	v_add_f64 v[2:3], v[2:3], v[48:49]
	s_waitcnt lgkmcnt(2)
	v_add_f64 v[0:1], v[0:1], v[50:51]
	v_add_f64 v[46:47], v[2:3], v[52:53]
	s_waitcnt lgkmcnt(1)
	v_add_f64 v[48:49], v[0:1], v[54:55]
	ds_read_b128 v[0:3], v43 offset:64
	v_add_f64 v[46:47], v[46:47], v[56:57]
	s_waitcnt lgkmcnt(1)
	v_add_f64 v[50:51], v[48:49], v[58:59]
	v_add_f64 v[54:55], v[46:47], v[60:61]
	ds_read_b128 v[46:49], v43 offset:80
	s_waitcnt lgkmcnt(1)
	v_add_f64 v[56:57], v[50:51], v[0:1]
	ds_read_b128 v[50:53], v43 offset:96
	v_add_f64 v[54:55], v[54:55], v[2:3]
	ds_read_b128 v[0:3], v43 offset:112
	s_waitcnt lgkmcnt(2)
	v_add_f64 v[46:47], v[56:57], v[46:47]
	v_add_f64 v[48:49], v[54:55], v[48:49]
	s_waitcnt lgkmcnt(1)
	v_add_f64 v[46:47], v[46:47], v[50:51]
	v_add_f64 v[48:49], v[48:49], v[52:53]
	;; [unrolled: 3-line block ×3, first 2 shown]
.LBB125_94:
	s_or_b64 exec, exec, s[8:9]
	v_mul_f64 v[46:47], v[30:31], v[34:35]
	v_fma_f64 v[46:47], v[28:29], v[32:33], -v[46:47]
	v_mul_f64 v[28:29], v[28:29], v[34:35]
	v_fmac_f64_e32 v[28:29], v[30:31], v[32:33]
	v_mul_f64 v[32:33], v[18:19], v[26:27]
	v_fma_f64 v[32:33], v[16:17], v[24:25], -v[32:33]
	v_mul_f64 v[16:17], v[16:17], v[26:27]
	v_fmac_f64_e32 v[16:17], v[18:19], v[24:25]
	v_mul_f64 v[24:25], v[10:11], v[22:23]
	v_add_f64 v[28:29], v[28:29], 0
	v_fma_f64 v[24:25], v[8:9], v[20:21], -v[24:25]
	v_mul_f64 v[8:9], v[8:9], v[22:23]
	v_add_f64 v[30:31], v[46:47], 0
	v_add_f64 v[16:17], v[28:29], v[16:17]
	v_fmac_f64_e32 v[8:9], v[10:11], v[20:21]
	v_add_f64 v[18:19], v[30:31], v[32:33]
	v_add_f64 v[8:9], v[16:17], v[8:9]
	v_mul_f64 v[16:17], v[6:7], v[14:15]
	v_mul_f64 v[14:15], v[4:5], v[14:15]
	v_add_f64 v[10:11], v[18:19], v[24:25]
	v_fma_f64 v[16:17], v[4:5], v[12:13], -v[16:17]
	v_fmac_f64_e32 v[14:15], v[6:7], v[12:13]
	v_add_f64 v[4:5], v[10:11], v[16:17]
	v_add_f64 v[6:7], v[8:9], v[14:15]
	s_barrier
	ds_write_b128 v44, v[4:7]
	s_waitcnt lgkmcnt(0)
	s_barrier
	s_and_saveexec_b64 s[6:7], s[4:5]
	s_cbranch_execz .LBB125_96
; %bb.95:
	ds_read_b128 v[4:7], v43
	ds_read_b128 v[8:11], v43 offset:16
	ds_read_b128 v[12:15], v43 offset:32
	;; [unrolled: 1-line block ×3, first 2 shown]
	s_waitcnt lgkmcnt(3)
	v_add_f64 v[0:1], v[0:1], v[4:5]
	v_add_f64 v[2:3], v[2:3], v[6:7]
	s_waitcnt lgkmcnt(2)
	v_add_f64 v[0:1], v[0:1], v[8:9]
	v_add_f64 v[4:5], v[2:3], v[10:11]
	s_waitcnt lgkmcnt(1)
	v_add_f64 v[6:7], v[0:1], v[12:13]
	ds_read_b128 v[0:3], v43 offset:64
	v_add_f64 v[4:5], v[4:5], v[14:15]
	s_waitcnt lgkmcnt(1)
	v_add_f64 v[8:9], v[6:7], v[16:17]
	v_add_f64 v[12:13], v[4:5], v[18:19]
	ds_read_b128 v[4:7], v43 offset:80
	s_waitcnt lgkmcnt(1)
	v_add_f64 v[14:15], v[8:9], v[0:1]
	ds_read_b128 v[8:11], v43 offset:96
	v_add_f64 v[12:13], v[12:13], v[2:3]
	ds_read_b128 v[0:3], v43 offset:112
	s_waitcnt lgkmcnt(2)
	v_add_f64 v[4:5], v[14:15], v[4:5]
	v_add_f64 v[6:7], v[12:13], v[6:7]
	s_waitcnt lgkmcnt(1)
	v_add_f64 v[4:5], v[4:5], v[8:9]
	v_add_f64 v[6:7], v[6:7], v[10:11]
	s_waitcnt lgkmcnt(0)
	v_add_f64 v[0:1], v[4:5], v[0:1]
	v_add_f64 v[2:3], v[6:7], v[2:3]
.LBB125_96:
	s_or_b64 exec, exec, s[6:7]
	s_load_dwordx2 s[0:1], s[0:1], 0x78
	s_mul_hi_u32 s4, s34, s3
	s_mul_i32 s35, s35, s3
	s_add_i32 s4, s4, s35
	s_mul_i32 s3, s34, s3
	s_mul_i32 s4, s4, s30
	s_mul_hi_u32 s5, s3, s30
	s_add_i32 s5, s5, s4
	s_mul_i32 s4, s3, s30
	s_lshl_b64 s[4:5], s[4:5], 4
	s_waitcnt lgkmcnt(0)
	s_add_u32 s3, s0, s4
	s_addc_u32 s4, s1, s5
	s_mul_hi_i32 s1, s34, s2
	s_mul_i32 s0, s34, s2
	s_lshl_b64 s[0:1], s[0:1], 4
	s_add_u32 s6, s3, s0
	s_addc_u32 s7, s4, s1
	s_add_i32 s8, s2, 1
	s_cmp_ge_u32 s8, s30
	v_lshlrev_b32_e32 v167, 4, v166
	s_barrier
	s_cbranch_scc1 .LBB125_154
; %bb.97:
	s_mul_i32 s0, s33, s24
	v_lshrrev_b32_e32 v6, 4, v42
	v_mov_b32_e32 v8, 0x4300
	s_ashr_i32 s1, s0, 31
	v_lshl_add_u32 v216, v165, 6, v8
	v_lshlrev_b32_e32 v8, 6, v6
	v_mul_i32_i24_e32 v26, 0xffffffd0, v6
	v_and_b32_e32 v6, 48, v166
	s_lshl_b64 s[0:1], s[0:1], 4
	v_and_b32_e32 v7, 15, v166
	s_movk_i32 s4, 0x430
	v_lshlrev_b32_e32 v6, 4, v6
	v_lshlrev_b32_e32 v214, 2, v165
	v_mov_b32_e32 v4, s1
	v_subrev_co_u32_e32 v168, vcc, s0, v36
	v_mad_u32_u24 v220, v7, s4, v6
	v_or_b32_e32 v6, 0xf0, v167
	v_subb_co_u32_e32 v169, vcc, v37, v4, vcc
	v_mad_u64_u32 v[4:5], s[0:1], s22, v214, v[166:167]
	v_mad_u32_u24 v219, v7, s4, v8
	v_mad_u32_u24 v221, v7, s4, v6
	v_lshlrev_b64 v[6:7], 4, v[38:39]
	v_ashrrev_i32_e32 v5, 31, v4
	v_sub_co_u32_e32 v170, vcc, 0, v6
	s_lshl_b32 s12, s22, 4
	s_mul_i32 s16, s22, 3
	v_subb_co_u32_e32 v171, vcc, 0, v7, vcc
	v_lshlrev_b64 v[6:7], 4, v[4:5]
	v_lshl_add_u64 v[4:5], s[26:27], 0, v[4:5]
	s_lshl_b32 s19, s33, 6
	s_ashr_i32 s13, s12, 31
	s_ashr_i32 s23, s22, 31
	s_lshl_b32 s24, s22, 1
	s_ashr_i32 s17, s16, 31
	s_mul_i32 s33, s33, s8
	v_lshlrev_b64 v[4:5], 4, v[4:5]
	s_add_i32 s3, s30, -2
	s_ashr_i32 s25, s24, 31
	s_lshl_b64 s[4:5], s[22:23], 4
	s_lshl_b32 s8, s33, 6
	s_lshl_b64 s[28:29], s[26:27], 4
	s_lshl_b64 s[10:11], s[12:13], 6
	s_mul_i32 s9, s22, 0x300
	v_mad_i64_i32 v[10:11], s[26:27], s12, 48, v[4:5]
	s_lshl_b64 s[16:17], s[16:17], 4
	s_lshl_b64 s[22:23], s[22:23], 5
	s_add_u32 s26, s22, s28
	s_addc_u32 s27, s23, s29
	s_mul_hi_i32 s33, s12, 48
	s_add_u32 s22, s9, s22
	s_addc_u32 s23, s33, s23
	v_lshl_add_u64 v[4:5], s[22:23], 0, v[4:5]
	s_add_u32 s22, s4, s28
	s_addc_u32 s23, s5, s29
	s_lshl_b64 s[24:25], s[24:25], 4
	s_add_u32 s34, s28, s24
	v_lshl_add_u64 v[14:15], v[10:11], 0, s[24:25]
	s_addc_u32 s35, s29, s25
	v_lshl_add_u64 v[176:177], v[40:41], 0, v[14:15]
	v_lshl_add_u64 v[14:15], s[34:35], 0, v[6:7]
	s_add_u32 s34, s28, s16
	v_lshl_add_u64 v[16:17], v[10:11], 0, s[4:5]
	s_addc_u32 s35, s29, s17
	v_lshl_add_u64 v[178:179], v[40:41], 0, v[16:17]
	v_lshl_add_u64 v[16:17], s[34:35], 0, v[6:7]
	s_lshl_b64 s[34:35], s[12:13], 4
	s_add_u32 s36, s28, s34
	s_addc_u32 s37, s29, s35
	s_lshl_b64 s[12:13], s[12:13], 5
	v_lshl_add_u64 v[8:9], s[28:29], 0, v[6:7]
	s_add_u32 s28, s12, s28
	s_addc_u32 s29, s13, s29
	v_lshl_add_u64 v[12:13], v[10:11], 0, s[16:17]
	s_add_u32 s38, s28, s16
	v_lshl_add_u64 v[172:173], v[40:41], 0, v[12:13]
	v_lshl_add_u64 v[12:13], s[26:27], 0, v[6:7]
	s_addc_u32 s39, s29, s17
	v_lshl_add_u64 v[174:175], v[40:41], 0, v[12:13]
	v_lshl_add_u64 v[12:13], s[22:23], 0, v[6:7]
	s_add_u32 s22, s22, s34
	s_addc_u32 s23, s23, s35
	s_add_u32 s12, s26, s12
	s_addc_u32 s13, s27, s13
	v_lshl_add_u64 v[20:21], s[12:13], 0, v[6:7]
	s_add_u32 s12, s36, s24
	s_addc_u32 s13, s37, s25
	v_lshl_add_u64 v[22:23], s[12:13], 0, v[6:7]
	s_add_u32 s12, s28, s24
	s_addc_u32 s13, s29, s25
	v_lshl_add_u64 v[24:25], s[12:13], 0, v[6:7]
	s_add_u32 s12, s26, s34
	s_addc_u32 s13, s27, s35
	s_add_u32 s4, s28, s4
	v_lshl_add_u64 v[184:185], v[40:41], 0, v[24:25]
	v_lshl_add_u64 v[24:25], s[12:13], 0, v[6:7]
	s_addc_u32 s5, s29, s5
	v_lshl_add_u64 v[186:187], v[40:41], 0, v[24:25]
	v_lshl_add_u64 v[24:25], s[4:5], 0, v[6:7]
	s_add_u32 s4, s36, s16
	v_lshl_add_u64 v[18:19], s[38:39], 0, v[6:7]
	s_addc_u32 s5, s37, s17
	v_lshl_add_u64 v[180:181], v[40:41], 0, v[10:11]
	v_lshl_add_u64 v[10:11], s[36:37], 0, v[6:7]
	;; [unrolled: 1-line block ×7, first 2 shown]
	s_movk_i32 s0, 0x10c0
	v_lshl_add_u64 v[8:9], v[40:41], 0, v[8:9]
	v_lshl_add_u64 v[4:5], v[40:41], 0, v[4:5]
	;; [unrolled: 1-line block ×11, first 2 shown]
	v_mov_b32_e32 v238, 0
	v_add_u32_e32 v215, 0x4300, v167
	v_add_u32_e32 v217, 0x4700, v167
	v_mad_u32_u24 v218, v165, s0, v167
	v_cmp_gt_u32_e64 s[0:1], 64, v42
	v_or_b32_e32 v222, 1, v214
	v_or_b32_e32 v223, 2, v214
	;; [unrolled: 1-line block ×3, first 2 shown]
	v_add_u32_e32 v225, 16, v214
	v_add_u32_e32 v226, 17, v214
	;; [unrolled: 1-line block ×6, first 2 shown]
	v_lshl_add_u64 v[190:191], v[8:9], 0, 8
	v_lshl_add_u64 v[192:193], v[4:5], 0, 8
	;; [unrolled: 1-line block ×11, first 2 shown]
	v_add_u32_e32 v231, v219, v26
	v_mov_b32_e32 v239, v238
	v_mov_b32_e32 v240, v238
	;; [unrolled: 1-line block ×3, first 2 shown]
	v_add_u32_e32 v232, 34, v214
	v_add_u32_e32 v233, 35, v214
	;; [unrolled: 1-line block ×7, first 2 shown]
	s_cmp_eq_u32 s3, s2
	s_cselect_b32 s24, s31, 0
	s_and_saveexec_b64 s[4:5], s[14:15]
	s_cbranch_execz .LBB125_102
.LBB125_98:
	s_cmp_lg_u32 s24, 0
	s_cselect_b64 s[12:13], -1, 0
	v_cmp_le_i32_e32 vcc, s24, v166
	s_and_b64 s[12:13], s[12:13], vcc
	s_and_saveexec_b64 s[16:17], s[12:13]
	s_xor_b64 s[12:13], exec, s[16:17]
; %bb.99:
	ds_write_b128 v215, v[238:241]
; %bb.100:
	s_andn2_saveexec_b64 s[12:13], s[12:13]
	s_cbranch_execz .LBB125_102
; %bb.101:
	s_ashr_i32 s9, s8, 31
	v_lshl_add_u64 v[4:5], s[8:9], 4, v[168:169]
	global_load_dwordx4 v[4:7], v[4:5], off
	s_waitcnt vmcnt(0)
	ds_write2_b64 v215, v[4:5], v[6:7] offset1:1
.LBB125_102:                            ; =>This Inner Loop Header: Depth=1
	s_or_b64 exec, exec, s[4:5]
	s_cmp_eq_u32 s24, 0
	s_cselect_b64 s[12:13], -1, 0
	s_cmp_lg_u32 s24, 0
	s_cselect_b64 s[16:17], -1, 0
	v_lshl_add_u64 v[16:17], v[190:191], 0, v[170:171]
	s_and_b64 vcc, exec, s[16:17]
	s_waitcnt lgkmcnt(0)
	s_barrier
	s_cbranch_vccz .LBB125_110
; %bb.103:                              ;   in Loop: Header=BB125_102 Depth=1
	v_cmp_gt_i32_e32 vcc, s24, v214
	v_mov_b64_e32 v[8:9], 0
	v_mov_b64_e32 v[4:5], 0
	;; [unrolled: 1-line block ×3, first 2 shown]
	s_and_saveexec_b64 s[4:5], vcc
	s_cbranch_execz .LBB125_105
; %bb.104:                              ;   in Loop: Header=BB125_102 Depth=1
	global_load_dwordx4 v[4:7], v[16:17], off offset:-8
.LBB125_105:                            ;   in Loop: Header=BB125_102 Depth=1
	s_or_b64 exec, exec, s[4:5]
	v_cmp_gt_i32_e32 vcc, s24, v222
	v_mov_b64_e32 v[10:11], 0
	s_and_saveexec_b64 s[4:5], vcc
	s_cbranch_execz .LBB125_107
; %bb.106:                              ;   in Loop: Header=BB125_102 Depth=1
	v_lshl_add_u64 v[8:9], v[194:195], 0, v[170:171]
	global_load_dwordx4 v[8:11], v[8:9], off offset:-8
.LBB125_107:                            ;   in Loop: Header=BB125_102 Depth=1
	s_or_b64 exec, exec, s[4:5]
	v_cmp_gt_i32_e32 vcc, s24, v223
	v_mov_b64_e32 v[12:13], 0
	v_mov_b64_e32 v[14:15], 0
	s_and_saveexec_b64 s[4:5], vcc
	s_cbranch_execz .LBB125_109
; %bb.108:                              ;   in Loop: Header=BB125_102 Depth=1
	v_lshl_add_u64 v[12:13], v[196:197], 0, v[170:171]
	global_load_dwordx4 v[12:15], v[12:13], off offset:-8
.LBB125_109:                            ;   in Loop: Header=BB125_102 Depth=1
	s_or_b64 exec, exec, s[4:5]
	v_cmp_gt_i32_e64 s[4:5], s24, v224
	s_branch .LBB125_112
.LBB125_110:                            ;   in Loop: Header=BB125_102 Depth=1
	s_mov_b64 s[4:5], 0
                                        ; implicit-def: $vgpr14_vgpr15
                                        ; implicit-def: $vgpr10_vgpr11
                                        ; implicit-def: $vgpr6_vgpr7
	s_cbranch_execz .LBB125_112
; %bb.111:                              ;   in Loop: Header=BB125_102 Depth=1
	s_waitcnt vmcnt(0)
	v_lshl_add_u64 v[8:9], v[194:195], 0, v[170:171]
	v_lshl_add_u64 v[12:13], v[174:175], 0, v[170:171]
	global_load_dwordx4 v[4:7], v[16:17], off offset:-8
	s_or_b64 s[4:5], s[4:5], exec
	global_load_dwordx4 v[8:11], v[8:9], off offset:-8
	s_nop 0
	global_load_dwordx4 v[12:15], v[12:13], off
.LBB125_112:                            ;   in Loop: Header=BB125_102 Depth=1
	v_mov_b64_e32 v[16:17], 0
	v_mov_b64_e32 v[18:19], 0
	s_and_saveexec_b64 s[22:23], s[4:5]
	s_cbranch_execz .LBB125_114
; %bb.113:                              ;   in Loop: Header=BB125_102 Depth=1
	v_lshl_add_u64 v[16:17], v[198:199], 0, v[170:171]
	global_load_dwordx4 v[16:19], v[16:17], off offset:-8
.LBB125_114:                            ;   in Loop: Header=BB125_102 Depth=1
	s_or_b64 exec, exec, s[22:23]
	ds_read_b128 v[36:39], v217
	ds_read_b128 v[32:35], v216
	ds_read_b128 v[28:31], v216 offset:16
	ds_read_b128 v[24:27], v216 offset:32
	;; [unrolled: 1-line block ×3, first 2 shown]
	s_waitcnt vmcnt(0) lgkmcnt(4)
	v_mul_f64 v[40:41], v[6:7], v[38:39]
	v_mul_f64 v[42:43], v[4:5], v[38:39]
	v_fma_f64 v[40:41], v[4:5], v[36:37], -v[40:41]
	v_fmac_f64_e32 v[42:43], v[6:7], v[36:37]
	ds_write_b128 v218, v[40:43]
	v_mul_f64 v[40:41], v[10:11], v[38:39]
	v_mul_f64 v[42:43], v[8:9], v[38:39]
	v_fma_f64 v[40:41], v[8:9], v[36:37], -v[40:41]
	v_fmac_f64_e32 v[42:43], v[10:11], v[36:37]
	ds_write_b128 v218, v[40:43] offset:1072
	v_mul_f64 v[40:41], v[14:15], v[38:39]
	v_mul_f64 v[42:43], v[12:13], v[38:39]
	v_fma_f64 v[40:41], v[12:13], v[36:37], -v[40:41]
	v_fmac_f64_e32 v[42:43], v[14:15], v[36:37]
	ds_write_b128 v218, v[40:43] offset:2144
	;; [unrolled: 5-line block ×3, first 2 shown]
	s_waitcnt lgkmcnt(0)
	s_barrier
	ds_read_b128 v[92:95], v219
	ds_read_b128 v[88:91], v219 offset:16
	ds_read_b128 v[84:87], v219 offset:32
	;; [unrolled: 1-line block ×3, first 2 shown]
	v_cndmask_b32_e64 v36, 0, 1, s[16:17]
	v_cmp_ne_u32_e64 s[4:5], 1, v36
	s_andn2_b64 vcc, exec, s[16:17]
	v_lshl_add_u64 v[48:49], v[200:201], 0, v[170:171]
	s_waitcnt lgkmcnt(0)
	s_barrier
	s_cbranch_vccnz .LBB125_122
; %bb.115:                              ;   in Loop: Header=BB125_102 Depth=1
	v_cmp_gt_i32_e32 vcc, s24, v225
	v_mov_b64_e32 v[40:41], 0
	v_mov_b64_e32 v[36:37], 0
	;; [unrolled: 1-line block ×3, first 2 shown]
	s_and_saveexec_b64 s[16:17], vcc
	s_cbranch_execz .LBB125_117
; %bb.116:                              ;   in Loop: Header=BB125_102 Depth=1
	global_load_dwordx4 v[36:39], v[48:49], off offset:-8
.LBB125_117:                            ;   in Loop: Header=BB125_102 Depth=1
	s_or_b64 exec, exec, s[16:17]
	v_cmp_gt_i32_e32 vcc, s24, v226
	v_mov_b64_e32 v[42:43], 0
	s_and_saveexec_b64 s[16:17], vcc
	s_cbranch_execz .LBB125_119
; %bb.118:                              ;   in Loop: Header=BB125_102 Depth=1
	v_lshl_add_u64 v[40:41], v[202:203], 0, v[170:171]
	global_load_dwordx4 v[40:43], v[40:41], off offset:-8
.LBB125_119:                            ;   in Loop: Header=BB125_102 Depth=1
	s_or_b64 exec, exec, s[16:17]
	v_cmp_gt_i32_e32 vcc, s24, v227
	v_mov_b64_e32 v[44:45], 0
	v_mov_b64_e32 v[46:47], 0
	s_and_saveexec_b64 s[16:17], vcc
	s_cbranch_execz .LBB125_121
; %bb.120:                              ;   in Loop: Header=BB125_102 Depth=1
	v_lshl_add_u64 v[44:45], v[206:207], 0, v[170:171]
	global_load_dwordx4 v[44:47], v[44:45], off offset:-8
.LBB125_121:                            ;   in Loop: Header=BB125_102 Depth=1
	s_or_b64 exec, exec, s[16:17]
	v_cmp_gt_i32_e64 s[16:17], s24, v228
	s_branch .LBB125_124
.LBB125_122:                            ;   in Loop: Header=BB125_102 Depth=1
	s_mov_b64 s[16:17], 0
                                        ; implicit-def: $vgpr46_vgpr47
                                        ; implicit-def: $vgpr42_vgpr43
                                        ; implicit-def: $vgpr38_vgpr39
	s_cbranch_execz .LBB125_124
; %bb.123:                              ;   in Loop: Header=BB125_102 Depth=1
	s_waitcnt vmcnt(0)
	v_lshl_add_u64 v[40:41], v[202:203], 0, v[170:171]
	v_lshl_add_u64 v[44:45], v[186:187], 0, v[170:171]
	global_load_dwordx4 v[36:39], v[48:49], off offset:-8
	s_or_b64 s[16:17], s[16:17], exec
	global_load_dwordx4 v[40:43], v[40:41], off offset:-8
	s_nop 0
	global_load_dwordx4 v[44:47], v[44:45], off
.LBB125_124:                            ;   in Loop: Header=BB125_102 Depth=1
	v_mov_b64_e32 v[48:49], 0
	v_mov_b64_e32 v[50:51], 0
	s_and_saveexec_b64 s[22:23], s[16:17]
	s_cbranch_execz .LBB125_126
; %bb.125:                              ;   in Loop: Header=BB125_102 Depth=1
	v_lshl_add_u64 v[48:49], v[208:209], 0, v[170:171]
	global_load_dwordx4 v[48:51], v[48:49], off offset:-8
.LBB125_126:                            ;   in Loop: Header=BB125_102 Depth=1
	s_or_b64 exec, exec, s[22:23]
	ds_read_b128 v[68:71], v217
	ds_read_b128 v[64:67], v216 offset:256
	ds_read_b128 v[60:63], v216 offset:272
	;; [unrolled: 1-line block ×4, first 2 shown]
	s_waitcnt vmcnt(0) lgkmcnt(4)
	v_mul_f64 v[72:73], v[38:39], v[70:71]
	v_mul_f64 v[74:75], v[36:37], v[70:71]
	v_fma_f64 v[72:73], v[36:37], v[68:69], -v[72:73]
	v_fmac_f64_e32 v[74:75], v[38:39], v[68:69]
	ds_write_b128 v218, v[72:75]
	v_mul_f64 v[72:73], v[42:43], v[70:71]
	v_mul_f64 v[74:75], v[40:41], v[70:71]
	v_fma_f64 v[72:73], v[40:41], v[68:69], -v[72:73]
	v_fmac_f64_e32 v[74:75], v[42:43], v[68:69]
	ds_write_b128 v218, v[72:75] offset:1072
	v_mul_f64 v[72:73], v[46:47], v[70:71]
	v_mul_f64 v[74:75], v[44:45], v[70:71]
	v_fma_f64 v[72:73], v[44:45], v[68:69], -v[72:73]
	v_fmac_f64_e32 v[74:75], v[46:47], v[68:69]
	ds_write_b128 v218, v[72:75] offset:2144
	v_mul_f64 v[72:73], v[50:51], v[70:71]
	v_mul_f64 v[74:75], v[48:49], v[70:71]
	v_fma_f64 v[72:73], v[48:49], v[68:69], -v[72:73]
	v_fmac_f64_e32 v[74:75], v[50:51], v[68:69]
	ds_write_b128 v218, v[72:75] offset:3216
	s_waitcnt lgkmcnt(0)
	s_barrier
	ds_read_b128 v[144:147], v219
	ds_read_b128 v[140:143], v219 offset:16
	ds_read_b128 v[136:139], v219 offset:32
	;; [unrolled: 1-line block ×3, first 2 shown]
	s_and_b64 vcc, exec, s[4:5]
	v_lshl_add_u64 v[96:97], v[210:211], 0, v[170:171]
	s_waitcnt lgkmcnt(0)
	s_barrier
	s_cbranch_vccnz .LBB125_134
; %bb.127:                              ;   in Loop: Header=BB125_102 Depth=1
	v_cmp_gt_i32_e32 vcc, s24, v229
	v_mov_b64_e32 v[72:73], 0
	v_mov_b64_e32 v[68:69], 0
	;; [unrolled: 1-line block ×3, first 2 shown]
	s_and_saveexec_b64 s[16:17], vcc
	s_cbranch_execz .LBB125_129
; %bb.128:                              ;   in Loop: Header=BB125_102 Depth=1
	global_load_dwordx4 v[68:71], v[96:97], off offset:-8
.LBB125_129:                            ;   in Loop: Header=BB125_102 Depth=1
	s_or_b64 exec, exec, s[16:17]
	v_cmp_gt_i32_e32 vcc, s24, v230
	v_mov_b64_e32 v[74:75], 0
	s_and_saveexec_b64 s[16:17], vcc
	s_cbranch_execz .LBB125_131
; %bb.130:                              ;   in Loop: Header=BB125_102 Depth=1
	v_lshl_add_u64 v[72:73], v[188:189], 0, v[170:171]
	global_load_dwordx4 v[72:75], v[72:73], off
.LBB125_131:                            ;   in Loop: Header=BB125_102 Depth=1
	s_or_b64 exec, exec, s[16:17]
	v_cmp_gt_i32_e32 vcc, s24, v232
	v_mov_b64_e32 v[76:77], 0
	v_mov_b64_e32 v[78:79], 0
	s_and_saveexec_b64 s[16:17], vcc
	s_cbranch_execz .LBB125_133
; %bb.132:                              ;   in Loop: Header=BB125_102 Depth=1
	v_lshl_add_u64 v[76:77], v[184:185], 0, v[170:171]
	global_load_dwordx4 v[76:79], v[76:77], off
.LBB125_133:                            ;   in Loop: Header=BB125_102 Depth=1
	s_or_b64 exec, exec, s[16:17]
	v_cmp_gt_i32_e64 s[16:17], s24, v233
	s_branch .LBB125_136
.LBB125_134:                            ;   in Loop: Header=BB125_102 Depth=1
	s_mov_b64 s[16:17], 0
                                        ; implicit-def: $vgpr78_vgpr79
                                        ; implicit-def: $vgpr74_vgpr75
                                        ; implicit-def: $vgpr70_vgpr71
	s_cbranch_execz .LBB125_136
; %bb.135:                              ;   in Loop: Header=BB125_102 Depth=1
	s_waitcnt vmcnt(0)
	v_lshl_add_u64 v[72:73], v[188:189], 0, v[170:171]
	v_lshl_add_u64 v[76:77], v[204:205], 0, v[170:171]
	global_load_dwordx4 v[68:71], v[96:97], off offset:-8
	s_or_b64 s[16:17], s[16:17], exec
	global_load_dwordx4 v[72:75], v[72:73], off
	s_nop 0
	global_load_dwordx4 v[76:79], v[76:77], off offset:-8
.LBB125_136:                            ;   in Loop: Header=BB125_102 Depth=1
	v_mov_b64_e32 v[96:97], 0
	v_mov_b64_e32 v[98:99], 0
	s_and_saveexec_b64 s[22:23], s[16:17]
	s_cbranch_execz .LBB125_138
; %bb.137:                              ;   in Loop: Header=BB125_102 Depth=1
	v_lshl_add_u64 v[96:97], v[182:183], 0, v[170:171]
	global_load_dwordx4 v[96:99], v[96:97], off
.LBB125_138:                            ;   in Loop: Header=BB125_102 Depth=1
	s_or_b64 exec, exec, s[22:23]
	ds_read_b128 v[116:119], v217
	ds_read_b128 v[112:115], v216 offset:512
	ds_read_b128 v[108:111], v216 offset:528
	;; [unrolled: 1-line block ×4, first 2 shown]
	s_waitcnt vmcnt(0) lgkmcnt(4)
	v_mul_f64 v[120:121], v[70:71], v[118:119]
	v_mul_f64 v[122:123], v[68:69], v[118:119]
	v_fma_f64 v[120:121], v[68:69], v[116:117], -v[120:121]
	v_fmac_f64_e32 v[122:123], v[70:71], v[116:117]
	ds_write_b128 v218, v[120:123]
	v_mul_f64 v[120:121], v[74:75], v[118:119]
	v_mul_f64 v[122:123], v[72:73], v[118:119]
	v_fma_f64 v[120:121], v[72:73], v[116:117], -v[120:121]
	v_fmac_f64_e32 v[122:123], v[74:75], v[116:117]
	ds_write_b128 v218, v[120:123] offset:1072
	v_mul_f64 v[120:121], v[78:79], v[118:119]
	v_mul_f64 v[122:123], v[76:77], v[118:119]
	v_fma_f64 v[120:121], v[76:77], v[116:117], -v[120:121]
	v_fmac_f64_e32 v[122:123], v[78:79], v[116:117]
	ds_write_b128 v218, v[120:123] offset:2144
	;; [unrolled: 5-line block ×3, first 2 shown]
	s_waitcnt lgkmcnt(0)
	s_barrier
	ds_read_b128 v[160:163], v219
	ds_read_b128 v[156:159], v219 offset:16
	ds_read_b128 v[152:155], v219 offset:32
	;; [unrolled: 1-line block ×3, first 2 shown]
	s_and_b64 vcc, exec, s[4:5]
	v_lshl_add_u64 v[128:129], v[180:181], 0, v[170:171]
	s_waitcnt lgkmcnt(0)
	s_barrier
	s_cbranch_vccnz .LBB125_146
; %bb.139:                              ;   in Loop: Header=BB125_102 Depth=1
	v_cmp_gt_i32_e32 vcc, s24, v234
	v_mov_b64_e32 v[120:121], 0
	v_mov_b64_e32 v[116:117], 0
	;; [unrolled: 1-line block ×3, first 2 shown]
	s_and_saveexec_b64 s[4:5], vcc
	s_cbranch_execz .LBB125_141
; %bb.140:                              ;   in Loop: Header=BB125_102 Depth=1
	global_load_dwordx4 v[116:119], v[128:129], off
.LBB125_141:                            ;   in Loop: Header=BB125_102 Depth=1
	s_or_b64 exec, exec, s[4:5]
	v_cmp_gt_i32_e32 vcc, s24, v235
	v_mov_b64_e32 v[122:123], 0
	s_and_saveexec_b64 s[4:5], vcc
	s_cbranch_execz .LBB125_143
; %bb.142:                              ;   in Loop: Header=BB125_102 Depth=1
	v_lshl_add_u64 v[120:121], v[178:179], 0, v[170:171]
	global_load_dwordx4 v[120:123], v[120:121], off
.LBB125_143:                            ;   in Loop: Header=BB125_102 Depth=1
	s_or_b64 exec, exec, s[4:5]
	v_cmp_gt_i32_e32 vcc, s24, v236
	v_mov_b64_e32 v[124:125], 0
	v_mov_b64_e32 v[126:127], 0
	s_and_saveexec_b64 s[4:5], vcc
	s_cbranch_execz .LBB125_145
; %bb.144:                              ;   in Loop: Header=BB125_102 Depth=1
	v_lshl_add_u64 v[124:125], v[176:177], 0, v[170:171]
	global_load_dwordx4 v[124:127], v[124:125], off
.LBB125_145:                            ;   in Loop: Header=BB125_102 Depth=1
	s_or_b64 exec, exec, s[4:5]
	v_cmp_gt_i32_e64 s[4:5], s24, v237
	s_branch .LBB125_148
.LBB125_146:                            ;   in Loop: Header=BB125_102 Depth=1
	s_mov_b64 s[4:5], 0
                                        ; implicit-def: $vgpr126_vgpr127
                                        ; implicit-def: $vgpr122_vgpr123
                                        ; implicit-def: $vgpr118_vgpr119
	s_cbranch_execz .LBB125_148
; %bb.147:                              ;   in Loop: Header=BB125_102 Depth=1
	s_waitcnt vmcnt(0)
	v_lshl_add_u64 v[120:121], v[178:179], 0, v[170:171]
	v_lshl_add_u64 v[124:125], v[192:193], 0, v[170:171]
	global_load_dwordx4 v[116:119], v[128:129], off
	s_or_b64 s[4:5], s[4:5], exec
	global_load_dwordx4 v[120:123], v[120:121], off
	s_nop 0
	global_load_dwordx4 v[124:127], v[124:125], off offset:-8
.LBB125_148:                            ;   in Loop: Header=BB125_102 Depth=1
	v_mov_b64_e32 v[128:129], 0
	v_mov_b64_e32 v[130:131], 0
	s_and_saveexec_b64 s[16:17], s[4:5]
	s_cbranch_execz .LBB125_150
; %bb.149:                              ;   in Loop: Header=BB125_102 Depth=1
	v_lshl_add_u64 v[128:129], v[172:173], 0, v[170:171]
	global_load_dwordx4 v[128:131], v[128:129], off
.LBB125_150:                            ;   in Loop: Header=BB125_102 Depth=1
	s_or_b64 exec, exec, s[16:17]
	v_add_f64 v[160:161], v[160:161], 0
	v_add_f64 v[144:145], v[144:145], 0
	;; [unrolled: 1-line block ×19, first 2 shown]
	ds_read_b128 v[140:143], v217
	ds_read_b128 v[132:135], v216 offset:768
	ds_read_b128 v[92:95], v216 offset:784
	;; [unrolled: 1-line block ×4, first 2 shown]
	s_waitcnt vmcnt(0) lgkmcnt(4)
	v_mul_f64 v[144:145], v[118:119], v[142:143]
	v_mul_f64 v[146:147], v[116:117], v[142:143]
	v_fma_f64 v[144:145], v[116:117], v[140:141], -v[144:145]
	v_fmac_f64_e32 v[146:147], v[118:119], v[140:141]
	ds_write_b128 v218, v[144:147]
	v_mul_f64 v[144:145], v[122:123], v[142:143]
	v_mul_f64 v[146:147], v[120:121], v[142:143]
	v_fma_f64 v[144:145], v[120:121], v[140:141], -v[144:145]
	v_fmac_f64_e32 v[146:147], v[122:123], v[140:141]
	ds_write_b128 v218, v[144:147] offset:1072
	v_mul_f64 v[144:145], v[126:127], v[142:143]
	v_mul_f64 v[146:147], v[124:125], v[142:143]
	v_fma_f64 v[144:145], v[124:125], v[140:141], -v[144:145]
	v_fmac_f64_e32 v[146:147], v[126:127], v[140:141]
	ds_write_b128 v218, v[144:147] offset:2144
	v_mul_f64 v[144:145], v[130:131], v[142:143]
	v_mul_f64 v[146:147], v[128:129], v[142:143]
	v_fma_f64 v[144:145], v[128:129], v[140:141], -v[144:145]
	v_fmac_f64_e32 v[146:147], v[130:131], v[140:141]
	v_add_f64 v[162:163], v[162:163], 0
	ds_write_b128 v218, v[144:147] offset:3216
	s_waitcnt lgkmcnt(0)
	s_barrier
	ds_read_b128 v[140:143], v219
	v_add_f64 v[158:159], v[162:163], v[158:159]
	v_add_f64 v[154:155], v[158:159], v[154:155]
	;; [unrolled: 1-line block ×4, first 2 shown]
	ds_read_b128 v[144:147], v219 offset:16
	ds_read_b128 v[152:155], v219 offset:32
	;; [unrolled: 1-line block ×3, first 2 shown]
	s_waitcnt lgkmcnt(3)
	v_add_f64 v[140:141], v[140:141], 0
	v_add_f64 v[142:143], v[142:143], 0
	v_cmp_gt_i32_e32 vcc, s24, v166
	s_waitcnt lgkmcnt(2)
	v_add_f64 v[140:141], v[140:141], v[144:145]
	v_add_f64 v[142:143], v[142:143], v[146:147]
	s_or_b64 s[4:5], s[12:13], vcc
	s_waitcnt lgkmcnt(1)
	v_add_f64 v[140:141], v[140:141], v[152:153]
	v_add_f64 v[142:143], v[142:143], v[154:155]
	s_and_b64 s[12:13], s[0:1], s[4:5]
	s_waitcnt lgkmcnt(0)
	v_add_f64 v[140:141], v[140:141], v[156:157]
	v_add_f64 v[142:143], v[142:143], v[158:159]
	s_barrier
	ds_write_b128 v231, v[80:83]
	ds_write_b128 v231, v[136:139] offset:256
	ds_write_b128 v231, v[148:151] offset:512
	;; [unrolled: 1-line block ×3, first 2 shown]
	s_waitcnt lgkmcnt(0)
	s_barrier
	s_and_saveexec_b64 s[4:5], s[12:13]
	s_cbranch_execz .LBB125_152
; %bb.151:                              ;   in Loop: Header=BB125_102 Depth=1
	ds_read_b128 v[80:83], v220
	ds_read_b128 v[136:139], v220 offset:16
	ds_read_b128 v[140:143], v220 offset:32
	;; [unrolled: 1-line block ×3, first 2 shown]
	v_ashrrev_i32_e32 v213, 31, v212
	s_waitcnt lgkmcnt(2)
	v_add_f64 v[80:81], v[136:137], v[80:81]
	v_add_f64 v[136:137], v[138:139], v[82:83]
	s_waitcnt lgkmcnt(1)
	v_add_f64 v[138:139], v[80:81], v[140:141]
	ds_read_b128 v[80:83], v220 offset:64
	v_add_f64 v[140:141], v[136:137], v[142:143]
	s_waitcnt lgkmcnt(1)
	v_add_f64 v[142:143], v[138:139], v[144:145]
	ds_read_b128 v[136:139], v220 offset:80
	;; [unrolled: 4-line block ×9, first 2 shown]
	v_add_f64 v[82:83], v[144:145], v[82:83]
	s_waitcnt lgkmcnt(1)
	v_add_f64 v[136:137], v[80:81], v[136:137]
	v_add_f64 v[144:145], v[82:83], v[138:139]
	ds_read_b128 v[80:83], v220 offset:208
	s_waitcnt lgkmcnt(1)
	v_add_f64 v[146:147], v[136:137], v[140:141]
	ds_read_b128 v[136:139], v220 offset:224
	v_add_f64 v[144:145], v[144:145], v[142:143]
	ds_read_b128 v[140:143], v221
	s_waitcnt lgkmcnt(2)
	v_add_f64 v[80:81], v[146:147], v[80:81]
	v_add_f64 v[82:83], v[144:145], v[82:83]
	s_waitcnt lgkmcnt(1)
	v_add_f64 v[80:81], v[80:81], v[136:137]
	v_add_f64 v[82:83], v[82:83], v[138:139]
	;; [unrolled: 3-line block ×3, first 2 shown]
	v_lshl_add_u64 v[136:137], v[212:213], 4, s[6:7]
	global_store_dwordx4 v[136:137], v[80:83], off
.LBB125_152:                            ;   in Loop: Header=BB125_102 Depth=1
	s_or_b64 exec, exec, s[4:5]
	s_nop 0
	v_mul_f64 v[80:81], v[6:7], v[34:35]
	v_fma_f64 v[80:81], v[4:5], v[32:33], -v[80:81]
	v_mul_f64 v[4:5], v[4:5], v[34:35]
	v_mul_f64 v[34:35], v[10:11], v[30:31]
	v_add_f64 v[0:1], v[0:1], v[80:81]
	v_fma_f64 v[34:35], v[8:9], v[28:29], -v[34:35]
	v_mul_f64 v[8:9], v[8:9], v[30:31]
	v_mul_f64 v[30:31], v[14:15], v[26:27]
	v_add_f64 v[0:1], v[0:1], v[34:35]
	v_fma_f64 v[30:31], v[12:13], v[24:25], -v[30:31]
	v_mul_f64 v[12:13], v[12:13], v[26:27]
	v_mul_f64 v[26:27], v[18:19], v[22:23]
	v_fmac_f64_e32 v[4:5], v[6:7], v[32:33]
	v_add_f64 v[0:1], v[0:1], v[30:31]
	v_fma_f64 v[26:27], v[16:17], v[20:21], -v[26:27]
	v_add_f64 v[2:3], v[2:3], v[4:5]
	v_mul_f64 v[4:5], v[38:39], v[66:67]
	v_add_f64 v[0:1], v[0:1], v[26:27]
	v_fma_f64 v[4:5], v[36:37], v[64:65], -v[4:5]
	v_add_f64 v[0:1], v[0:1], v[4:5]
	v_mul_f64 v[4:5], v[42:43], v[62:63]
	v_fma_f64 v[4:5], v[40:41], v[60:61], -v[4:5]
	v_add_f64 v[0:1], v[0:1], v[4:5]
	v_mul_f64 v[4:5], v[46:47], v[58:59]
	v_fma_f64 v[4:5], v[44:45], v[56:57], -v[4:5]
	v_add_f64 v[0:1], v[0:1], v[4:5]
	v_mul_f64 v[4:5], v[50:51], v[54:55]
	v_fma_f64 v[4:5], v[48:49], v[52:53], -v[4:5]
	v_add_f64 v[0:1], v[0:1], v[4:5]
	v_mul_f64 v[4:5], v[70:71], v[114:115]
	v_fmac_f64_e32 v[8:9], v[10:11], v[28:29]
	v_fma_f64 v[4:5], v[68:69], v[112:113], -v[4:5]
	v_mul_f64 v[16:17], v[16:17], v[22:23]
	v_add_f64 v[2:3], v[2:3], v[8:9]
	v_fmac_f64_e32 v[12:13], v[14:15], v[24:25]
	v_add_f64 v[0:1], v[0:1], v[4:5]
	v_mul_f64 v[4:5], v[74:75], v[110:111]
	v_add_f64 v[2:3], v[2:3], v[12:13]
	v_fmac_f64_e32 v[16:17], v[18:19], v[20:21]
	v_mul_f64 v[6:7], v[36:37], v[66:67]
	v_fma_f64 v[4:5], v[72:73], v[108:109], -v[4:5]
	v_add_f64 v[2:3], v[2:3], v[16:17]
	v_mul_f64 v[8:9], v[40:41], v[62:63]
	v_fmac_f64_e32 v[6:7], v[38:39], v[64:65]
	v_add_f64 v[0:1], v[0:1], v[4:5]
	v_mul_f64 v[4:5], v[78:79], v[106:107]
	v_mul_f64 v[10:11], v[44:45], v[58:59]
	v_add_f64 v[2:3], v[2:3], v[6:7]
	v_fmac_f64_e32 v[8:9], v[42:43], v[60:61]
	v_fma_f64 v[4:5], v[76:77], v[104:105], -v[4:5]
	v_mul_f64 v[12:13], v[48:49], v[54:55]
	v_add_f64 v[2:3], v[2:3], v[8:9]
	v_fmac_f64_e32 v[10:11], v[46:47], v[56:57]
	v_add_f64 v[0:1], v[0:1], v[4:5]
	v_mul_f64 v[4:5], v[98:99], v[102:103]
	v_add_f64 v[2:3], v[2:3], v[10:11]
	v_fmac_f64_e32 v[12:13], v[50:51], v[52:53]
	v_mul_f64 v[6:7], v[68:69], v[114:115]
	v_fma_f64 v[4:5], v[96:97], v[100:101], -v[4:5]
	v_add_f64 v[2:3], v[2:3], v[12:13]
	v_mul_f64 v[8:9], v[72:73], v[110:111]
	v_add_f64 v[0:1], v[0:1], v[4:5]
	v_fmac_f64_e32 v[6:7], v[70:71], v[112:113]
	v_mul_f64 v[4:5], v[118:119], v[134:135]
	v_mul_f64 v[10:11], v[76:77], v[106:107]
	v_add_f64 v[2:3], v[2:3], v[6:7]
	v_fmac_f64_e32 v[8:9], v[74:75], v[108:109]
	v_fma_f64 v[4:5], v[116:117], v[132:133], -v[4:5]
	v_mul_f64 v[12:13], v[96:97], v[102:103]
	v_add_f64 v[2:3], v[2:3], v[8:9]
	v_fmac_f64_e32 v[10:11], v[78:79], v[104:105]
	v_add_f64 v[0:1], v[0:1], v[4:5]
	v_mul_f64 v[4:5], v[122:123], v[94:95]
	v_add_f64 v[2:3], v[2:3], v[10:11]
	v_fmac_f64_e32 v[12:13], v[98:99], v[100:101]
	v_mul_f64 v[6:7], v[116:117], v[134:135]
	v_fma_f64 v[4:5], v[120:121], v[92:93], -v[4:5]
	v_add_f64 v[2:3], v[2:3], v[12:13]
	v_mul_f64 v[8:9], v[120:121], v[94:95]
	v_add_f64 v[0:1], v[0:1], v[4:5]
	v_mul_f64 v[4:5], v[126:127], v[90:91]
	v_fmac_f64_e32 v[6:7], v[118:119], v[132:133]
	v_fma_f64 v[4:5], v[124:125], v[88:89], -v[4:5]
	v_mul_f64 v[10:11], v[124:125], v[90:91]
	v_fmac_f64_e32 v[8:9], v[122:123], v[92:93]
	v_add_f64 v[2:3], v[2:3], v[6:7]
	v_add_f64 v[0:1], v[0:1], v[4:5]
	v_mul_f64 v[4:5], v[130:131], v[86:87]
	v_mul_f64 v[12:13], v[128:129], v[86:87]
	v_fmac_f64_e32 v[10:11], v[126:127], v[88:89]
	v_add_f64 v[2:3], v[2:3], v[8:9]
	v_fma_f64 v[4:5], v[128:129], v[84:85], -v[4:5]
	v_fmac_f64_e32 v[12:13], v[130:131], v[84:85]
	v_add_f64 v[2:3], v[2:3], v[10:11]
	s_add_i32 s4, s2, 1
	s_add_i32 s8, s8, s19
	s_add_i32 s2, s2, 2
	v_add_f64 v[0:1], v[0:1], v[4:5]
	v_add_f64 v[2:3], v[2:3], v[12:13]
	v_add_u32_e32 v212, 64, v212
	v_lshl_add_u64 v[190:191], v[190:191], 0, s[10:11]
	v_lshl_add_u64 v[172:173], v[172:173], 0, s[10:11]
	;; [unrolled: 1-line block ×19, first 2 shown]
	s_cmp_ge_u32 s2, s30
	v_lshl_add_u64 v[210:211], v[210:211], 0, s[10:11]
	s_barrier
	s_cbranch_scc1 .LBB125_154
; %bb.153:                              ;   in Loop: Header=BB125_102 Depth=1
	s_mov_b32 s2, s4
	s_cmp_eq_u32 s3, s2
	s_cselect_b32 s24, s31, 0
	s_and_saveexec_b64 s[4:5], s[14:15]
	s_cbranch_execnz .LBB125_98
	s_branch .LBB125_102
.LBB125_154:
	s_movk_i32 s0, 0x430
	v_cmp_gt_i32_e32 vcc, s18, v166
	v_mad_u32_u24 v4, v165, s0, v167
	s_or_b64 s[0:1], s[20:21], vcc
	s_and_b64 s[0:1], s[14:15], s[0:1]
	ds_write_b128 v4, v[0:3]
	s_waitcnt lgkmcnt(0)
	s_barrier
	s_and_saveexec_b64 s[2:3], s[0:1]
	s_cbranch_execz .LBB125_156
; %bb.155:
	ds_read_b128 v[0:3], v167 offset:1072
	ds_read_b128 v[4:7], v167
	ds_read_b128 v[8:11], v167 offset:2144
	ds_read_b128 v[12:15], v167 offset:3216
	v_ashrrev_i32_e32 v165, 31, v164
	s_waitcnt lgkmcnt(2)
	v_add_f64 v[0:1], v[0:1], v[4:5]
	v_add_f64 v[2:3], v[2:3], v[6:7]
	s_waitcnt lgkmcnt(1)
	v_add_f64 v[0:1], v[0:1], v[8:9]
	v_add_f64 v[2:3], v[2:3], v[10:11]
	;; [unrolled: 3-line block ×3, first 2 shown]
	v_lshl_add_u64 v[4:5], v[164:165], 4, s[6:7]
	global_store_dwordx4 v[4:5], v[0:3], off
.LBB125_156:
	s_endpgm
	.section	.rodata,"a",@progbits
	.p2align	6, 0x0
	.amdhsa_kernel _ZL26rocblas_hemvn_kernel_upperILb0ELi64ELi4ELi33ELi32ELi16Ei19rocblas_complex_numIdEPKS1_PS1_EviT6_lT7_lT5_lS6_lS7_lS5_lT8_i
		.amdhsa_group_segment_fixed_size 19200
		.amdhsa_private_segment_fixed_size 0
		.amdhsa_kernarg_size 392
		.amdhsa_user_sgpr_count 2
		.amdhsa_user_sgpr_dispatch_ptr 0
		.amdhsa_user_sgpr_queue_ptr 0
		.amdhsa_user_sgpr_kernarg_segment_ptr 1
		.amdhsa_user_sgpr_dispatch_id 0
		.amdhsa_user_sgpr_kernarg_preload_length 0
		.amdhsa_user_sgpr_kernarg_preload_offset 0
		.amdhsa_user_sgpr_private_segment_size 0
		.amdhsa_uses_dynamic_stack 0
		.amdhsa_enable_private_segment 0
		.amdhsa_system_sgpr_workgroup_id_x 1
		.amdhsa_system_sgpr_workgroup_id_y 0
		.amdhsa_system_sgpr_workgroup_id_z 1
		.amdhsa_system_sgpr_workgroup_info 0
		.amdhsa_system_vgpr_workitem_id 1
		.amdhsa_next_free_vgpr 242
		.amdhsa_next_free_sgpr 40
		.amdhsa_accum_offset 244
		.amdhsa_reserve_vcc 1
		.amdhsa_float_round_mode_32 0
		.amdhsa_float_round_mode_16_64 0
		.amdhsa_float_denorm_mode_32 3
		.amdhsa_float_denorm_mode_16_64 3
		.amdhsa_dx10_clamp 1
		.amdhsa_ieee_mode 1
		.amdhsa_fp16_overflow 0
		.amdhsa_tg_split 0
		.amdhsa_exception_fp_ieee_invalid_op 0
		.amdhsa_exception_fp_denorm_src 0
		.amdhsa_exception_fp_ieee_div_zero 0
		.amdhsa_exception_fp_ieee_overflow 0
		.amdhsa_exception_fp_ieee_underflow 0
		.amdhsa_exception_fp_ieee_inexact 0
		.amdhsa_exception_int_div_zero 0
	.end_amdhsa_kernel
	.section	.text._ZL26rocblas_hemvn_kernel_upperILb0ELi64ELi4ELi33ELi32ELi16Ei19rocblas_complex_numIdEPKS1_PS1_EviT6_lT7_lT5_lS6_lS7_lS5_lT8_i,"axG",@progbits,_ZL26rocblas_hemvn_kernel_upperILb0ELi64ELi4ELi33ELi32ELi16Ei19rocblas_complex_numIdEPKS1_PS1_EviT6_lT7_lT5_lS6_lS7_lS5_lT8_i,comdat
.Lfunc_end125:
	.size	_ZL26rocblas_hemvn_kernel_upperILb0ELi64ELi4ELi33ELi32ELi16Ei19rocblas_complex_numIdEPKS1_PS1_EviT6_lT7_lT5_lS6_lS7_lS5_lT8_i, .Lfunc_end125-_ZL26rocblas_hemvn_kernel_upperILb0ELi64ELi4ELi33ELi32ELi16Ei19rocblas_complex_numIdEPKS1_PS1_EviT6_lT7_lT5_lS6_lS7_lS5_lT8_i
                                        ; -- End function
	.set _ZL26rocblas_hemvn_kernel_upperILb0ELi64ELi4ELi33ELi32ELi16Ei19rocblas_complex_numIdEPKS1_PS1_EviT6_lT7_lT5_lS6_lS7_lS5_lT8_i.num_vgpr, 242
	.set _ZL26rocblas_hemvn_kernel_upperILb0ELi64ELi4ELi33ELi32ELi16Ei19rocblas_complex_numIdEPKS1_PS1_EviT6_lT7_lT5_lS6_lS7_lS5_lT8_i.num_agpr, 0
	.set _ZL26rocblas_hemvn_kernel_upperILb0ELi64ELi4ELi33ELi32ELi16Ei19rocblas_complex_numIdEPKS1_PS1_EviT6_lT7_lT5_lS6_lS7_lS5_lT8_i.numbered_sgpr, 40
	.set _ZL26rocblas_hemvn_kernel_upperILb0ELi64ELi4ELi33ELi32ELi16Ei19rocblas_complex_numIdEPKS1_PS1_EviT6_lT7_lT5_lS6_lS7_lS5_lT8_i.num_named_barrier, 0
	.set _ZL26rocblas_hemvn_kernel_upperILb0ELi64ELi4ELi33ELi32ELi16Ei19rocblas_complex_numIdEPKS1_PS1_EviT6_lT7_lT5_lS6_lS7_lS5_lT8_i.private_seg_size, 0
	.set _ZL26rocblas_hemvn_kernel_upperILb0ELi64ELi4ELi33ELi32ELi16Ei19rocblas_complex_numIdEPKS1_PS1_EviT6_lT7_lT5_lS6_lS7_lS5_lT8_i.uses_vcc, 1
	.set _ZL26rocblas_hemvn_kernel_upperILb0ELi64ELi4ELi33ELi32ELi16Ei19rocblas_complex_numIdEPKS1_PS1_EviT6_lT7_lT5_lS6_lS7_lS5_lT8_i.uses_flat_scratch, 0
	.set _ZL26rocblas_hemvn_kernel_upperILb0ELi64ELi4ELi33ELi32ELi16Ei19rocblas_complex_numIdEPKS1_PS1_EviT6_lT7_lT5_lS6_lS7_lS5_lT8_i.has_dyn_sized_stack, 0
	.set _ZL26rocblas_hemvn_kernel_upperILb0ELi64ELi4ELi33ELi32ELi16Ei19rocblas_complex_numIdEPKS1_PS1_EviT6_lT7_lT5_lS6_lS7_lS5_lT8_i.has_recursion, 0
	.set _ZL26rocblas_hemvn_kernel_upperILb0ELi64ELi4ELi33ELi32ELi16Ei19rocblas_complex_numIdEPKS1_PS1_EviT6_lT7_lT5_lS6_lS7_lS5_lT8_i.has_indirect_call, 0
	.section	.AMDGPU.csdata,"",@progbits
; Kernel info:
; codeLenInByte = 10232
; TotalNumSgprs: 46
; NumVgprs: 242
; NumAgprs: 0
; TotalNumVgprs: 242
; ScratchSize: 0
; MemoryBound: 1
; FloatMode: 240
; IeeeMode: 1
; LDSByteSize: 19200 bytes/workgroup (compile time only)
; SGPRBlocks: 5
; VGPRBlocks: 30
; NumSGPRsForWavesPerEU: 46
; NumVGPRsForWavesPerEU: 242
; AccumOffset: 244
; Occupancy: 2
; WaveLimiterHint : 1
; COMPUTE_PGM_RSRC2:SCRATCH_EN: 0
; COMPUTE_PGM_RSRC2:USER_SGPR: 2
; COMPUTE_PGM_RSRC2:TRAP_HANDLER: 0
; COMPUTE_PGM_RSRC2:TGID_X_EN: 1
; COMPUTE_PGM_RSRC2:TGID_Y_EN: 0
; COMPUTE_PGM_RSRC2:TGID_Z_EN: 1
; COMPUTE_PGM_RSRC2:TIDIG_COMP_CNT: 1
; COMPUTE_PGM_RSRC3_GFX90A:ACCUM_OFFSET: 60
; COMPUTE_PGM_RSRC3_GFX90A:TG_SPLIT: 0
	.section	.text._ZL26rocblas_hemvn_kernel_lowerILb0ELi64ELi4ELi33ELi32ELi16ElPK19rocblas_complex_numIdES3_PS1_EviT6_lT7_lT5_lS6_lS7_lS5_lT8_i,"axG",@progbits,_ZL26rocblas_hemvn_kernel_lowerILb0ELi64ELi4ELi33ELi32ELi16ElPK19rocblas_complex_numIdES3_PS1_EviT6_lT7_lT5_lS6_lS7_lS5_lT8_i,comdat
	.globl	_ZL26rocblas_hemvn_kernel_lowerILb0ELi64ELi4ELi33ELi32ELi16ElPK19rocblas_complex_numIdES3_PS1_EviT6_lT7_lT5_lS6_lS7_lS5_lT8_i ; -- Begin function _ZL26rocblas_hemvn_kernel_lowerILb0ELi64ELi4ELi33ELi32ELi16ElPK19rocblas_complex_numIdES3_PS1_EviT6_lT7_lT5_lS6_lS7_lS5_lT8_i
	.p2align	8
	.type	_ZL26rocblas_hemvn_kernel_lowerILb0ELi64ELi4ELi33ELi32ELi16ElPK19rocblas_complex_numIdES3_PS1_EviT6_lT7_lT5_lS6_lS7_lS5_lT8_i,@function
_ZL26rocblas_hemvn_kernel_lowerILb0ELi64ELi4ELi33ELi32ELi16ElPK19rocblas_complex_numIdES3_PS1_EviT6_lT7_lT5_lS6_lS7_lS5_lT8_i: ; @_ZL26rocblas_hemvn_kernel_lowerILb0ELi64ELi4ELi33ELi32ELi16ElPK19rocblas_complex_numIdES3_PS1_EviT6_lT7_lT5_lS6_lS7_lS5_lT8_i
; %bb.0:
	s_load_dwordx2 s[6:7], s[0:1], 0x84
	s_add_u32 s4, s0, 0x78
	s_addc_u32 s5, s1, 0
	s_waitcnt lgkmcnt(0)
	s_lshr_b32 s8, s6, 16
	s_and_b32 s6, s6, 0xffff
	s_and_b32 s7, s7, 0xffff
	s_mul_i32 s6, s8, s6
	s_mul_i32 s6, s6, s7
	s_cmpk_lg_i32 s6, 0x100
	s_cbranch_scc1 .LBB126_105
; %bb.1:
	s_load_dwordx16 s[16:31], s[0:1], 0x8
	s_waitcnt lgkmcnt(0)
	s_mul_i32 s7, s19, s3
	s_mul_hi_u32 s8, s18, s3
	s_mul_i32 s6, s18, s3
	s_add_i32 s7, s8, s7
	s_lshl_b64 s[6:7], s[6:7], 4
	s_add_u32 s6, s16, s6
	s_addc_u32 s7, s17, s7
	s_load_dwordx4 s[8:11], s[6:7], 0x0
	s_load_dwordx2 s[34:35], s[0:1], 0x68
	s_load_dwordx8 s[36:43], s[0:1], 0x48
	s_waitcnt lgkmcnt(0)
	v_cmp_neq_f64_e64 s[6:7], s[8:9], 0
	v_cmp_neq_f64_e64 s[8:9], s[10:11], 0
	s_or_b64 s[6:7], s[6:7], s[8:9]
	s_mov_b64 s[8:9], -1
	s_and_b64 vcc, exec, s[6:7]
	s_cbranch_vccnz .LBB126_3
; %bb.2:
	s_mul_i32 s8, s43, s3
	s_mul_hi_u32 s9, s42, s3
	s_add_i32 s9, s9, s8
	s_mul_i32 s8, s42, s3
	s_lshl_b64 s[8:9], s[8:9], 4
	s_add_u32 s12, s40, s8
	s_addc_u32 s13, s41, s9
	s_load_dwordx4 s[8:11], s[12:13], 0x0
	s_waitcnt lgkmcnt(0)
	v_cmp_neq_f64_e64 s[8:9], s[8:9], 1.0
	v_cmp_neq_f64_e64 s[10:11], s[10:11], 0
	s_or_b64 s[8:9], s[8:9], s[10:11]
.LBB126_3:
	s_andn2_b64 vcc, exec, s[8:9]
	s_cbranch_vccnz .LBB126_105
; %bb.4:
	s_andn2_b64 vcc, exec, s[6:7]
	s_cbranch_vccnz .LBB126_105
; %bb.5:
	s_load_dword s40, s[4:5], 0x0
	s_load_dword s33, s[0:1], 0x0
	s_mul_i32 s0, s39, s3
	s_mul_hi_u32 s1, s38, s3
	s_add_i32 s1, s1, s0
	s_mul_i32 s0, s38, s3
	s_lshl_b64 s[0:1], s[0:1], 4
	s_add_u32 s4, s28, s0
	s_addc_u32 s5, s29, s1
	s_lshl_b64 s[0:1], s[30:31], 4
	s_add_u32 s0, s4, s0
	s_addc_u32 s1, s5, s1
	s_waitcnt lgkmcnt(0)
	s_ashr_i32 s38, s33, 31
	s_lshr_b32 s5, s38, 26
	s_add_i32 s5, s33, s5
	v_and_b32_e32 v159, 0x3ff, v0
	s_lshl_b32 s30, s2, 6
	s_andn2_b32 s5, s5, 63
	s_add_i32 s4, s40, -1
	s_sub_i32 s5, s33, s5
	v_add_u32_e32 v148, s30, v159
	s_cmp_eq_u32 s2, s4
	v_ashrrev_i32_e32 v149, 31, v148
	v_bfe_u32 v158, v0, 10, 10
	s_cselect_b32 s28, s5, 0
	v_mul_lo_u32 v2, s36, v149
	v_mul_lo_u32 v3, s37, v148
	v_mad_u64_u32 v[0:1], s[4:5], s36, v148, 0
	v_add3_u32 v1, v1, v2, v3
	v_lshl_add_u64 v[36:37], v[0:1], 4, s[0:1]
	v_cmp_ne_u32_e64 s[0:1], 0, v158
	v_cmp_eq_u32_e64 s[16:17], 0, v158
	s_and_saveexec_b64 s[4:5], s[16:17]
	s_cbranch_execz .LBB126_10
; %bb.6:
	s_cmp_lg_u32 s28, 0
	s_cselect_b64 s[6:7], -1, 0
	v_cmp_le_i32_e32 vcc, s28, v159
	v_mov_b32_e32 v0, 0x4700
	s_and_b64 s[6:7], s[6:7], vcc
	v_lshl_add_u32 v0, v159, 4, v0
	s_and_saveexec_b64 s[8:9], s[6:7]
	s_xor_b64 s[6:7], exec, s[8:9]
; %bb.7:
	v_mov_b32_e32 v2, 0
	v_mov_b32_e32 v3, v2
	;; [unrolled: 1-line block ×4, first 2 shown]
	ds_write_b128 v0, v[2:5]
                                        ; implicit-def: $vgpr0
; %bb.8:
	s_andn2_saveexec_b64 s[6:7], s[6:7]
	s_cbranch_execz .LBB126_10
; %bb.9:
	global_load_dwordx4 v[2:5], v[36:37], off
	s_waitcnt vmcnt(0)
	ds_write2_b64 v0, v[2:3], v[4:5] offset1:1
.LBB126_10:
	s_or_b64 exec, exec, s[4:5]
	s_mul_i32 s4, s27, s3
	s_mul_hi_u32 s5, s26, s3
	s_add_i32 s5, s5, s4
	s_mul_i32 s4, s26, s3
	s_lshl_b64 s[4:5], s[4:5], 4
	s_add_u32 s6, s20, s4
	s_addc_u32 s7, s21, s5
	s_lshl_b64 s[4:5], s[22:23], 4
	s_add_u32 s6, s6, s4
	s_addc_u32 s7, s7, s5
	s_ashr_i32 s31, s30, 31
	v_lshl_add_u32 v42, v158, 6, v159
	s_lshl_b64 s[4:5], s[30:31], 4
	v_and_b32_e32 v4, 31, v159
	v_lshrrev_b32_e32 v12, 5, v42
	s_add_u32 s4, s6, s4
	v_mov_b32_e32 v5, 0
	s_addc_u32 s5, s7, s5
	v_mad_u64_u32 v[38:39], s[6:7], s24, v12, v[4:5]
	v_mov_b32_e32 v0, v39
	v_mad_u64_u32 v[0:1], s[6:7], s25, v12, v[0:1]
	v_mov_b32_e32 v39, v0
	v_lshl_add_u64 v[0:1], v[38:39], 4, s[4:5]
	s_mul_hi_u32 s4, s24, s30
	s_mul_i32 s5, s24, s31
	s_add_i32 s4, s4, s5
	s_mul_i32 s5, s25, s30
	s_add_i32 s21, s4, s5
	s_cmp_lg_u32 s28, 0
	s_mul_i32 s20, s24, s30
	s_cselect_b64 s[22:23], -1, 0
	s_cmp_eq_u32 s28, 0
	v_lshl_add_u64 v[6:7], s[20:21], 4, v[0:1]
	s_cselect_b64 s[18:19], -1, 0
	s_mov_b64 s[4:5], -1
	s_and_b64 vcc, exec, s[22:23]
	s_cbranch_vccnz .LBB126_12
; %bb.11:
	s_lshl_b64 s[4:5], s[24:25], 7
	v_lshl_add_u64 v[18:19], v[6:7], 0, s[4:5]
	global_load_dwordx4 v[0:3], v[6:7], off
	v_lshl_add_u64 v[20:21], v[18:19], 0, s[4:5]
	global_load_dwordx4 v[8:11], v[18:19], off
	global_load_dwordx4 v[14:17], v[20:21], off
	v_lshl_add_u64 v[18:19], v[20:21], 0, s[4:5]
	global_load_dwordx4 v[18:21], v[18:19], off
	v_mul_u32_u24_e32 v5, 0x210, v12
	v_lshl_add_u32 v5, v4, 4, v5
	s_mov_b64 s[4:5], 0
	v_add_u32_e32 v13, 0x1080, v5
	v_add_u32_e32 v22, 0x2100, v5
	;; [unrolled: 1-line block ×3, first 2 shown]
	s_waitcnt vmcnt(3)
	ds_write2_b64 v5, v[0:1], v[2:3] offset1:1
	s_waitcnt vmcnt(2)
	ds_write2_b64 v13, v[8:9], v[10:11] offset1:1
	;; [unrolled: 2-line block ×4, first 2 shown]
.LBB126_12:
	s_andn2_b64 vcc, exec, s[4:5]
	v_lshlrev_b32_e32 v13, 4, v4
	s_cbranch_vccnz .LBB126_30
; %bb.13:
	v_lshlrev_b32_e32 v0, 4, v4
	v_sub_co_u32_e32 v2, vcc, v6, v0
	s_ashr_i32 s29, s28, 31
	s_nop 0
	v_subbrev_co_u32_e32 v3, vcc, 0, v7, vcc
	v_lshl_add_u64 v[2:3], s[28:29], 4, v[2:3]
	v_lshl_add_u64 v[2:3], v[2:3], 0, -16
	v_cmp_gt_i32_e32 vcc, s28, v4
	s_movk_i32 s6, 0x210
	v_cmp_le_i32_e64 s[4:5], s28, v12
	v_cndmask_b32_e32 v3, v3, v7, vcc
	v_cndmask_b32_e32 v2, v2, v6, vcc
	v_mad_u32_u24 v1, v12, s6, v13
	s_and_saveexec_b64 s[6:7], s[4:5]
	s_xor_b64 s[4:5], exec, s[6:7]
; %bb.14:
	v_mov_b32_e32 v8, 0
	v_mov_b32_e32 v9, v8
	;; [unrolled: 1-line block ×4, first 2 shown]
	ds_write_b128 v1, v[8:11]
                                        ; implicit-def: $vgpr1
; %bb.15:
	s_andn2_saveexec_b64 s[4:5], s[4:5]
	s_cbranch_execz .LBB126_17
; %bb.16:
	global_load_dwordx4 v[8:11], v[2:3], off
	s_waitcnt vmcnt(0)
	ds_write2_b64 v1, v[8:9], v[10:11] offset1:1
.LBB126_17:
	s_or_b64 exec, exec, s[4:5]
	v_add_u32_e32 v5, 8, v12
	v_mul_u32_u24_e32 v1, 0x210, v12
	v_cmp_le_i32_e64 s[4:5], s28, v5
	s_and_saveexec_b64 s[6:7], s[4:5]
	s_xor_b64 s[4:5], exec, s[6:7]
	s_cbranch_execz .LBB126_19
; %bb.18:
	v_mov_b32_e32 v8, 0
	v_add_u32_e32 v5, v1, v13
	v_mov_b32_e32 v9, v8
	v_mov_b32_e32 v10, v8
	v_mov_b32_e32 v11, v8
	ds_write_b128 v5, v[8:11] offset:4224
.LBB126_19:
	s_andn2_saveexec_b64 s[4:5], s[4:5]
	s_cbranch_execz .LBB126_21
; %bb.20:
	s_lshl_b64 s[6:7], s[24:25], 7
	v_lshl_add_u64 v[8:9], v[2:3], 0, s[6:7]
	global_load_dwordx4 v[8:11], v[8:9], off
	s_movk_i32 s6, 0x1080
	v_add3_u32 v5, v1, v13, s6
	s_waitcnt vmcnt(0)
	ds_write2_b64 v5, v[8:9], v[10:11] offset1:1
.LBB126_21:
	s_or_b64 exec, exec, s[4:5]
	v_add_u32_e32 v5, 16, v12
	v_cmp_le_i32_e64 s[4:5], s28, v5
	s_and_saveexec_b64 s[6:7], s[4:5]
	s_xor_b64 s[4:5], exec, s[6:7]
	s_cbranch_execz .LBB126_23
; %bb.22:
	v_mov_b32_e32 v8, 0
	v_add_u32_e32 v5, v1, v13
	v_mov_b32_e32 v9, v8
	v_mov_b32_e32 v10, v8
	v_mov_b32_e32 v11, v8
	ds_write_b128 v5, v[8:11] offset:8448
.LBB126_23:
	s_andn2_saveexec_b64 s[4:5], s[4:5]
	s_cbranch_execz .LBB126_25
; %bb.24:
	s_lshl_b64 s[6:7], s[24:25], 8
	v_lshl_add_u64 v[8:9], v[2:3], 0, s[6:7]
	global_load_dwordx4 v[8:11], v[8:9], off
	s_movk_i32 s6, 0x2100
	v_add3_u32 v5, v1, v13, s6
	s_waitcnt vmcnt(0)
	ds_write2_b64 v5, v[8:9], v[10:11] offset1:1
.LBB126_25:
	s_or_b64 exec, exec, s[4:5]
	v_add_u32_e32 v5, 24, v12
	v_cmp_le_i32_e64 s[4:5], s28, v5
	s_and_saveexec_b64 s[6:7], s[4:5]
	s_xor_b64 s[4:5], exec, s[6:7]
	s_cbranch_execz .LBB126_27
; %bb.26:
	v_mov_b32_e32 v8, 0
	v_add_u32_e32 v1, v1, v13
	v_mov_b32_e32 v9, v8
	v_mov_b32_e32 v10, v8
	;; [unrolled: 1-line block ×3, first 2 shown]
	ds_write_b128 v1, v[8:11] offset:12672
                                        ; implicit-def: $vgpr1
.LBB126_27:
	s_andn2_saveexec_b64 s[4:5], s[4:5]
	s_cbranch_execz .LBB126_29
; %bb.28:
	v_mov_b32_e32 v5, 0x180
	v_mad_u64_u32 v[8:9], s[6:7], s24, v5, v[2:3]
	s_mul_i32 s6, s25, 0x180
	s_nop 0
	v_add_u32_e32 v9, s6, v9
	global_load_dwordx4 v[8:11], v[8:9], off
	s_movk_i32 s6, 0x3180
	v_add3_u32 v1, v1, v13, s6
	s_waitcnt vmcnt(0)
	ds_write2_b64 v1, v[8:9], v[10:11] offset1:1
.LBB126_29:
	s_or_b64 exec, exec, s[4:5]
	v_mov_b32_e32 v1, 0
	v_lshl_add_u64 v[0:1], v[2:3], 0, v[0:1]
	s_lshl_b64 s[4:5], s[28:29], 4
	v_mov_b32_e32 v2, s5
	v_subrev_co_u32_e64 v0, s[4:5], s4, v0
	s_nop 1
	v_subb_co_u32_e64 v1, s[4:5], v1, v2, s[4:5]
	v_lshl_add_u64 v[0:1], v[0:1], 0, 16
	v_cndmask_b32_e32 v7, v1, v7, vcc
	v_cndmask_b32_e32 v6, v0, v6, vcc
.LBB126_30:
	v_lshlrev_b32_e32 v14, 2, v12
	v_lshl_or_b32 v1, v4, 9, v13
	v_cmp_lt_u32_e64 s[6:7], v14, v4
	s_waitcnt lgkmcnt(0)
	s_barrier
	s_and_saveexec_b64 s[4:5], s[6:7]
	s_cbranch_execz .LBB126_32
; %bb.31:
	s_movk_i32 s8, 0x840
	v_mad_u32_u24 v0, v12, s8, v13
	ds_read_b128 v[8:11], v0
	v_lshl_add_u32 v0, v14, 4, v1
	s_waitcnt lgkmcnt(0)
	ds_write_b128 v0, v[8:11]
.LBB126_32:
	s_or_b64 exec, exec, s[4:5]
	v_or_b32_e32 v0, 1, v14
	v_cmp_lt_u32_e64 s[8:9], v0, v4
	s_and_saveexec_b64 s[4:5], s[8:9]
	s_cbranch_execz .LBB126_34
; %bb.33:
	s_movk_i32 s10, 0x210
	v_mad_u32_u24 v2, v0, s10, v13
	ds_read_b128 v[8:11], v2
	v_lshl_add_u32 v2, v14, 4, v1
	s_waitcnt lgkmcnt(0)
	ds_write_b128 v2, v[8:11] offset:16
.LBB126_34:
	s_or_b64 exec, exec, s[4:5]
	v_or_b32_e32 v2, 2, v14
	v_cmp_lt_u32_e64 s[10:11], v2, v4
	s_and_saveexec_b64 s[4:5], s[10:11]
	s_cbranch_execz .LBB126_36
; %bb.35:
	s_movk_i32 s12, 0x210
	v_mad_u32_u24 v2, v2, s12, v13
	ds_read_b128 v[8:11], v2
	v_lshl_add_u32 v2, v14, 4, v1
	s_waitcnt lgkmcnt(0)
	ds_write_b128 v2, v[8:11] offset:32
.LBB126_36:
	s_or_b64 exec, exec, s[4:5]
	v_or_b32_e32 v3, 3, v14
	v_cmp_lt_u32_e64 s[12:13], v3, v4
	v_cmp_ge_u32_e32 vcc, v3, v4
                                        ; implicit-def: $vgpr2
	s_and_saveexec_b64 s[4:5], vcc
	s_xor_b64 s[4:5], exec, s[4:5]
; %bb.37:
	v_mul_u32_u24_e32 v2, 0x210, v3
                                        ; implicit-def: $vgpr1
                                        ; implicit-def: $vgpr3
; %bb.38:
	s_andn2_saveexec_b64 s[4:5], s[4:5]
	s_cbranch_execz .LBB126_40
; %bb.39:
	s_movk_i32 s14, 0x210
	v_mad_u32_u24 v2, v3, s14, v13
	ds_read_b128 v[8:11], v2
	v_lshl_add_u32 v1, v14, 4, v1
	v_mul_u32_u24_e32 v2, 0x210, v3
	s_waitcnt lgkmcnt(0)
	ds_write_b128 v1, v[8:11] offset:48
.LBB126_40:
	s_or_b64 exec, exec, s[4:5]
	s_movk_i32 s4, 0x840
	v_lshlrev_b32_e32 v18, 4, v14
	s_movk_i32 s26, 0x210
	s_waitcnt lgkmcnt(0)
	s_barrier
	v_mad_u32_u24 v5, v12, s4, v13
	ds_read_b128 v[8:11], v18 offset:18176
	ds_read_b128 v[20:23], v18 offset:18192
	ds_read_b128 v[24:27], v5
	ds_read_b128 v[28:31], v18 offset:18208
	ds_read_b128 v[32:35], v18 offset:18224
	v_mad_u32_u24 v16, v0, s26, v13
	ds_read_b128 v[44:47], v16
	s_waitcnt lgkmcnt(3)
	v_mul_f64 v[0:1], v[10:11], v[26:27]
	v_fma_f64 v[40:41], v[8:9], v[24:25], -v[0:1]
	v_mul_f64 v[8:9], v[8:9], v[26:27]
	v_fmac_f64_e32 v[8:9], v[10:11], v[24:25]
	v_add_f64 v[26:27], v[8:9], 0
	s_waitcnt lgkmcnt(0)
	v_mul_f64 v[8:9], v[22:23], v[46:47]
	v_add_f64 v[24:25], v[40:41], 0
	v_fma_f64 v[40:41], v[20:21], v[44:45], -v[8:9]
	v_mul_f64 v[20:21], v[20:21], v[46:47]
	v_fmac_f64_e32 v[20:21], v[22:23], v[44:45]
	ds_read_b128 v[8:11], v16 offset:528
	v_add_u32_e32 v17, v13, v2
	v_add_f64 v[26:27], v[26:27], v[20:21]
	ds_read_b128 v[20:23], v17
	v_add_f64 v[24:25], v[24:25], v[40:41]
	s_waitcnt lgkmcnt(1)
	v_mul_f64 v[2:3], v[30:31], v[10:11]
	v_mul_f64 v[10:11], v[28:29], v[10:11]
	v_fma_f64 v[2:3], v[28:29], v[8:9], -v[2:3]
	v_fmac_f64_e32 v[10:11], v[30:31], v[8:9]
	s_waitcnt lgkmcnt(0)
	v_mul_f64 v[8:9], v[34:35], v[22:23]
	v_add_f64 v[2:3], v[24:25], v[2:3]
	v_fma_f64 v[8:9], v[32:33], v[20:21], -v[8:9]
	v_mul_f64 v[22:23], v[32:33], v[22:23]
	v_add_f64 v[8:9], v[2:3], v[8:9]
	v_mul_u32_u24_e32 v2, 33, v4
	v_add_f64 v[10:11], v[26:27], v[10:11]
	v_fmac_f64_e32 v[22:23], v[34:35], v[20:21]
	v_lshlrev_b32_e32 v43, 4, v2
	v_mov_b64_e32 v[0:1], 0
	v_add_f64 v[10:11], v[10:11], v[22:23]
	v_lshl_add_u32 v44, v12, 4, v43
	v_cmp_gt_u32_e64 s[4:5], 32, v42
	v_mov_b64_e32 v[2:3], 0
	s_barrier
	ds_write_b128 v44, v[8:11]
	s_waitcnt lgkmcnt(0)
	s_barrier
	s_and_saveexec_b64 s[14:15], s[4:5]
	s_cbranch_execz .LBB126_42
; %bb.41:
	ds_read_b128 v[0:3], v43
	ds_read_b128 v[8:11], v43 offset:16
	ds_read_b128 v[20:23], v43 offset:32
	;; [unrolled: 1-line block ×3, first 2 shown]
	s_waitcnt lgkmcnt(2)
	v_add_f64 v[0:1], v[8:9], v[0:1]
	v_add_f64 v[8:9], v[10:11], v[2:3]
	s_waitcnt lgkmcnt(1)
	v_add_f64 v[10:11], v[0:1], v[20:21]
	ds_read_b128 v[0:3], v43 offset:64
	v_add_f64 v[8:9], v[8:9], v[22:23]
	s_waitcnt lgkmcnt(1)
	v_add_f64 v[20:21], v[10:11], v[24:25]
	v_add_f64 v[24:25], v[8:9], v[26:27]
	ds_read_b128 v[8:11], v43 offset:80
	s_waitcnt lgkmcnt(1)
	v_add_f64 v[26:27], v[20:21], v[0:1]
	ds_read_b128 v[20:23], v43 offset:96
	v_add_f64 v[24:25], v[24:25], v[2:3]
	ds_read_b128 v[0:3], v43 offset:112
	s_waitcnt lgkmcnt(2)
	v_add_f64 v[8:9], v[26:27], v[8:9]
	v_add_f64 v[10:11], v[24:25], v[10:11]
	s_waitcnt lgkmcnt(1)
	v_add_f64 v[8:9], v[8:9], v[20:21]
	v_add_f64 v[10:11], v[10:11], v[22:23]
	;; [unrolled: 3-line block ×3, first 2 shown]
.LBB126_42:
	s_or_b64 exec, exec, s[14:15]
	s_lshl_b64 s[14:15], s[24:25], 9
	v_lshl_add_u64 v[10:11], v[6:7], 0, s[14:15]
	s_mov_b64 s[14:15], 0x200
	v_cndmask_b32_e64 v8, 0, 1, s[18:19]
	v_lshl_add_u64 v[6:7], v[10:11], 0, s[14:15]
	v_mad_u32_u24 v15, v12, s26, v13
	v_cmp_ne_u32_e64 s[14:15], 1, v8
	s_andn2_b64 vcc, exec, s[18:19]
	s_mov_b64 s[18:19], -1
	s_barrier
	s_cbranch_vccnz .LBB126_44
; %bb.43:
	s_lshl_b64 s[18:19], s[24:25], 7
	v_lshl_add_u64 v[8:9], v[10:11], 0, s[18:19]
	global_load_dwordx4 v[20:23], v[6:7], off
	v_lshl_add_u64 v[32:33], v[8:9], 0, s[18:19]
	global_load_dwordx4 v[24:27], v[8:9], off offset:512
	global_load_dwordx4 v[28:31], v[32:33], off offset:512
	v_lshl_add_u64 v[8:9], v[32:33], 0, s[18:19]
	global_load_dwordx4 v[32:35], v[8:9], off offset:512
	s_mov_b64 s[18:19], 0
	v_add_u32_e32 v8, 0x1080, v15
	v_add_u32_e32 v9, 0x2100, v15
	;; [unrolled: 1-line block ×3, first 2 shown]
	s_waitcnt vmcnt(3)
	ds_write2_b64 v15, v[20:21], v[22:23] offset1:1
	s_waitcnt vmcnt(2)
	ds_write2_b64 v8, v[24:25], v[26:27] offset1:1
	s_waitcnt vmcnt(1)
	ds_write2_b64 v9, v[28:29], v[30:31] offset1:1
	s_waitcnt vmcnt(0)
	ds_write2_b64 v19, v[32:33], v[34:35] offset1:1
.LBB126_44:
	s_andn2_b64 vcc, exec, s[18:19]
	s_cbranch_vccnz .LBB126_62
; %bb.45:
	v_lshlrev_b32_e32 v8, 4, v4
	v_sub_co_u32_e32 v10, vcc, v10, v8
	s_ashr_i32 s29, s28, 31
	s_nop 0
	v_subbrev_co_u32_e32 v11, vcc, 0, v11, vcc
	v_or_b32_e32 v9, 32, v4
	v_lshl_add_u64 v[10:11], s[28:29], 4, v[10:11]
	v_lshl_add_u64 v[10:11], v[10:11], 0, -16
	v_cmp_gt_i32_e32 vcc, s28, v9
	s_sub_i32 s26, s28, 32
	v_cmp_le_i32_e64 s[18:19], s26, v12
	v_cndmask_b32_e32 v11, v11, v7, vcc
	v_cndmask_b32_e32 v10, v10, v6, vcc
	s_and_saveexec_b64 s[42:43], s[18:19]
	s_xor_b64 s[18:19], exec, s[42:43]
; %bb.46:
	v_mov_b32_e32 v20, 0
	v_mov_b32_e32 v21, v20
	;; [unrolled: 1-line block ×4, first 2 shown]
	ds_write_b128 v15, v[20:23]
; %bb.47:
	s_andn2_saveexec_b64 s[18:19], s[18:19]
	s_cbranch_execz .LBB126_49
; %bb.48:
	global_load_dwordx4 v[20:23], v[10:11], off
	s_waitcnt vmcnt(0)
	ds_write2_b64 v15, v[20:21], v[22:23] offset1:1
.LBB126_49:
	s_or_b64 exec, exec, s[18:19]
	v_add_u32_e32 v19, 8, v12
	v_mul_u32_u24_e32 v9, 0x210, v12
	v_cmp_le_i32_e64 s[18:19], s26, v19
	s_and_saveexec_b64 s[42:43], s[18:19]
	s_xor_b64 s[18:19], exec, s[42:43]
	s_cbranch_execz .LBB126_51
; %bb.50:
	v_mov_b32_e32 v20, 0
	v_add_u32_e32 v19, v9, v13
	v_mov_b32_e32 v21, v20
	v_mov_b32_e32 v22, v20
	;; [unrolled: 1-line block ×3, first 2 shown]
	ds_write_b128 v19, v[20:23] offset:4224
.LBB126_51:
	s_andn2_saveexec_b64 s[18:19], s[18:19]
	s_cbranch_execz .LBB126_53
; %bb.52:
	s_lshl_b64 s[42:43], s[24:25], 7
	v_lshl_add_u64 v[20:21], v[10:11], 0, s[42:43]
	global_load_dwordx4 v[20:23], v[20:21], off
	s_movk_i32 s27, 0x1080
	v_add3_u32 v19, v9, v13, s27
	s_waitcnt vmcnt(0)
	ds_write2_b64 v19, v[20:21], v[22:23] offset1:1
.LBB126_53:
	s_or_b64 exec, exec, s[18:19]
	v_add_u32_e32 v19, 16, v12
	v_cmp_le_i32_e64 s[18:19], s26, v19
	s_and_saveexec_b64 s[42:43], s[18:19]
	s_xor_b64 s[18:19], exec, s[42:43]
	s_cbranch_execz .LBB126_55
; %bb.54:
	v_mov_b32_e32 v20, 0
	v_add_u32_e32 v19, v9, v13
	v_mov_b32_e32 v21, v20
	v_mov_b32_e32 v22, v20
	;; [unrolled: 1-line block ×3, first 2 shown]
	ds_write_b128 v19, v[20:23] offset:8448
.LBB126_55:
	s_andn2_saveexec_b64 s[18:19], s[18:19]
	s_cbranch_execz .LBB126_57
; %bb.56:
	s_lshl_b64 s[42:43], s[24:25], 8
	v_lshl_add_u64 v[20:21], v[10:11], 0, s[42:43]
	global_load_dwordx4 v[20:23], v[20:21], off
	s_movk_i32 s27, 0x2100
	v_add3_u32 v19, v9, v13, s27
	s_waitcnt vmcnt(0)
	ds_write2_b64 v19, v[20:21], v[22:23] offset1:1
.LBB126_57:
	s_or_b64 exec, exec, s[18:19]
	v_add_u32_e32 v19, 24, v12
	v_cmp_le_i32_e64 s[18:19], s26, v19
	s_and_saveexec_b64 s[26:27], s[18:19]
	s_xor_b64 s[18:19], exec, s[26:27]
	s_cbranch_execz .LBB126_59
; %bb.58:
	v_mov_b32_e32 v20, 0
	v_add_u32_e32 v9, v9, v13
	v_mov_b32_e32 v21, v20
	v_mov_b32_e32 v22, v20
	;; [unrolled: 1-line block ×3, first 2 shown]
	ds_write_b128 v9, v[20:23] offset:12672
                                        ; implicit-def: $vgpr9
.LBB126_59:
	s_andn2_saveexec_b64 s[18:19], s[18:19]
	s_cbranch_execz .LBB126_61
; %bb.60:
	v_mov_b32_e32 v19, 0x180
	v_mad_u64_u32 v[20:21], s[26:27], s24, v19, v[10:11]
	s_mul_i32 s26, s25, 0x180
	s_nop 0
	v_add_u32_e32 v21, s26, v21
	global_load_dwordx4 v[20:23], v[20:21], off
	s_movk_i32 s26, 0x3180
	v_add3_u32 v9, v9, v13, s26
	s_waitcnt vmcnt(0)
	ds_write2_b64 v9, v[20:21], v[22:23] offset1:1
.LBB126_61:
	s_or_b64 exec, exec, s[18:19]
	v_mov_b32_e32 v9, 0
	v_lshl_add_u64 v[8:9], v[10:11], 0, v[8:9]
	s_lshl_b64 s[18:19], s[28:29], 4
	v_mov_b32_e32 v10, s19
	v_subrev_co_u32_e64 v8, s[18:19], s18, v8
	s_nop 1
	v_subb_co_u32_e64 v9, s[18:19], v9, v10, s[18:19]
	s_mov_b64 s[18:19], 0x210
	s_nop 0
	v_lshl_add_u64 v[8:9], v[8:9], 0, s[18:19]
	v_cndmask_b32_e32 v7, v9, v7, vcc
	v_cndmask_b32_e32 v6, v8, v6, vcc
.LBB126_62:
	v_add_u32_e32 v45, 0x4700, v18
	v_add_u32_e32 v8, 0x210, v16
	s_lshl_b64 s[18:19], s[24:25], 5
	s_waitcnt lgkmcnt(0)
	s_barrier
	s_and_saveexec_b64 s[26:27], s[6:7]
	s_cbranch_execnz .LBB126_71
; %bb.63:
	s_or_b64 exec, exec, s[26:27]
	s_and_saveexec_b64 s[6:7], s[8:9]
	s_cbranch_execnz .LBB126_72
.LBB126_64:
	s_or_b64 exec, exec, s[6:7]
	s_and_saveexec_b64 s[6:7], s[10:11]
	s_cbranch_execnz .LBB126_73
.LBB126_65:
	s_or_b64 exec, exec, s[6:7]
	s_and_saveexec_b64 s[6:7], s[12:13]
	s_cbranch_execz .LBB126_67
.LBB126_66:
	ds_read_b128 v[18:21], v17
	v_lshl_add_u32 v9, v14, 4, v43
	s_waitcnt lgkmcnt(0)
	ds_write_b128 v9, v[18:21] offset:48
.LBB126_67:
	s_or_b64 exec, exec, s[6:7]
	s_waitcnt lgkmcnt(0)
	s_barrier
	ds_read_b128 v[18:21], v45 offset:512
	ds_read_b128 v[22:25], v5
	ds_read_b128 v[26:29], v45 offset:528
	ds_read_b128 v[30:33], v45 offset:544
	;; [unrolled: 1-line block ×3, first 2 shown]
	ds_read_b128 v[50:53], v16
	v_cmp_eq_u32_e64 s[6:7], 1, v12
	s_waitcnt lgkmcnt(4)
	v_mul_f64 v[10:11], v[20:21], v[24:25]
	v_fma_f64 v[10:11], v[18:19], v[22:23], -v[10:11]
	v_mul_f64 v[18:19], v[18:19], v[24:25]
	v_fmac_f64_e32 v[18:19], v[20:21], v[22:23]
	v_add_f64 v[20:21], v[10:11], 0
	s_waitcnt lgkmcnt(0)
	v_mul_f64 v[10:11], v[28:29], v[52:53]
	v_fma_f64 v[22:23], v[26:27], v[50:51], -v[10:11]
	v_mul_f64 v[24:25], v[26:27], v[52:53]
	ds_read_b128 v[8:11], v8
	v_add_f64 v[18:19], v[18:19], 0
	v_fmac_f64_e32 v[24:25], v[28:29], v[50:51]
	v_add_f64 v[20:21], v[20:21], v[22:23]
	v_add_f64 v[22:23], v[18:19], v[24:25]
	ds_read_b128 v[16:19], v17
	s_waitcnt lgkmcnt(1)
	v_mul_f64 v[24:25], v[32:33], v[10:11]
	v_fma_f64 v[24:25], v[30:31], v[8:9], -v[24:25]
	v_mul_f64 v[10:11], v[30:31], v[10:11]
	v_fmac_f64_e32 v[10:11], v[32:33], v[8:9]
	v_add_f64 v[8:9], v[20:21], v[24:25]
	s_waitcnt lgkmcnt(0)
	v_mul_f64 v[20:21], v[48:49], v[18:19]
	v_mul_f64 v[18:19], v[46:47], v[18:19]
	v_add_f64 v[10:11], v[22:23], v[10:11]
	v_fma_f64 v[20:21], v[46:47], v[16:17], -v[20:21]
	v_fmac_f64_e32 v[18:19], v[48:49], v[16:17]
	v_add_f64 v[8:9], v[8:9], v[20:21]
	v_add_f64 v[10:11], v[10:11], v[18:19]
	s_barrier
	ds_write_b128 v44, v[8:11]
	s_waitcnt lgkmcnt(0)
	s_barrier
	s_and_saveexec_b64 s[8:9], s[6:7]
	s_cbranch_execz .LBB126_69
; %bb.68:
	ds_read_b128 v[0:3], v43
	ds_read_b128 v[8:11], v43 offset:16
	ds_read_b128 v[16:19], v43 offset:32
	;; [unrolled: 1-line block ×3, first 2 shown]
	s_waitcnt lgkmcnt(2)
	v_add_f64 v[0:1], v[8:9], v[0:1]
	v_add_f64 v[8:9], v[10:11], v[2:3]
	s_waitcnt lgkmcnt(1)
	v_add_f64 v[10:11], v[0:1], v[16:17]
	ds_read_b128 v[0:3], v43 offset:64
	v_add_f64 v[8:9], v[8:9], v[18:19]
	s_waitcnt lgkmcnt(1)
	v_add_f64 v[16:17], v[10:11], v[20:21]
	v_add_f64 v[20:21], v[8:9], v[22:23]
	ds_read_b128 v[8:11], v43 offset:80
	s_waitcnt lgkmcnt(1)
	v_add_f64 v[22:23], v[16:17], v[0:1]
	ds_read_b128 v[16:19], v43 offset:96
	v_add_f64 v[20:21], v[20:21], v[2:3]
	ds_read_b128 v[0:3], v43 offset:112
	s_waitcnt lgkmcnt(2)
	v_add_f64 v[8:9], v[22:23], v[8:9]
	v_add_f64 v[10:11], v[20:21], v[10:11]
	s_waitcnt lgkmcnt(1)
	v_add_f64 v[8:9], v[8:9], v[16:17]
	v_add_f64 v[10:11], v[10:11], v[18:19]
	;; [unrolled: 3-line block ×3, first 2 shown]
.LBB126_69:
	s_or_b64 exec, exec, s[8:9]
	s_lshl_b64 s[8:9], s[18:19], 4
	v_mov_b32_e32 v5, s9
	v_subrev_co_u32_e64 v40, s[8:9], s8, v6
	s_and_b64 vcc, exec, s[14:15]
	s_nop 0
	v_subb_co_u32_e64 v41, s[8:9], v7, v5, s[8:9]
	s_barrier
	s_cbranch_vccnz .LBB126_74
; %bb.70:
	s_lshl_b64 s[8:9], s[24:25], 7
	v_lshl_add_u64 v[6:7], v[40:41], 0, s[8:9]
	global_load_dwordx4 v[16:19], v[40:41], off
	v_lshl_add_u64 v[8:9], v[6:7], 0, s[8:9]
	global_load_dwordx4 v[20:23], v[6:7], off
	global_load_dwordx4 v[24:27], v[8:9], off
	v_lshl_add_u64 v[6:7], v[8:9], 0, s[8:9]
	global_load_dwordx4 v[28:31], v[6:7], off
	v_add_u32_e32 v8, 8, v12
	s_movk_i32 s8, 0x210
	v_mov_b32_e32 v5, 0x1080
	v_mov_b32_e32 v7, 0x2100
	v_add_u32_e32 v9, 16, v12
	v_add_u32_e32 v10, 24, v12
	v_mul_u32_u24_e32 v6, 0x210, v8
	v_mad_u32_u24 v32, v8, s8, v13
	v_mad_u32_u24 v5, v8, s8, v5
	;; [unrolled: 1-line block ×3, first 2 shown]
	v_add_u32_e32 v7, v13, v5
	v_add_u32_e32 v33, v13, v11
	s_waitcnt vmcnt(3)
	ds_write2_b64 v15, v[16:17], v[18:19] offset1:1
	s_waitcnt vmcnt(2)
	ds_write2_b64 v32, v[20:21], v[22:23] offset1:1
	;; [unrolled: 2-line block ×4, first 2 shown]
	s_cbranch_execz .LBB126_75
	s_branch .LBB126_92
.LBB126_71:
	ds_read_b128 v[18:21], v5
	v_lshl_add_u32 v9, v14, 4, v43
	s_waitcnt lgkmcnt(0)
	ds_write_b128 v9, v[18:21]
	s_or_b64 exec, exec, s[26:27]
	s_and_saveexec_b64 s[6:7], s[8:9]
	s_cbranch_execz .LBB126_64
.LBB126_72:
	ds_read_b128 v[18:21], v16
	v_lshl_add_u32 v9, v14, 4, v43
	s_waitcnt lgkmcnt(0)
	ds_write_b128 v9, v[18:21] offset:16
	s_or_b64 exec, exec, s[6:7]
	s_and_saveexec_b64 s[6:7], s[10:11]
	s_cbranch_execz .LBB126_65
.LBB126_73:
	ds_read_b128 v[18:21], v8
	v_lshl_add_u32 v9, v14, 4, v43
	s_waitcnt lgkmcnt(0)
	ds_write_b128 v9, v[18:21] offset:32
	s_or_b64 exec, exec, s[6:7]
	s_and_saveexec_b64 s[6:7], s[12:13]
	s_cbranch_execnz .LBB126_66
	s_branch .LBB126_67
.LBB126_74:
                                        ; implicit-def: $vgpr8
                                        ; implicit-def: $vgpr6
                                        ; implicit-def: $vgpr9
                                        ; implicit-def: $vgpr5
                                        ; implicit-def: $vgpr10
                                        ; implicit-def: $vgpr11
.LBB126_75:
	v_or_b32_e32 v5, 32, v4
	v_lshlrev_b32_e32 v4, 4, v4
	v_sub_co_u32_e32 v6, vcc, v40, v4
	s_ashr_i32 s29, s28, 31
	s_nop 0
	v_subbrev_co_u32_e32 v7, vcc, 0, v41, vcc
	s_movk_i32 s8, 0xfdf0
	v_lshl_add_u64 v[6:7], s[28:29], 4, v[6:7]
	s_mov_b32 s9, -1
	v_lshl_add_u64 v[6:7], v[6:7], 0, s[8:9]
	v_cmp_gt_i32_e32 vcc, s28, v5
	v_cmp_le_i32_e64 s[8:9], s28, v12
	s_nop 0
	v_cndmask_b32_e32 v7, v7, v41, vcc
	v_cndmask_b32_e32 v6, v6, v40, vcc
	s_and_saveexec_b64 s[10:11], s[8:9]
	s_xor_b64 s[8:9], exec, s[10:11]
; %bb.76:
	v_mov_b32_e32 v8, 0
	v_mov_b32_e32 v9, v8
	;; [unrolled: 1-line block ×4, first 2 shown]
	ds_write_b128 v15, v[8:11]
; %bb.77:
	s_andn2_saveexec_b64 s[8:9], s[8:9]
	s_cbranch_execz .LBB126_79
; %bb.78:
	global_load_dwordx4 v[8:11], v[6:7], off
	s_waitcnt vmcnt(0)
	ds_write2_b64 v15, v[8:9], v[10:11] offset1:1
.LBB126_79:
	s_or_b64 exec, exec, s[8:9]
	v_add_u32_e32 v8, 8, v12
	v_cmp_le_i32_e64 s[8:9], s28, v8
	s_and_saveexec_b64 s[10:11], s[8:9]
	s_xor_b64 s[8:9], exec, s[10:11]
	s_cbranch_execz .LBB126_81
; %bb.80:
	s_movk_i32 s10, 0x210
	v_mov_b32_e32 v16, 0
	v_mad_u32_u24 v5, v8, s10, v13
	v_mov_b32_e32 v17, v16
	v_mov_b32_e32 v18, v16
	;; [unrolled: 1-line block ×3, first 2 shown]
	ds_write_b128 v5, v[16:19]
.LBB126_81:
	s_andn2_saveexec_b64 s[8:9], s[8:9]
	s_cbranch_execz .LBB126_83
; %bb.82:
	s_lshl_b64 s[10:11], s[24:25], 7
	v_lshl_add_u64 v[10:11], v[6:7], 0, s[10:11]
	global_load_dwordx4 v[16:19], v[10:11], off
	s_movk_i32 s10, 0x210
	v_mad_u32_u24 v5, v8, s10, v13
	s_waitcnt vmcnt(0)
	ds_write2_b64 v5, v[16:17], v[18:19] offset1:1
.LBB126_83:
	s_or_b64 exec, exec, s[8:9]
	v_add_u32_e32 v9, 16, v12
	v_cmp_le_i32_e64 s[8:9], s28, v9
	s_and_saveexec_b64 s[10:11], s[8:9]
	s_xor_b64 s[8:9], exec, s[10:11]
	s_cbranch_execz .LBB126_85
; %bb.84:
	s_movk_i32 s10, 0x210
	v_mov_b32_e32 v16, 0
	v_mad_u32_u24 v5, v9, s10, v13
	v_mov_b32_e32 v17, v16
	v_mov_b32_e32 v18, v16
	;; [unrolled: 1-line block ×3, first 2 shown]
	ds_write_b128 v5, v[16:19]
.LBB126_85:
	s_andn2_saveexec_b64 s[8:9], s[8:9]
	s_cbranch_execz .LBB126_87
; %bb.86:
	s_lshl_b64 s[10:11], s[24:25], 8
	v_lshl_add_u64 v[10:11], v[6:7], 0, s[10:11]
	global_load_dwordx4 v[16:19], v[10:11], off
	s_movk_i32 s10, 0x210
	v_mad_u32_u24 v5, v9, s10, v13
	s_waitcnt vmcnt(0)
	ds_write2_b64 v5, v[16:17], v[18:19] offset1:1
.LBB126_87:
	s_or_b64 exec, exec, s[8:9]
	v_add_u32_e32 v10, 24, v12
	v_cmp_le_i32_e64 s[8:9], s28, v10
                                        ; implicit-def: $vgpr11
	s_and_saveexec_b64 s[10:11], s[8:9]
	s_xor_b64 s[8:9], exec, s[10:11]
	s_cbranch_execz .LBB126_89
; %bb.88:
	s_movk_i32 s10, 0x210
	v_mov_b32_e32 v16, 0
	v_mul_u32_u24_e32 v11, 0x210, v10
	v_mad_u32_u24 v5, v10, s10, v13
	v_mov_b32_e32 v17, v16
	v_mov_b32_e32 v18, v16
	;; [unrolled: 1-line block ×3, first 2 shown]
	ds_write_b128 v5, v[16:19]
.LBB126_89:
	s_andn2_saveexec_b64 s[8:9], s[8:9]
	s_cbranch_execz .LBB126_91
; %bb.90:
	v_mov_b32_e32 v5, 0x180
	v_mad_u64_u32 v[16:17], s[10:11], s24, v5, v[6:7]
	s_mul_i32 s10, s25, 0x180
	s_nop 0
	v_add_u32_e32 v17, s10, v17
	global_load_dwordx4 v[16:19], v[16:17], off
	s_movk_i32 s10, 0x210
	v_mul_u32_u24_e32 v11, 0x210, v10
	v_mad_u32_u24 v5, v10, s10, v13
	s_waitcnt vmcnt(0)
	ds_write2_b64 v5, v[16:17], v[18:19] offset1:1
.LBB126_91:
	s_or_b64 exec, exec, s[8:9]
	v_mov_b32_e32 v5, 0
	v_lshl_add_u64 v[4:5], v[6:7], 0, v[4:5]
	s_lshl_b64 s[8:9], s[28:29], 4
	v_mov_b32_e32 v6, s9
	v_subrev_co_u32_e64 v4, s[8:9], s8, v4
	s_nop 1
	v_subb_co_u32_e64 v5, s[8:9], v5, v6, s[8:9]
	s_mov_b64 s[8:9], 0x210
	s_nop 0
	v_lshl_add_u64 v[4:5], v[4:5], 0, s[8:9]
	v_cndmask_b32_e32 v40, v4, v40, vcc
	s_movk_i32 s8, 0x210
	v_mov_b32_e32 v4, 0x1080
	v_cndmask_b32_e32 v41, v5, v41, vcc
	v_mul_u32_u24_e32 v6, 0x210, v8
	v_mad_u32_u24 v5, v8, s8, v4
.LBB126_92:
	v_lshlrev_b32_e32 v4, 4, v12
	s_waitcnt lgkmcnt(0)
	s_barrier
	ds_read_b128 v[20:23], v4 offset:18176
	ds_read_b128 v[24:27], v15
	v_add_u32_e32 v4, v13, v6
	v_lshlrev_b32_e32 v6, 4, v8
	ds_read_b128 v[46:49], v6 offset:18176
	ds_read_b128 v[50:53], v4
	v_add_u32_e32 v4, v13, v5
	v_lshlrev_b32_e32 v5, 4, v9
	ds_read_b128 v[54:57], v5 offset:18176
	ds_read_b128 v[58:61], v4
	v_lshlrev_b32_e32 v5, 4, v10
	s_waitcnt lgkmcnt(4)
	v_mul_f64 v[6:7], v[22:23], v[26:27]
	v_add_u32_e32 v4, v13, v11
	ds_read_b128 v[62:65], v5 offset:18176
	ds_read2_b64 v[66:69], v4 offset1:1
	v_fma_f64 v[6:7], v[20:21], v[24:25], -v[6:7]
	s_waitcnt lgkmcnt(4)
	v_mul_f64 v[16:17], v[48:49], v[52:53]
	v_add_f64 v[6:7], v[6:7], 0
	v_fma_f64 v[16:17], v[46:47], v[50:51], -v[16:17]
	v_add_f64 v[4:5], v[6:7], v[16:17]
	s_waitcnt lgkmcnt(2)
	v_mul_f64 v[6:7], v[56:57], v[60:61]
	v_fma_f64 v[6:7], v[54:55], v[58:59], -v[6:7]
	v_add_f64 v[4:5], v[4:5], v[6:7]
	s_waitcnt lgkmcnt(0)
	v_mul_f64 v[6:7], v[64:65], v[68:69]
	v_fma_f64 v[6:7], v[62:63], v[66:67], -v[6:7]
	v_add_f64 v[70:71], v[4:5], v[6:7]
	v_lshl_add_u32 v4, v14, 4, v43
	v_mul_f64 v[72:73], v[20:21], v[26:27]
	ds_read_b128 v[28:31], v4
	ds_read_b128 v[16:19], v4 offset:16
	ds_read_b128 v[8:11], v4 offset:32
	;; [unrolled: 1-line block ×3, first 2 shown]
	v_fmac_f64_e32 v[72:73], v[22:23], v[24:25]
	v_mul_f64 v[46:47], v[46:47], v[52:53]
	v_fmac_f64_e32 v[46:47], v[48:49], v[50:51]
	v_add_f64 v[48:49], v[72:73], 0
	ds_read_b128 v[32:35], v45 offset:512
	ds_read_b128 v[24:27], v45 offset:528
	;; [unrolled: 1-line block ×4, first 2 shown]
	v_add_f64 v[46:47], v[48:49], v[46:47]
	v_mul_f64 v[48:49], v[54:55], v[60:61]
	v_fmac_f64_e32 v[48:49], v[56:57], v[58:59]
	v_add_f64 v[46:47], v[46:47], v[48:49]
	v_mul_f64 v[48:49], v[62:63], v[68:69]
	v_fmac_f64_e32 v[48:49], v[64:65], v[66:67]
	v_add_f64 v[72:73], v[46:47], v[48:49]
	s_waitcnt lgkmcnt(0)
	s_barrier
	ds_write_b128 v44, v[70:73]
	s_waitcnt lgkmcnt(0)
	s_barrier
	s_and_saveexec_b64 s[8:9], s[6:7]
	s_cbranch_execz .LBB126_94
; %bb.93:
	ds_read_b128 v[46:49], v43
	ds_read_b128 v[50:53], v43 offset:16
	ds_read_b128 v[54:57], v43 offset:32
	;; [unrolled: 1-line block ×3, first 2 shown]
	s_waitcnt lgkmcnt(3)
	v_add_f64 v[0:1], v[0:1], v[46:47]
	v_add_f64 v[2:3], v[2:3], v[48:49]
	s_waitcnt lgkmcnt(2)
	v_add_f64 v[0:1], v[0:1], v[50:51]
	v_add_f64 v[46:47], v[2:3], v[52:53]
	s_waitcnt lgkmcnt(1)
	v_add_f64 v[48:49], v[0:1], v[54:55]
	ds_read_b128 v[0:3], v43 offset:64
	v_add_f64 v[46:47], v[46:47], v[56:57]
	s_waitcnt lgkmcnt(1)
	v_add_f64 v[50:51], v[48:49], v[58:59]
	v_add_f64 v[54:55], v[46:47], v[60:61]
	ds_read_b128 v[46:49], v43 offset:80
	s_waitcnt lgkmcnt(1)
	v_add_f64 v[56:57], v[50:51], v[0:1]
	ds_read_b128 v[50:53], v43 offset:96
	v_add_f64 v[54:55], v[54:55], v[2:3]
	ds_read_b128 v[0:3], v43 offset:112
	s_waitcnt lgkmcnt(2)
	v_add_f64 v[46:47], v[56:57], v[46:47]
	v_add_f64 v[48:49], v[54:55], v[48:49]
	s_waitcnt lgkmcnt(1)
	v_add_f64 v[46:47], v[46:47], v[50:51]
	v_add_f64 v[48:49], v[48:49], v[52:53]
	;; [unrolled: 3-line block ×3, first 2 shown]
.LBB126_94:
	s_or_b64 exec, exec, s[8:9]
	v_mul_f64 v[46:47], v[30:31], v[34:35]
	v_fma_f64 v[46:47], v[28:29], v[32:33], -v[46:47]
	v_mul_f64 v[28:29], v[28:29], v[34:35]
	v_fmac_f64_e32 v[28:29], v[30:31], v[32:33]
	v_mul_f64 v[32:33], v[18:19], v[26:27]
	v_fma_f64 v[32:33], v[16:17], v[24:25], -v[32:33]
	v_mul_f64 v[16:17], v[16:17], v[26:27]
	v_fmac_f64_e32 v[16:17], v[18:19], v[24:25]
	v_mul_f64 v[24:25], v[10:11], v[22:23]
	v_add_f64 v[28:29], v[28:29], 0
	v_fma_f64 v[24:25], v[8:9], v[20:21], -v[24:25]
	v_mul_f64 v[8:9], v[8:9], v[22:23]
	v_add_f64 v[30:31], v[46:47], 0
	v_add_f64 v[16:17], v[28:29], v[16:17]
	v_fmac_f64_e32 v[8:9], v[10:11], v[20:21]
	v_add_f64 v[18:19], v[30:31], v[32:33]
	v_add_f64 v[8:9], v[16:17], v[8:9]
	v_mul_f64 v[16:17], v[6:7], v[14:15]
	v_mul_f64 v[14:15], v[4:5], v[14:15]
	v_add_f64 v[10:11], v[18:19], v[24:25]
	v_fma_f64 v[16:17], v[4:5], v[12:13], -v[16:17]
	v_fmac_f64_e32 v[14:15], v[6:7], v[12:13]
	v_add_f64 v[4:5], v[10:11], v[16:17]
	v_add_f64 v[6:7], v[8:9], v[14:15]
	s_barrier
	ds_write_b128 v44, v[4:7]
	s_waitcnt lgkmcnt(0)
	s_barrier
	s_and_saveexec_b64 s[6:7], s[4:5]
	s_cbranch_execz .LBB126_96
; %bb.95:
	ds_read_b128 v[4:7], v43
	ds_read_b128 v[8:11], v43 offset:16
	ds_read_b128 v[12:15], v43 offset:32
	;; [unrolled: 1-line block ×3, first 2 shown]
	s_waitcnt lgkmcnt(3)
	v_add_f64 v[0:1], v[0:1], v[4:5]
	v_add_f64 v[2:3], v[2:3], v[6:7]
	s_waitcnt lgkmcnt(2)
	v_add_f64 v[0:1], v[0:1], v[8:9]
	v_add_f64 v[4:5], v[2:3], v[10:11]
	s_waitcnt lgkmcnt(1)
	v_add_f64 v[6:7], v[0:1], v[12:13]
	ds_read_b128 v[0:3], v43 offset:64
	v_add_f64 v[4:5], v[4:5], v[14:15]
	s_waitcnt lgkmcnt(1)
	v_add_f64 v[8:9], v[6:7], v[16:17]
	v_add_f64 v[12:13], v[4:5], v[18:19]
	ds_read_b128 v[4:7], v43 offset:80
	s_waitcnt lgkmcnt(1)
	v_add_f64 v[14:15], v[8:9], v[0:1]
	ds_read_b128 v[8:11], v43 offset:96
	v_add_f64 v[12:13], v[12:13], v[2:3]
	ds_read_b128 v[0:3], v43 offset:112
	s_waitcnt lgkmcnt(2)
	v_add_f64 v[4:5], v[14:15], v[4:5]
	v_add_f64 v[6:7], v[12:13], v[6:7]
	s_waitcnt lgkmcnt(1)
	v_add_f64 v[4:5], v[4:5], v[8:9]
	v_add_f64 v[6:7], v[6:7], v[10:11]
	;; [unrolled: 3-line block ×3, first 2 shown]
.LBB126_96:
	s_or_b64 exec, exec, s[6:7]
	s_mul_hi_u32 s4, s33, s3
	s_mul_i32 s38, s38, s3
	s_add_i32 s4, s4, s38
	s_mul_i32 s3, s33, s3
	s_mul_i32 s4, s4, s40
	s_mul_hi_u32 s5, s3, s40
	s_add_i32 s5, s5, s4
	s_mul_i32 s4, s3, s40
	s_lshl_b64 s[4:5], s[4:5], 4
	s_add_u32 s3, s34, s4
	s_mul_i32 s4, s33, s2
	s_addc_u32 s7, s35, s5
	s_ashr_i32 s5, s4, 31
	s_lshl_b64 s[4:5], s[4:5], 4
	s_add_u32 s6, s3, s4
	v_cmp_le_i32_e32 vcc, s28, v159
	s_addc_u32 s7, s7, s5
	s_and_b64 vcc, s[22:23], vcc
	s_cmp_lt_i32 s2, 1
	v_lshlrev_b32_e32 v150, 4, v159
	s_barrier
	s_cbranch_scc1 .LBB126_103
; %bb.97:
	s_mul_i32 s3, s36, s31
	s_mul_hi_u32 s4, s36, s30
	s_add_i32 s3, s4, s3
	s_mul_i32 s4, s37, s30
	s_add_i32 s5, s3, s4
	s_mul_i32 s4, s36, s30
	s_lshl_b64 s[4:5], s[4:5], 4
	v_mov_b32_e32 v4, s5
	v_subrev_co_u32_e64 v152, s[4:5], s4, v36
	v_lshlrev_b32_e32 v9, 2, v158
	s_nop 0
	v_subb_co_u32_e64 v153, s[4:5], v37, v4, s[4:5]
	s_lshl_b64 s[4:5], s[20:21], 4
	s_nop 0
	v_mov_b32_e32 v4, s5
	v_subrev_co_u32_e64 v6, s[4:5], s4, v40
	s_ashr_i32 s29, s28, 31
	s_nop 0
	v_subb_co_u32_e64 v7, s[4:5], v41, v4, s[4:5]
	v_lshlrev_b64 v[4:5], 4, v[38:39]
	v_sub_co_u32_e64 v4, s[4:5], v6, v4
	v_mov_b32_e32 v155, 0
	s_nop 0
	v_subb_co_u32_e64 v5, s[4:5], v7, v5, s[4:5]
	v_mad_u64_u32 v[6:7], s[4:5], s24, v9, 0
	v_mov_b32_e32 v8, v7
	v_mad_u64_u32 v[8:9], s[4:5], s25, v9, v[8:9]
	v_mov_b32_e32 v7, v8
	v_lshl_add_u64 v[4:5], v[6:7], 4, v[4:5]
	s_movk_i32 s4, 0xfdf0
	v_lshl_add_u64 v[6:7], s[28:29], 4, v[4:5]
	s_mov_b32 s5, -1
	v_lshl_add_u64 v[6:7], v[6:7], 0, s[4:5]
	v_mov_b32_e32 v151, v155
	s_movk_i32 s4, 0xfe00
	v_lshl_add_u64 v[4:5], v[4:5], 0, v[150:151]
	s_mov_b32 s5, -1
	v_lshl_add_u64 v[4:5], v[4:5], 0, s[4:5]
	v_cndmask_b32_e32 v9, v5, v7, vcc
	s_movk_i32 s3, 0x10c0
	v_and_b32_e32 v5, 48, v159
	v_lshrrev_b32_e32 v10, 4, v42
	v_and_b32_e32 v11, 15, v159
	v_cndmask_b32_e32 v8, v4, v6, vcc
	v_mov_b32_e32 v4, 0x4300
	v_mad_u32_u24 v162, v158, s3, v150
	s_movk_i32 s3, 0x430
	v_lshlrev_b32_e32 v5, 4, v5
	v_lshl_add_u32 v160, v158, 6, v4
	v_lshlrev_b32_e32 v4, 6, v10
	v_mad_u32_u24 v164, v11, s3, v5
	v_or_b32_e32 v5, 0xf0, v150
	v_mad_u32_u24 v163, v11, s3, v4
	v_mul_i32_i24_e32 v4, 0xffffffd0, v10
	v_mad_u32_u24 v165, v11, s3, v5
	s_mul_i32 s3, s25, 0xd0
	s_mul_hi_u32 s10, s24, 0xd0
	v_add_u32_e32 v151, 0x4300, v150
	v_add_u32_e32 v161, 0x4700, v150
	v_cmp_gt_u32_e64 s[4:5], 64, v42
	s_lshl_b64 s[8:9], s[24:25], 4
	s_add_i32 s11, s10, s3
	s_mul_i32 s10, s24, 0xd0
	s_mov_b32 s3, 0
	v_add_u32_e32 v166, v163, v4
	s_branch .LBB126_99
.LBB126_98:                             ;   in Loop: Header=BB126_99 Depth=1
	s_or_b64 exec, exec, s[12:13]
	v_mul_f64 v[132:133], v[6:7], v[34:35]
	v_fma_f64 v[132:133], v[4:5], v[32:33], -v[132:133]
	v_mul_f64 v[4:5], v[4:5], v[34:35]
	v_mul_f64 v[34:35], v[10:11], v[30:31]
	v_add_f64 v[0:1], v[0:1], v[132:133]
	v_fma_f64 v[34:35], v[8:9], v[28:29], -v[34:35]
	v_mul_f64 v[8:9], v[8:9], v[30:31]
	v_mul_f64 v[30:31], v[14:15], v[26:27]
	v_add_f64 v[0:1], v[0:1], v[34:35]
	v_fma_f64 v[30:31], v[12:13], v[24:25], -v[30:31]
	v_mul_f64 v[12:13], v[12:13], v[26:27]
	v_mul_f64 v[26:27], v[18:19], v[22:23]
	v_fmac_f64_e32 v[4:5], v[6:7], v[32:33]
	v_add_f64 v[0:1], v[0:1], v[30:31]
	v_fma_f64 v[26:27], v[16:17], v[20:21], -v[26:27]
	v_add_f64 v[2:3], v[2:3], v[4:5]
	v_mul_f64 v[4:5], v[38:39], v[70:71]
	v_add_f64 v[0:1], v[0:1], v[26:27]
	v_fma_f64 v[4:5], v[36:37], v[68:69], -v[4:5]
	v_add_f64 v[0:1], v[0:1], v[4:5]
	v_mul_f64 v[4:5], v[42:43], v[66:67]
	v_fma_f64 v[4:5], v[40:41], v[64:65], -v[4:5]
	v_add_f64 v[0:1], v[0:1], v[4:5]
	v_mul_f64 v[4:5], v[46:47], v[58:59]
	;; [unrolled: 3-line block ×4, first 2 shown]
	v_fmac_f64_e32 v[8:9], v[10:11], v[28:29]
	v_fma_f64 v[4:5], v[60:61], v[108:109], -v[4:5]
	v_mul_f64 v[16:17], v[16:17], v[22:23]
	v_add_f64 v[2:3], v[2:3], v[8:9]
	v_fmac_f64_e32 v[12:13], v[14:15], v[24:25]
	v_add_f64 v[0:1], v[0:1], v[4:5]
	v_mul_f64 v[4:5], v[74:75], v[106:107]
	v_add_f64 v[2:3], v[2:3], v[12:13]
	v_fmac_f64_e32 v[16:17], v[18:19], v[20:21]
	v_mul_f64 v[6:7], v[36:37], v[70:71]
	v_fma_f64 v[4:5], v[72:73], v[104:105], -v[4:5]
	v_add_f64 v[2:3], v[2:3], v[16:17]
	v_mul_f64 v[8:9], v[40:41], v[66:67]
	v_fmac_f64_e32 v[6:7], v[38:39], v[68:69]
	v_add_f64 v[0:1], v[0:1], v[4:5]
	v_mul_f64 v[4:5], v[78:79], v[98:99]
	v_mul_f64 v[10:11], v[44:45], v[58:59]
	v_add_f64 v[2:3], v[2:3], v[6:7]
	v_fmac_f64_e32 v[8:9], v[42:43], v[64:65]
	v_fma_f64 v[4:5], v[76:77], v[96:97], -v[4:5]
	v_mul_f64 v[12:13], v[48:49], v[54:55]
	v_add_f64 v[2:3], v[2:3], v[8:9]
	v_fmac_f64_e32 v[10:11], v[46:47], v[56:57]
	v_add_f64 v[0:1], v[0:1], v[4:5]
	v_mul_f64 v[4:5], v[82:83], v[86:87]
	v_add_f64 v[2:3], v[2:3], v[10:11]
	v_fmac_f64_e32 v[12:13], v[50:51], v[52:53]
	v_mul_f64 v[6:7], v[60:61], v[110:111]
	v_fma_f64 v[4:5], v[80:81], v[84:85], -v[4:5]
	v_add_f64 v[2:3], v[2:3], v[12:13]
	v_mul_f64 v[8:9], v[72:73], v[106:107]
	v_add_f64 v[0:1], v[0:1], v[4:5]
	v_fmac_f64_e32 v[6:7], v[62:63], v[108:109]
	v_mul_f64 v[4:5], v[90:91], v[118:119]
	v_mul_f64 v[10:11], v[76:77], v[98:99]
	v_add_f64 v[2:3], v[2:3], v[6:7]
	v_fmac_f64_e32 v[8:9], v[74:75], v[104:105]
	v_fma_f64 v[4:5], v[88:89], v[116:117], -v[4:5]
	v_mul_f64 v[12:13], v[80:81], v[86:87]
	v_add_f64 v[2:3], v[2:3], v[8:9]
	v_fmac_f64_e32 v[10:11], v[78:79], v[96:97]
	v_add_f64 v[0:1], v[0:1], v[4:5]
	v_mul_f64 v[4:5], v[94:95], v[122:123]
	v_add_f64 v[2:3], v[2:3], v[10:11]
	v_fmac_f64_e32 v[12:13], v[82:83], v[84:85]
	v_mul_f64 v[6:7], v[88:89], v[118:119]
	v_fma_f64 v[4:5], v[92:93], v[120:121], -v[4:5]
	v_add_f64 v[2:3], v[2:3], v[12:13]
	v_mul_f64 v[8:9], v[92:93], v[122:123]
	v_add_f64 v[0:1], v[0:1], v[4:5]
	v_mul_f64 v[4:5], v[102:103], v[126:127]
	v_fmac_f64_e32 v[6:7], v[90:91], v[116:117]
	v_fma_f64 v[4:5], v[100:101], v[124:125], -v[4:5]
	v_mul_f64 v[10:11], v[100:101], v[126:127]
	v_fmac_f64_e32 v[8:9], v[94:95], v[120:121]
	v_add_f64 v[2:3], v[2:3], v[6:7]
	v_add_f64 v[0:1], v[0:1], v[4:5]
	v_mul_f64 v[4:5], v[114:115], v[130:131]
	v_mul_f64 v[12:13], v[112:113], v[130:131]
	v_fmac_f64_e32 v[10:11], v[102:103], v[124:125]
	v_add_f64 v[2:3], v[2:3], v[8:9]
	v_fma_f64 v[4:5], v[112:113], v[128:129], -v[4:5]
	v_fmac_f64_e32 v[12:13], v[114:115], v[128:129]
	v_add_f64 v[2:3], v[2:3], v[10:11]
	s_add_i32 s3, s3, 64
	s_add_i32 s2, s2, -1
	v_add_f64 v[0:1], v[0:1], v[4:5]
	v_add_f64 v[2:3], v[2:3], v[12:13]
	s_cmp_eq_u32 s2, 0
	v_lshl_add_u64 v[8:9], v[156:157], 0, s[10:11]
	s_barrier
	s_cbranch_scc1 .LBB126_103
.LBB126_99:                             ; =>This Inner Loop Header: Depth=1
	s_and_saveexec_b64 s[12:13], s[16:17]
	s_cbranch_execz .LBB126_101
; %bb.100:                              ;   in Loop: Header=BB126_99 Depth=1
	s_mul_i32 s14, s37, s3
	s_mul_hi_u32 s15, s36, s3
	s_add_i32 s15, s15, s14
	s_mul_i32 s14, s36, s3
	v_lshl_add_u64 v[4:5], s[14:15], 4, v[152:153]
	global_load_dwordx4 v[4:7], v[4:5], off
	s_waitcnt vmcnt(0)
	ds_write2_b64 v151, v[4:5], v[6:7] offset1:1
.LBB126_101:                            ;   in Loop: Header=BB126_99 Depth=1
	s_or_b64 exec, exec, s[12:13]
	s_waitcnt lgkmcnt(0)
	s_barrier
	global_load_dwordx4 v[4:7], v[8:9], off
	v_lshl_add_u64 v[12:13], v[8:9], 0, s[8:9]
	global_load_dwordx4 v[8:11], v[12:13], off
	v_lshl_add_u64 v[16:17], v[12:13], 0, s[8:9]
	;; [unrolled: 2-line block ×3, first 2 shown]
	global_load_dwordx4 v[16:19], v[40:41], off
	ds_read_b128 v[36:39], v161
	ds_read_b128 v[32:35], v160
	ds_read_b128 v[28:31], v160 offset:16
	ds_read_b128 v[24:27], v160 offset:32
	;; [unrolled: 1-line block ×3, first 2 shown]
	v_lshl_add_u64 v[48:49], v[40:41], 0, s[10:11]
	s_waitcnt vmcnt(3) lgkmcnt(4)
	v_mul_f64 v[40:41], v[6:7], v[38:39]
	v_mul_f64 v[42:43], v[4:5], v[38:39]
	v_fma_f64 v[40:41], v[4:5], v[36:37], -v[40:41]
	v_fmac_f64_e32 v[42:43], v[6:7], v[36:37]
	s_waitcnt vmcnt(2)
	v_mul_f64 v[46:47], v[10:11], v[38:39]
	v_mul_f64 v[44:45], v[8:9], v[38:39]
	ds_write_b128 v162, v[40:43]
	v_fma_f64 v[42:43], v[8:9], v[36:37], -v[46:47]
	v_fmac_f64_e32 v[44:45], v[10:11], v[36:37]
	s_waitcnt vmcnt(1)
	v_mul_f64 v[40:41], v[14:15], v[38:39]
	v_mul_f64 v[46:47], v[12:13], v[38:39]
	ds_write_b128 v162, v[42:45] offset:1072
	v_fma_f64 v[44:45], v[12:13], v[36:37], -v[40:41]
	v_fmac_f64_e32 v[46:47], v[14:15], v[36:37]
	s_waitcnt vmcnt(0)
	v_mul_f64 v[42:43], v[18:19], v[38:39]
	v_mul_f64 v[40:41], v[16:17], v[38:39]
	ds_write_b128 v162, v[44:47] offset:2144
	v_fma_f64 v[38:39], v[16:17], v[36:37], -v[42:43]
	v_fmac_f64_e32 v[40:41], v[18:19], v[36:37]
	v_lshl_add_u64 v[44:45], v[48:49], 0, s[8:9]
	ds_write_b128 v162, v[38:41] offset:3216
	s_waitcnt lgkmcnt(0)
	s_barrier
	ds_read_b128 v[128:131], v163
	ds_read_b128 v[124:127], v163 offset:16
	ds_read_b128 v[120:123], v163 offset:32
	;; [unrolled: 1-line block ×3, first 2 shown]
	s_waitcnt lgkmcnt(0)
	s_barrier
	global_load_dwordx4 v[36:39], v[48:49], off
	global_load_dwordx4 v[40:43], v[44:45], off
	v_lshl_add_u64 v[48:49], v[44:45], 0, s[8:9]
	v_lshl_add_u64 v[52:53], v[48:49], 0, s[8:9]
	global_load_dwordx4 v[44:47], v[48:49], off
	v_lshl_add_u64 v[88:89], v[52:53], 0, s[10:11]
	global_load_dwordx4 v[48:51], v[52:53], off
	ds_read_b128 v[60:63], v161
	ds_read_b128 v[68:71], v160 offset:256
	ds_read_b128 v[64:67], v160 offset:272
	;; [unrolled: 1-line block ×4, first 2 shown]
	v_add_f64 v[128:129], v[128:129], 0
	v_add_f64 v[130:131], v[130:131], 0
	;; [unrolled: 1-line block ×8, first 2 shown]
	s_waitcnt vmcnt(3) lgkmcnt(4)
	v_mul_f64 v[72:73], v[38:39], v[62:63]
	v_mul_f64 v[74:75], v[36:37], v[62:63]
	s_waitcnt vmcnt(2)
	v_mul_f64 v[76:77], v[42:43], v[62:63]
	v_mul_f64 v[78:79], v[40:41], v[62:63]
	s_waitcnt vmcnt(1)
	;; [unrolled: 3-line block ×3, first 2 shown]
	v_mul_f64 v[84:85], v[50:51], v[62:63]
	v_mul_f64 v[86:87], v[48:49], v[62:63]
	v_fma_f64 v[72:73], v[36:37], v[60:61], -v[72:73]
	v_fma_f64 v[76:77], v[40:41], v[60:61], -v[76:77]
	v_fmac_f64_e32 v[74:75], v[38:39], v[60:61]
	v_fma_f64 v[80:81], v[44:45], v[60:61], -v[80:81]
	v_fma_f64 v[84:85], v[48:49], v[60:61], -v[84:85]
	v_fmac_f64_e32 v[78:79], v[42:43], v[60:61]
	v_fmac_f64_e32 v[82:83], v[46:47], v[60:61]
	;; [unrolled: 1-line block ×3, first 2 shown]
	ds_write_b128 v162, v[72:75]
	ds_write_b128 v162, v[76:79] offset:1072
	ds_write_b128 v162, v[80:83] offset:2144
	;; [unrolled: 1-line block ×3, first 2 shown]
	v_lshl_add_u64 v[76:77], v[88:89], 0, s[8:9]
	v_lshl_add_u64 v[80:81], v[76:77], 0, s[8:9]
	s_waitcnt lgkmcnt(0)
	s_barrier
	ds_read_b128 v[144:147], v163
	ds_read_b128 v[140:143], v163 offset:16
	ds_read_b128 v[136:139], v163 offset:32
	;; [unrolled: 1-line block ×3, first 2 shown]
	s_waitcnt lgkmcnt(0)
	s_barrier
	global_load_dwordx4 v[60:63], v[88:89], off
	global_load_dwordx4 v[72:75], v[76:77], off
	v_lshl_add_u64 v[84:85], v[80:81], 0, s[8:9]
	global_load_dwordx4 v[76:79], v[80:81], off
	v_lshl_add_u64 v[94:95], v[84:85], 0, s[10:11]
	global_load_dwordx4 v[80:83], v[84:85], off
	ds_read_b128 v[88:91], v161
	ds_read_b128 v[108:111], v160 offset:512
	ds_read_b128 v[104:107], v160 offset:528
	;; [unrolled: 1-line block ×4, first 2 shown]
	v_add_f64 v[116:117], v[144:145], 0
	v_add_f64 v[118:119], v[146:147], 0
	;; [unrolled: 1-line block ×8, first 2 shown]
	s_waitcnt vmcnt(3) lgkmcnt(4)
	v_mul_f64 v[100:101], v[62:63], v[90:91]
	v_mul_f64 v[92:93], v[60:61], v[90:91]
	s_waitcnt vmcnt(2)
	v_mul_f64 v[112:113], v[74:75], v[90:91]
	v_mul_f64 v[102:103], v[72:73], v[90:91]
	s_waitcnt vmcnt(1)
	;; [unrolled: 3-line block ×3, first 2 shown]
	v_mul_f64 v[168:169], v[82:83], v[90:91]
	v_mul_f64 v[170:171], v[80:81], v[90:91]
	v_fma_f64 v[90:91], v[60:61], v[88:89], -v[100:101]
	v_fma_f64 v[100:101], v[72:73], v[88:89], -v[112:113]
	v_fmac_f64_e32 v[92:93], v[62:63], v[88:89]
	v_fma_f64 v[112:113], v[76:77], v[88:89], -v[156:157]
	v_fma_f64 v[168:169], v[80:81], v[88:89], -v[168:169]
	v_fmac_f64_e32 v[102:103], v[74:75], v[88:89]
	v_fmac_f64_e32 v[114:115], v[78:79], v[88:89]
	;; [unrolled: 1-line block ×3, first 2 shown]
	ds_write_b128 v162, v[90:93]
	ds_write_b128 v162, v[100:103] offset:1072
	ds_write_b128 v162, v[112:115] offset:2144
	;; [unrolled: 1-line block ×3, first 2 shown]
	v_lshl_add_u64 v[100:101], v[94:95], 0, s[8:9]
	v_lshl_add_u64 v[112:113], v[100:101], 0, s[8:9]
	s_waitcnt lgkmcnt(0)
	s_barrier
	ds_read_b128 v[168:171], v163
	ds_read_b128 v[172:175], v163 offset:16
	ds_read_b128 v[176:179], v163 offset:32
	ds_read_b128 v[180:183], v163 offset:48
	s_waitcnt lgkmcnt(0)
	s_barrier
	global_load_dwordx4 v[88:91], v[94:95], off
	v_lshl_add_u64 v[156:157], v[112:113], 0, s[8:9]
	global_load_dwordx4 v[92:95], v[100:101], off
	v_add_f64 v[140:141], v[168:169], 0
	global_load_dwordx4 v[100:103], v[112:113], off
	v_add_f64 v[142:143], v[170:171], 0
	global_load_dwordx4 v[112:115], v[156:157], off
	ds_read_b128 v[136:139], v161
	ds_read_b128 v[116:119], v160 offset:768
	ds_read_b128 v[120:123], v160 offset:784
	;; [unrolled: 1-line block ×4, first 2 shown]
	v_add_f64 v[140:141], v[140:141], v[172:173]
	v_add_f64 v[142:143], v[142:143], v[174:175]
	;; [unrolled: 1-line block ×6, first 2 shown]
	s_waitcnt vmcnt(3) lgkmcnt(4)
	v_mul_f64 v[144:145], v[90:91], v[138:139]
	v_mul_f64 v[146:147], v[88:89], v[138:139]
	s_waitcnt vmcnt(2)
	v_mul_f64 v[168:169], v[94:95], v[138:139]
	v_mul_f64 v[170:171], v[92:93], v[138:139]
	s_waitcnt vmcnt(1)
	;; [unrolled: 3-line block ×3, first 2 shown]
	v_mul_f64 v[176:177], v[114:115], v[138:139]
	v_mul_f64 v[178:179], v[112:113], v[138:139]
	v_fma_f64 v[144:145], v[88:89], v[136:137], -v[144:145]
	v_fma_f64 v[168:169], v[92:93], v[136:137], -v[168:169]
	;; [unrolled: 1-line block ×3, first 2 shown]
	v_fmac_f64_e32 v[146:147], v[90:91], v[136:137]
	v_fmac_f64_e32 v[170:171], v[94:95], v[136:137]
	;; [unrolled: 1-line block ×3, first 2 shown]
	v_fma_f64 v[176:177], v[112:113], v[136:137], -v[176:177]
	v_fmac_f64_e32 v[178:179], v[114:115], v[136:137]
	ds_write_b128 v162, v[144:147]
	ds_write_b128 v162, v[168:171] offset:1072
	ds_write_b128 v162, v[172:175] offset:2144
	;; [unrolled: 1-line block ×3, first 2 shown]
	s_waitcnt lgkmcnt(0)
	s_barrier
	ds_read_b128 v[136:139], v163
	ds_read_b128 v[144:147], v163 offset:16
	ds_read_b128 v[168:171], v163 offset:32
	;; [unrolled: 1-line block ×3, first 2 shown]
	s_waitcnt lgkmcnt(0)
	s_barrier
	ds_write_b128 v166, v[184:187]
	ds_write_b128 v166, v[132:135] offset:256
	ds_write_b128 v166, v[140:143] offset:512
	v_add_f64 v[132:133], v[136:137], 0
	v_add_f64 v[134:135], v[138:139], 0
	v_add_f64 v[132:133], v[132:133], v[144:145]
	v_add_f64 v[134:135], v[134:135], v[146:147]
	v_add_f64 v[132:133], v[132:133], v[168:169]
	v_add_f64 v[134:135], v[134:135], v[170:171]
	v_add_f64 v[132:133], v[132:133], v[172:173]
	v_add_f64 v[134:135], v[134:135], v[174:175]
	ds_write_b128 v166, v[132:135] offset:768
	s_waitcnt lgkmcnt(0)
	s_barrier
	s_and_saveexec_b64 s[12:13], s[4:5]
	s_cbranch_execz .LBB126_98
; %bb.102:                              ;   in Loop: Header=BB126_99 Depth=1
	ds_read_b128 v[132:135], v164
	ds_read_b128 v[136:139], v164 offset:16
	ds_read_b128 v[140:143], v164 offset:32
	;; [unrolled: 1-line block ×3, first 2 shown]
	v_add_u32_e32 v154, s3, v159
	s_waitcnt lgkmcnt(2)
	v_add_f64 v[132:133], v[136:137], v[132:133]
	v_add_f64 v[136:137], v[138:139], v[134:135]
	s_waitcnt lgkmcnt(1)
	v_add_f64 v[138:139], v[132:133], v[140:141]
	ds_read_b128 v[132:135], v164 offset:64
	v_add_f64 v[140:141], v[136:137], v[142:143]
	s_waitcnt lgkmcnt(1)
	v_add_f64 v[142:143], v[138:139], v[144:145]
	ds_read_b128 v[136:139], v164 offset:80
	;; [unrolled: 4-line block ×9, first 2 shown]
	v_add_f64 v[134:135], v[144:145], v[134:135]
	s_waitcnt lgkmcnt(1)
	v_add_f64 v[136:137], v[132:133], v[136:137]
	v_add_f64 v[144:145], v[134:135], v[138:139]
	ds_read_b128 v[132:135], v164 offset:208
	s_waitcnt lgkmcnt(1)
	v_add_f64 v[146:147], v[136:137], v[140:141]
	ds_read_b128 v[136:139], v164 offset:224
	v_add_f64 v[144:145], v[144:145], v[142:143]
	ds_read_b128 v[140:143], v165
	s_waitcnt lgkmcnt(2)
	v_add_f64 v[132:133], v[146:147], v[132:133]
	v_add_f64 v[134:135], v[144:145], v[134:135]
	s_waitcnt lgkmcnt(1)
	v_add_f64 v[132:133], v[132:133], v[136:137]
	v_add_f64 v[134:135], v[134:135], v[138:139]
	;; [unrolled: 3-line block ×3, first 2 shown]
	v_lshl_add_u64 v[136:137], v[154:155], 4, s[6:7]
	global_store_dwordx4 v[136:137], v[132:135], off
	s_branch .LBB126_98
.LBB126_103:
	s_movk_i32 s2, 0x430
	v_mad_u32_u24 v4, v158, s2, v150
	s_nor_b64 s[0:1], s[0:1], vcc
	ds_write_b128 v4, v[0:3]
	s_waitcnt lgkmcnt(0)
	s_barrier
	s_and_saveexec_b64 s[2:3], s[0:1]
	s_cbranch_execz .LBB126_105
; %bb.104:
	ds_read_b128 v[0:3], v150 offset:1072
	ds_read_b128 v[4:7], v150
	ds_read_b128 v[8:11], v150 offset:2144
	ds_read_b128 v[12:15], v150 offset:3216
	s_waitcnt lgkmcnt(2)
	v_add_f64 v[0:1], v[0:1], v[4:5]
	v_add_f64 v[2:3], v[2:3], v[6:7]
	s_waitcnt lgkmcnt(1)
	v_add_f64 v[0:1], v[0:1], v[8:9]
	v_add_f64 v[2:3], v[2:3], v[10:11]
	;; [unrolled: 3-line block ×3, first 2 shown]
	v_lshl_add_u64 v[4:5], v[148:149], 4, s[6:7]
	global_store_dwordx4 v[4:5], v[0:3], off
.LBB126_105:
	s_endpgm
	.section	.rodata,"a",@progbits
	.p2align	6, 0x0
	.amdhsa_kernel _ZL26rocblas_hemvn_kernel_lowerILb0ELi64ELi4ELi33ELi32ELi16ElPK19rocblas_complex_numIdES3_PS1_EviT6_lT7_lT5_lS6_lS7_lS5_lT8_i
		.amdhsa_group_segment_fixed_size 19200
		.amdhsa_private_segment_fixed_size 0
		.amdhsa_kernarg_size 376
		.amdhsa_user_sgpr_count 2
		.amdhsa_user_sgpr_dispatch_ptr 0
		.amdhsa_user_sgpr_queue_ptr 0
		.amdhsa_user_sgpr_kernarg_segment_ptr 1
		.amdhsa_user_sgpr_dispatch_id 0
		.amdhsa_user_sgpr_kernarg_preload_length 0
		.amdhsa_user_sgpr_kernarg_preload_offset 0
		.amdhsa_user_sgpr_private_segment_size 0
		.amdhsa_uses_dynamic_stack 0
		.amdhsa_enable_private_segment 0
		.amdhsa_system_sgpr_workgroup_id_x 1
		.amdhsa_system_sgpr_workgroup_id_y 0
		.amdhsa_system_sgpr_workgroup_id_z 1
		.amdhsa_system_sgpr_workgroup_info 0
		.amdhsa_system_vgpr_workitem_id 1
		.amdhsa_next_free_vgpr 188
		.amdhsa_next_free_sgpr 44
		.amdhsa_accum_offset 188
		.amdhsa_reserve_vcc 1
		.amdhsa_float_round_mode_32 0
		.amdhsa_float_round_mode_16_64 0
		.amdhsa_float_denorm_mode_32 3
		.amdhsa_float_denorm_mode_16_64 3
		.amdhsa_dx10_clamp 1
		.amdhsa_ieee_mode 1
		.amdhsa_fp16_overflow 0
		.amdhsa_tg_split 0
		.amdhsa_exception_fp_ieee_invalid_op 0
		.amdhsa_exception_fp_denorm_src 0
		.amdhsa_exception_fp_ieee_div_zero 0
		.amdhsa_exception_fp_ieee_overflow 0
		.amdhsa_exception_fp_ieee_underflow 0
		.amdhsa_exception_fp_ieee_inexact 0
		.amdhsa_exception_int_div_zero 0
	.end_amdhsa_kernel
	.section	.text._ZL26rocblas_hemvn_kernel_lowerILb0ELi64ELi4ELi33ELi32ELi16ElPK19rocblas_complex_numIdES3_PS1_EviT6_lT7_lT5_lS6_lS7_lS5_lT8_i,"axG",@progbits,_ZL26rocblas_hemvn_kernel_lowerILb0ELi64ELi4ELi33ELi32ELi16ElPK19rocblas_complex_numIdES3_PS1_EviT6_lT7_lT5_lS6_lS7_lS5_lT8_i,comdat
.Lfunc_end126:
	.size	_ZL26rocblas_hemvn_kernel_lowerILb0ELi64ELi4ELi33ELi32ELi16ElPK19rocblas_complex_numIdES3_PS1_EviT6_lT7_lT5_lS6_lS7_lS5_lT8_i, .Lfunc_end126-_ZL26rocblas_hemvn_kernel_lowerILb0ELi64ELi4ELi33ELi32ELi16ElPK19rocblas_complex_numIdES3_PS1_EviT6_lT7_lT5_lS6_lS7_lS5_lT8_i
                                        ; -- End function
	.set _ZL26rocblas_hemvn_kernel_lowerILb0ELi64ELi4ELi33ELi32ELi16ElPK19rocblas_complex_numIdES3_PS1_EviT6_lT7_lT5_lS6_lS7_lS5_lT8_i.num_vgpr, 188
	.set _ZL26rocblas_hemvn_kernel_lowerILb0ELi64ELi4ELi33ELi32ELi16ElPK19rocblas_complex_numIdES3_PS1_EviT6_lT7_lT5_lS6_lS7_lS5_lT8_i.num_agpr, 0
	.set _ZL26rocblas_hemvn_kernel_lowerILb0ELi64ELi4ELi33ELi32ELi16ElPK19rocblas_complex_numIdES3_PS1_EviT6_lT7_lT5_lS6_lS7_lS5_lT8_i.numbered_sgpr, 44
	.set _ZL26rocblas_hemvn_kernel_lowerILb0ELi64ELi4ELi33ELi32ELi16ElPK19rocblas_complex_numIdES3_PS1_EviT6_lT7_lT5_lS6_lS7_lS5_lT8_i.num_named_barrier, 0
	.set _ZL26rocblas_hemvn_kernel_lowerILb0ELi64ELi4ELi33ELi32ELi16ElPK19rocblas_complex_numIdES3_PS1_EviT6_lT7_lT5_lS6_lS7_lS5_lT8_i.private_seg_size, 0
	.set _ZL26rocblas_hemvn_kernel_lowerILb0ELi64ELi4ELi33ELi32ELi16ElPK19rocblas_complex_numIdES3_PS1_EviT6_lT7_lT5_lS6_lS7_lS5_lT8_i.uses_vcc, 1
	.set _ZL26rocblas_hemvn_kernel_lowerILb0ELi64ELi4ELi33ELi32ELi16ElPK19rocblas_complex_numIdES3_PS1_EviT6_lT7_lT5_lS6_lS7_lS5_lT8_i.uses_flat_scratch, 0
	.set _ZL26rocblas_hemvn_kernel_lowerILb0ELi64ELi4ELi33ELi32ELi16ElPK19rocblas_complex_numIdES3_PS1_EviT6_lT7_lT5_lS6_lS7_lS5_lT8_i.has_dyn_sized_stack, 0
	.set _ZL26rocblas_hemvn_kernel_lowerILb0ELi64ELi4ELi33ELi32ELi16ElPK19rocblas_complex_numIdES3_PS1_EviT6_lT7_lT5_lS6_lS7_lS5_lT8_i.has_recursion, 0
	.set _ZL26rocblas_hemvn_kernel_lowerILb0ELi64ELi4ELi33ELi32ELi16ElPK19rocblas_complex_numIdES3_PS1_EviT6_lT7_lT5_lS6_lS7_lS5_lT8_i.has_indirect_call, 0
	.section	.AMDGPU.csdata,"",@progbits
; Kernel info:
; codeLenInByte = 9060
; TotalNumSgprs: 50
; NumVgprs: 188
; NumAgprs: 0
; TotalNumVgprs: 188
; ScratchSize: 0
; MemoryBound: 0
; FloatMode: 240
; IeeeMode: 1
; LDSByteSize: 19200 bytes/workgroup (compile time only)
; SGPRBlocks: 6
; VGPRBlocks: 23
; NumSGPRsForWavesPerEU: 50
; NumVGPRsForWavesPerEU: 188
; AccumOffset: 188
; Occupancy: 2
; WaveLimiterHint : 0
; COMPUTE_PGM_RSRC2:SCRATCH_EN: 0
; COMPUTE_PGM_RSRC2:USER_SGPR: 2
; COMPUTE_PGM_RSRC2:TRAP_HANDLER: 0
; COMPUTE_PGM_RSRC2:TGID_X_EN: 1
; COMPUTE_PGM_RSRC2:TGID_Y_EN: 0
; COMPUTE_PGM_RSRC2:TGID_Z_EN: 1
; COMPUTE_PGM_RSRC2:TIDIG_COMP_CNT: 1
; COMPUTE_PGM_RSRC3_GFX90A:ACCUM_OFFSET: 46
; COMPUTE_PGM_RSRC3_GFX90A:TG_SPLIT: 0
	.section	.text._ZL26rocblas_hemvn_kernel_lowerILb0ELi64ELi4ELi33ELi32ELi16EiPK19rocblas_complex_numIdES3_PS1_EviT6_lT7_lT5_lS6_lS7_lS5_lT8_i,"axG",@progbits,_ZL26rocblas_hemvn_kernel_lowerILb0ELi64ELi4ELi33ELi32ELi16EiPK19rocblas_complex_numIdES3_PS1_EviT6_lT7_lT5_lS6_lS7_lS5_lT8_i,comdat
	.globl	_ZL26rocblas_hemvn_kernel_lowerILb0ELi64ELi4ELi33ELi32ELi16EiPK19rocblas_complex_numIdES3_PS1_EviT6_lT7_lT5_lS6_lS7_lS5_lT8_i ; -- Begin function _ZL26rocblas_hemvn_kernel_lowerILb0ELi64ELi4ELi33ELi32ELi16EiPK19rocblas_complex_numIdES3_PS1_EviT6_lT7_lT5_lS6_lS7_lS5_lT8_i
	.p2align	8
	.type	_ZL26rocblas_hemvn_kernel_lowerILb0ELi64ELi4ELi33ELi32ELi16EiPK19rocblas_complex_numIdES3_PS1_EviT6_lT7_lT5_lS6_lS7_lS5_lT8_i,@function
_ZL26rocblas_hemvn_kernel_lowerILb0ELi64ELi4ELi33ELi32ELi16EiPK19rocblas_complex_numIdES3_PS1_EviT6_lT7_lT5_lS6_lS7_lS5_lT8_i: ; @_ZL26rocblas_hemvn_kernel_lowerILb0ELi64ELi4ELi33ELi32ELi16EiPK19rocblas_complex_numIdES3_PS1_EviT6_lT7_lT5_lS6_lS7_lS5_lT8_i
; %bb.0:
	s_load_dwordx2 s[4:5], s[0:1], 0x84
	s_add_u32 s12, s0, 0x78
	s_addc_u32 s13, s1, 0
	s_waitcnt lgkmcnt(0)
	s_lshr_b32 s6, s4, 16
	s_and_b32 s4, s4, 0xffff
	s_and_b32 s5, s5, 0xffff
	s_mul_i32 s4, s6, s4
	s_mul_i32 s4, s4, s5
	s_cmpk_lg_i32 s4, 0x100
	s_cbranch_scc1 .LBB127_105
; %bb.1:
	s_load_dwordx8 s[4:11], s[0:1], 0x8
	s_waitcnt lgkmcnt(0)
	s_mul_i32 s7, s7, s3
	s_mul_hi_u32 s14, s6, s3
	s_mul_i32 s6, s6, s3
	s_add_i32 s7, s14, s7
	s_lshl_b64 s[6:7], s[6:7], 4
	s_add_u32 s14, s4, s6
	s_addc_u32 s15, s5, s7
	s_load_dwordx4 s[4:7], s[14:15], 0x0
	s_load_dwordx8 s[16:23], s[0:1], 0x50
	s_waitcnt lgkmcnt(0)
	v_cmp_neq_f64_e64 s[4:5], s[4:5], 0
	v_cmp_neq_f64_e64 s[6:7], s[6:7], 0
	s_or_b64 s[4:5], s[4:5], s[6:7]
	s_mov_b64 s[6:7], -1
	s_and_b64 vcc, exec, s[4:5]
	s_cbranch_vccnz .LBB127_3
; %bb.2:
	s_mul_i32 s6, s21, s3
	s_mul_hi_u32 s7, s20, s3
	s_add_i32 s7, s7, s6
	s_mul_i32 s6, s20, s3
	s_lshl_b64 s[6:7], s[6:7], 4
	s_add_u32 s6, s18, s6
	s_addc_u32 s7, s19, s7
	s_load_dwordx4 s[24:27], s[6:7], 0x0
	s_waitcnt lgkmcnt(0)
	v_cmp_neq_f64_e64 s[6:7], s[24:25], 1.0
	v_cmp_neq_f64_e64 s[14:15], s[26:27], 0
	s_or_b64 s[6:7], s[6:7], s[14:15]
.LBB127_3:
	s_andn2_b64 vcc, exec, s[6:7]
	s_cbranch_vccnz .LBB127_105
; %bb.4:
	s_andn2_b64 vcc, exec, s[4:5]
	s_cbranch_vccnz .LBB127_105
; %bb.5:
	s_load_dword s39, s[12:13], 0x0
	s_load_dword s38, s[0:1], 0x0
	s_load_dwordx4 s[4:7], s[0:1], 0x30
	s_load_dwordx2 s[14:15], s[0:1], 0x40
	s_load_dword s33, s[0:1], 0x48
	s_mul_i32 s12, s17, s3
	s_mul_hi_u32 s13, s16, s3
	s_add_i32 s13, s13, s12
	s_mul_i32 s12, s16, s3
	s_lshl_b64 s[12:13], s[12:13], 4
	s_waitcnt lgkmcnt(0)
	s_add_u32 s12, s6, s12
	s_addc_u32 s13, s7, s13
	s_lshl_b64 s[6:7], s[14:15], 4
	s_add_u32 s6, s12, s6
	s_addc_u32 s7, s13, s7
	s_ashr_i32 s40, s38, 31
	s_lshr_b32 s13, s40, 26
	v_and_b32_e32 v150, 0x3ff, v0
	s_lshl_b32 s24, s2, 6
	s_add_i32 s13, s38, s13
	s_andn2_b32 s13, s13, 63
	v_add_u32_e32 v148, s24, v150
	v_bfe_u32 v149, v0, 10, 10
	s_add_i32 s12, s39, -1
	s_sub_i32 s13, s38, s13
	v_mul_lo_u32 v0, s33, v148
	s_cmp_eq_u32 s2, s12
	v_ashrrev_i32_e32 v1, 31, v0
	s_cselect_b32 s20, s13, 0
	v_lshl_add_u64 v[36:37], v[0:1], 4, s[6:7]
	v_cmp_ne_u32_e64 s[16:17], 0, v149
	v_cmp_eq_u32_e64 s[18:19], 0, v149
	s_and_saveexec_b64 s[6:7], s[18:19]
	s_cbranch_execz .LBB127_10
; %bb.6:
	s_cmp_lg_u32 s20, 0
	s_cselect_b64 s[12:13], -1, 0
	v_cmp_le_i32_e32 vcc, s20, v150
	v_mov_b32_e32 v0, 0x4700
	s_and_b64 s[12:13], s[12:13], vcc
	v_lshl_add_u32 v0, v150, 4, v0
	s_and_saveexec_b64 s[14:15], s[12:13]
	s_xor_b64 s[12:13], exec, s[14:15]
; %bb.7:
	v_mov_b32_e32 v2, 0
	v_mov_b32_e32 v3, v2
	;; [unrolled: 1-line block ×4, first 2 shown]
	ds_write_b128 v0, v[2:5]
                                        ; implicit-def: $vgpr0
; %bb.8:
	s_andn2_saveexec_b64 s[12:13], s[12:13]
	s_cbranch_execz .LBB127_10
; %bb.9:
	global_load_dwordx4 v[2:5], v[36:37], off
	s_waitcnt vmcnt(0)
	ds_write2_b64 v0, v[2:3], v[4:5] offset1:1
.LBB127_10:
	s_or_b64 exec, exec, s[6:7]
	s_mul_i32 s5, s5, s3
	s_mul_hi_u32 s6, s4, s3
	s_add_i32 s5, s6, s5
	s_mul_i32 s4, s4, s3
	s_lshl_b64 s[4:5], s[4:5], 4
	s_add_u32 s6, s8, s4
	s_load_dword s26, s[0:1], 0x28
	s_addc_u32 s7, s9, s5
	s_lshl_b64 s[4:5], s[10:11], 4
	s_add_u32 s4, s6, s4
	s_addc_u32 s5, s7, s5
	s_ashr_i32 s25, s24, 31
	v_lshl_add_u32 v42, v149, 6, v150
	s_lshl_b64 s[0:1], s[24:25], 4
	v_and_b32_e32 v6, 31, v150
	v_lshrrev_b32_e32 v12, 5, v42
	s_add_u32 s0, s4, s0
	s_waitcnt lgkmcnt(0)
	s_mul_i32 s28, s26, s24
	s_addc_u32 s1, s5, s1
	v_mad_u64_u32 v[38:39], s[4:5], s26, v12, v[6:7]
	s_ashr_i32 s29, s28, 31
	v_ashrrev_i32_e32 v39, 31, v38
	s_cmp_lg_u32 s20, 0
	v_lshl_add_u64 v[0:1], v[38:39], 4, s[0:1]
	s_cselect_b64 s[30:31], -1, 0
	s_cmp_eq_u32 s20, 0
	v_lshl_add_u64 v[8:9], s[28:29], 4, v[0:1]
	s_cselect_b64 s[34:35], -1, 0
	s_mov_b64 s[0:1], -1
	s_and_b64 vcc, exec, s[30:31]
	s_cbranch_vccnz .LBB127_12
; %bb.11:
	s_lshl_b32 s0, s26, 3
	s_ashr_i32 s1, s0, 31
	s_ashr_i32 s27, s26, 31
	v_lshl_add_u64 v[4:5], s[0:1], 4, v[8:9]
	s_lshl_b64 s[0:1], s[26:27], 7
	global_load_dwordx4 v[0:3], v[8:9], off
	v_lshl_add_u64 v[10:11], v[4:5], 0, s[0:1]
	global_load_dwordx4 v[14:17], v[4:5], off
	global_load_dwordx4 v[18:21], v[10:11], off
	v_lshl_add_u64 v[4:5], v[10:11], 0, s[0:1]
	global_load_dwordx4 v[22:25], v[4:5], off
	v_mul_u32_u24_e32 v4, 0x210, v12
	v_lshl_add_u32 v4, v6, 4, v4
	s_mov_b64 s[0:1], 0
	v_add_u32_e32 v5, 0x1080, v4
	v_add_u32_e32 v7, 0x2100, v4
	;; [unrolled: 1-line block ×3, first 2 shown]
	s_waitcnt vmcnt(3)
	ds_write2_b64 v4, v[0:1], v[2:3] offset1:1
	s_waitcnt vmcnt(2)
	ds_write2_b64 v5, v[14:15], v[16:17] offset1:1
	;; [unrolled: 2-line block ×4, first 2 shown]
.LBB127_12:
	s_andn2_b64 vcc, exec, s[0:1]
	v_lshlrev_b32_e32 v4, 4, v6
	s_cbranch_vccnz .LBB127_30
; %bb.13:
	v_sub_co_u32_e32 v0, vcc, v8, v4
	s_ashr_i32 s21, s20, 31
	s_nop 0
	v_subbrev_co_u32_e32 v1, vcc, 0, v9, vcc
	v_lshl_add_u64 v[0:1], s[20:21], 4, v[0:1]
	v_lshl_add_u64 v[0:1], v[0:1], 0, -16
	v_cmp_gt_i32_e32 vcc, s20, v6
	s_movk_i32 s4, 0x210
	v_cmp_le_i32_e64 s[0:1], s20, v12
	v_cndmask_b32_e32 v1, v1, v9, vcc
	v_cndmask_b32_e32 v0, v0, v8, vcc
	v_mad_u32_u24 v2, v12, s4, v4
	s_and_saveexec_b64 s[4:5], s[0:1]
	s_xor_b64 s[0:1], exec, s[4:5]
; %bb.14:
	v_mov_b32_e32 v14, 0
	v_mov_b32_e32 v15, v14
	;; [unrolled: 1-line block ×4, first 2 shown]
	ds_write_b128 v2, v[14:17]
                                        ; implicit-def: $vgpr2
; %bb.15:
	s_andn2_saveexec_b64 s[0:1], s[0:1]
	s_cbranch_execz .LBB127_17
; %bb.16:
	global_load_dwordx4 v[14:17], v[0:1], off
	s_waitcnt vmcnt(0)
	ds_write2_b64 v2, v[14:15], v[16:17] offset1:1
.LBB127_17:
	s_or_b64 exec, exec, s[0:1]
	v_add_u32_e32 v3, 8, v12
	v_mul_u32_u24_e32 v2, 0x210, v12
	v_cmp_le_i32_e64 s[0:1], s20, v3
	s_and_saveexec_b64 s[4:5], s[0:1]
	s_xor_b64 s[0:1], exec, s[4:5]
	s_cbranch_execz .LBB127_19
; %bb.18:
	v_mov_b32_e32 v14, 0
	v_add_u32_e32 v3, v2, v4
	v_mov_b32_e32 v15, v14
	v_mov_b32_e32 v16, v14
	;; [unrolled: 1-line block ×3, first 2 shown]
	ds_write_b128 v3, v[14:17] offset:4224
.LBB127_19:
	s_andn2_saveexec_b64 s[0:1], s[0:1]
	s_cbranch_execz .LBB127_21
; %bb.20:
	s_lshl_b32 s4, s26, 3
	s_ashr_i32 s5, s4, 31
	v_lshl_add_u64 v[10:11], s[4:5], 4, v[0:1]
	global_load_dwordx4 v[14:17], v[10:11], off
	s_movk_i32 s4, 0x1080
	v_add3_u32 v3, v2, v4, s4
	s_waitcnt vmcnt(0)
	ds_write2_b64 v3, v[14:15], v[16:17] offset1:1
.LBB127_21:
	s_or_b64 exec, exec, s[0:1]
	v_add_u32_e32 v3, 16, v12
	v_cmp_le_i32_e64 s[0:1], s20, v3
	s_and_saveexec_b64 s[4:5], s[0:1]
	s_xor_b64 s[0:1], exec, s[4:5]
	s_cbranch_execz .LBB127_23
; %bb.22:
	v_mov_b32_e32 v14, 0
	v_add_u32_e32 v3, v2, v4
	v_mov_b32_e32 v15, v14
	v_mov_b32_e32 v16, v14
	;; [unrolled: 1-line block ×3, first 2 shown]
	ds_write_b128 v3, v[14:17] offset:8448
.LBB127_23:
	s_andn2_saveexec_b64 s[0:1], s[0:1]
	s_cbranch_execz .LBB127_25
; %bb.24:
	s_lshl_b32 s4, s26, 4
	s_ashr_i32 s5, s4, 31
	v_lshl_add_u64 v[10:11], s[4:5], 4, v[0:1]
	global_load_dwordx4 v[14:17], v[10:11], off
	s_movk_i32 s4, 0x2100
	v_add3_u32 v3, v2, v4, s4
	s_waitcnt vmcnt(0)
	ds_write2_b64 v3, v[14:15], v[16:17] offset1:1
.LBB127_25:
	s_or_b64 exec, exec, s[0:1]
	v_add_u32_e32 v3, 24, v12
	v_cmp_le_i32_e64 s[0:1], s20, v3
	s_and_saveexec_b64 s[4:5], s[0:1]
	s_xor_b64 s[0:1], exec, s[4:5]
	s_cbranch_execz .LBB127_27
; %bb.26:
	v_mov_b32_e32 v14, 0
	v_add_u32_e32 v2, v2, v4
	v_mov_b32_e32 v15, v14
	v_mov_b32_e32 v16, v14
	v_mov_b32_e32 v17, v14
	ds_write_b128 v2, v[14:17] offset:12672
                                        ; implicit-def: $vgpr2
.LBB127_27:
	s_andn2_saveexec_b64 s[0:1], s[0:1]
	s_cbranch_execz .LBB127_29
; %bb.28:
	s_mul_i32 s4, s26, 24
	s_ashr_i32 s5, s4, 31
	v_lshl_add_u64 v[10:11], s[4:5], 4, v[0:1]
	global_load_dwordx4 v[14:17], v[10:11], off
	s_movk_i32 s4, 0x3180
	v_add3_u32 v2, v2, v4, s4
	s_waitcnt vmcnt(0)
	ds_write2_b64 v2, v[14:15], v[16:17] offset1:1
.LBB127_29:
	s_or_b64 exec, exec, s[0:1]
	v_mov_b32_e32 v5, 0
	v_lshl_add_u64 v[0:1], v[0:1], 0, v[4:5]
	s_lshl_b64 s[0:1], s[20:21], 4
	v_mov_b32_e32 v2, s1
	v_subrev_co_u32_e64 v0, s[0:1], s0, v0
	s_nop 1
	v_subb_co_u32_e64 v1, s[0:1], v1, v2, s[0:1]
	v_lshl_add_u64 v[0:1], v[0:1], 0, 16
	v_cndmask_b32_e32 v9, v1, v9, vcc
	v_cndmask_b32_e32 v8, v0, v8, vcc
.LBB127_30:
	v_lshlrev_b32_e32 v13, 2, v12
	v_lshl_or_b32 v1, v6, 9, v4
	v_cmp_lt_u32_e64 s[6:7], v13, v6
	s_waitcnt lgkmcnt(0)
	s_barrier
	s_and_saveexec_b64 s[0:1], s[6:7]
	s_cbranch_execz .LBB127_32
; %bb.31:
	s_movk_i32 s4, 0x840
	v_mad_u32_u24 v0, v12, s4, v4
	ds_read_b128 v[14:17], v0
	v_lshl_add_u32 v0, v13, 4, v1
	s_waitcnt lgkmcnt(0)
	ds_write_b128 v0, v[14:17]
.LBB127_32:
	s_or_b64 exec, exec, s[0:1]
	v_or_b32_e32 v0, 1, v13
	v_cmp_lt_u32_e64 s[8:9], v0, v6
	s_and_saveexec_b64 s[0:1], s[8:9]
	s_cbranch_execz .LBB127_34
; %bb.33:
	s_movk_i32 s4, 0x210
	v_mad_u32_u24 v2, v0, s4, v4
	ds_read_b128 v[14:17], v2
	v_lshl_add_u32 v2, v13, 4, v1
	s_waitcnt lgkmcnt(0)
	ds_write_b128 v2, v[14:17] offset:16
.LBB127_34:
	s_or_b64 exec, exec, s[0:1]
	v_or_b32_e32 v2, 2, v13
	v_cmp_lt_u32_e64 s[10:11], v2, v6
	s_and_saveexec_b64 s[0:1], s[10:11]
	s_cbranch_execz .LBB127_36
; %bb.35:
	s_movk_i32 s4, 0x210
	v_mad_u32_u24 v2, v2, s4, v4
	ds_read_b128 v[14:17], v2
	v_lshl_add_u32 v2, v13, 4, v1
	s_waitcnt lgkmcnt(0)
	ds_write_b128 v2, v[14:17] offset:32
.LBB127_36:
	s_or_b64 exec, exec, s[0:1]
	v_or_b32_e32 v3, 3, v13
	v_cmp_lt_u32_e64 s[12:13], v3, v6
	v_cmp_ge_u32_e32 vcc, v3, v6
                                        ; implicit-def: $vgpr2
	s_and_saveexec_b64 s[0:1], vcc
	s_xor_b64 s[0:1], exec, s[0:1]
; %bb.37:
	v_mul_u32_u24_e32 v2, 0x210, v3
                                        ; implicit-def: $vgpr1
                                        ; implicit-def: $vgpr3
; %bb.38:
	s_andn2_saveexec_b64 s[0:1], s[0:1]
	s_cbranch_execz .LBB127_40
; %bb.39:
	s_movk_i32 s4, 0x210
	v_mad_u32_u24 v2, v3, s4, v4
	ds_read_b128 v[14:17], v2
	v_lshl_add_u32 v1, v13, 4, v1
	v_mul_u32_u24_e32 v2, 0x210, v3
	s_waitcnt lgkmcnt(0)
	ds_write_b128 v1, v[14:17] offset:48
.LBB127_40:
	s_or_b64 exec, exec, s[0:1]
	s_movk_i32 s0, 0x840
	v_mad_u32_u24 v7, v12, s0, v4
	s_movk_i32 s0, 0x210
	v_lshlrev_b32_e32 v14, 4, v13
	v_mad_u32_u24 v15, v0, s0, v4
	s_waitcnt lgkmcnt(0)
	s_barrier
	ds_read_b128 v[16:19], v14 offset:18176
	ds_read_b128 v[20:23], v14 offset:18192
	ds_read_b128 v[24:27], v7
	ds_read_b128 v[28:31], v14 offset:18208
	ds_read_b128 v[32:35], v14 offset:18224
	ds_read_b128 v[44:47], v15
	v_cmp_gt_u32_e64 s[4:5], 32, v42
	s_waitcnt lgkmcnt(3)
	v_mul_f64 v[0:1], v[18:19], v[26:27]
	v_fma_f64 v[10:11], v[16:17], v[24:25], -v[0:1]
	v_mul_f64 v[16:17], v[16:17], v[26:27]
	v_fmac_f64_e32 v[16:17], v[18:19], v[24:25]
	s_waitcnt lgkmcnt(0)
	v_mul_f64 v[26:27], v[20:21], v[46:47]
	v_add_f64 v[16:17], v[16:17], 0
	v_mul_f64 v[18:19], v[22:23], v[46:47]
	v_fmac_f64_e32 v[26:27], v[22:23], v[44:45]
	v_add_f64 v[10:11], v[10:11], 0
	v_fma_f64 v[24:25], v[20:21], v[44:45], -v[18:19]
	ds_read_b128 v[18:21], v15 offset:528
	v_add_f64 v[26:27], v[16:17], v[26:27]
	v_add_u32_e32 v16, v4, v2
	v_add_f64 v[10:11], v[10:11], v[24:25]
	ds_read_b128 v[22:25], v16
	s_waitcnt lgkmcnt(1)
	v_mul_f64 v[2:3], v[30:31], v[20:21]
	v_mul_f64 v[20:21], v[28:29], v[20:21]
	v_fma_f64 v[2:3], v[28:29], v[18:19], -v[2:3]
	v_fmac_f64_e32 v[20:21], v[30:31], v[18:19]
	s_waitcnt lgkmcnt(0)
	v_mul_f64 v[18:19], v[34:35], v[24:25]
	v_add_f64 v[2:3], v[10:11], v[2:3]
	v_fma_f64 v[18:19], v[32:33], v[22:23], -v[18:19]
	v_add_f64 v[10:11], v[26:27], v[20:21]
	v_mul_f64 v[20:21], v[32:33], v[24:25]
	v_add_f64 v[18:19], v[2:3], v[18:19]
	v_mul_u32_u24_e32 v2, 33, v6
	v_fmac_f64_e32 v[20:21], v[34:35], v[22:23]
	v_lshlrev_b32_e32 v43, 4, v2
	v_mov_b64_e32 v[0:1], 0
	v_add_f64 v[20:21], v[10:11], v[20:21]
	v_lshl_add_u32 v44, v12, 4, v43
	v_mov_b64_e32 v[2:3], 0
	s_barrier
	ds_write_b128 v44, v[18:21]
	s_waitcnt lgkmcnt(0)
	s_barrier
	s_and_saveexec_b64 s[0:1], s[4:5]
	s_cbranch_execz .LBB127_42
; %bb.41:
	ds_read_b128 v[0:3], v43
	ds_read_b128 v[18:21], v43 offset:16
	ds_read_b128 v[22:25], v43 offset:32
	;; [unrolled: 1-line block ×3, first 2 shown]
	s_waitcnt lgkmcnt(2)
	v_add_f64 v[0:1], v[18:19], v[0:1]
	v_add_f64 v[10:11], v[20:21], v[2:3]
	s_waitcnt lgkmcnt(1)
	v_add_f64 v[18:19], v[0:1], v[22:23]
	ds_read_b128 v[0:3], v43 offset:64
	v_add_f64 v[10:11], v[10:11], v[24:25]
	s_waitcnt lgkmcnt(1)
	v_add_f64 v[22:23], v[18:19], v[26:27]
	ds_read_b128 v[18:21], v43 offset:80
	;; [unrolled: 4-line block ×3, first 2 shown]
	v_add_f64 v[10:11], v[10:11], v[2:3]
	ds_read_b128 v[0:3], v43 offset:112
	s_waitcnt lgkmcnt(2)
	v_add_f64 v[18:19], v[26:27], v[18:19]
	v_add_f64 v[10:11], v[10:11], v[20:21]
	s_waitcnt lgkmcnt(1)
	v_add_f64 v[18:19], v[18:19], v[22:23]
	v_add_f64 v[10:11], v[10:11], v[24:25]
	;; [unrolled: 3-line block ×3, first 2 shown]
.LBB127_42:
	s_or_b64 exec, exec, s[0:1]
	s_lshl_b32 s36, s26, 5
	s_ashr_i32 s37, s36, 31
	v_lshl_add_u64 v[10:11], s[36:37], 4, v[8:9]
	s_mov_b64 s[0:1], 0x200
	v_cndmask_b32_e64 v5, 0, 1, s[34:35]
	v_lshl_add_u64 v[8:9], v[10:11], 0, s[0:1]
	v_cmp_ne_u32_e64 s[14:15], 1, v5
	s_andn2_b64 vcc, exec, s[34:35]
	s_mov_b64 s[0:1], -1
	s_barrier
	s_cbranch_vccnz .LBB127_44
; %bb.43:
	s_lshl_b32 s0, s26, 3
	s_ashr_i32 s1, s0, 31
	s_ashr_i32 s27, s26, 31
	v_lshl_add_u64 v[30:31], s[0:1], 4, v[10:11]
	s_lshl_b64 s[0:1], s[26:27], 7
	global_load_dwordx4 v[18:21], v[8:9], off
	v_lshl_add_u64 v[32:33], v[30:31], 0, s[0:1]
	global_load_dwordx4 v[22:25], v[30:31], off offset:512
	global_load_dwordx4 v[26:29], v[32:33], off offset:512
	v_lshl_add_u64 v[30:31], v[32:33], 0, s[0:1]
	global_load_dwordx4 v[30:33], v[30:31], off offset:512
	s_movk_i32 s0, 0x210
	v_mad_u32_u24 v5, v12, s0, v4
	s_mov_b64 s[0:1], 0
	v_add_u32_e32 v17, 0x1080, v5
	v_add_u32_e32 v34, 0x2100, v5
	v_add_u32_e32 v35, 0x3180, v5
	s_waitcnt vmcnt(3)
	ds_write2_b64 v5, v[18:19], v[20:21] offset1:1
	s_waitcnt vmcnt(2)
	ds_write2_b64 v17, v[22:23], v[24:25] offset1:1
	;; [unrolled: 2-line block ×4, first 2 shown]
.LBB127_44:
	s_andn2_b64 vcc, exec, s[0:1]
	s_cbranch_vccnz .LBB127_62
; %bb.45:
	v_sub_co_u32_e32 v10, vcc, v10, v4
	s_ashr_i32 s21, s20, 31
	s_nop 0
	v_subbrev_co_u32_e32 v11, vcc, 0, v11, vcc
	v_or_b32_e32 v5, 32, v6
	v_lshl_add_u64 v[10:11], s[20:21], 4, v[10:11]
	v_lshl_add_u64 v[10:11], v[10:11], 0, -16
	v_cmp_gt_i32_e32 vcc, s20, v5
	s_sub_i32 s25, s20, 32
	s_movk_i32 s27, 0x210
	v_cndmask_b32_e32 v11, v11, v9, vcc
	v_cndmask_b32_e32 v10, v10, v8, vcc
	v_cmp_le_i32_e64 s[0:1], s25, v12
	v_mad_u32_u24 v5, v12, s27, v4
	s_and_saveexec_b64 s[34:35], s[0:1]
	s_xor_b64 s[0:1], exec, s[34:35]
; %bb.46:
	v_mov_b32_e32 v18, 0
	v_mov_b32_e32 v19, v18
	;; [unrolled: 1-line block ×4, first 2 shown]
	ds_write_b128 v5, v[18:21]
                                        ; implicit-def: $vgpr5
; %bb.47:
	s_andn2_saveexec_b64 s[0:1], s[0:1]
	s_cbranch_execz .LBB127_49
; %bb.48:
	global_load_dwordx4 v[18:21], v[10:11], off
	s_waitcnt vmcnt(0)
	ds_write2_b64 v5, v[18:19], v[20:21] offset1:1
.LBB127_49:
	s_or_b64 exec, exec, s[0:1]
	v_add_u32_e32 v17, 8, v12
	v_mul_u32_u24_e32 v5, 0x210, v12
	v_cmp_le_i32_e64 s[0:1], s25, v17
	s_and_saveexec_b64 s[34:35], s[0:1]
	s_xor_b64 s[0:1], exec, s[34:35]
	s_cbranch_execz .LBB127_51
; %bb.50:
	v_mov_b32_e32 v18, 0
	v_add_u32_e32 v17, v5, v4
	v_mov_b32_e32 v19, v18
	v_mov_b32_e32 v20, v18
	;; [unrolled: 1-line block ×3, first 2 shown]
	ds_write_b128 v17, v[18:21] offset:4224
.LBB127_51:
	s_andn2_saveexec_b64 s[0:1], s[0:1]
	s_cbranch_execz .LBB127_53
; %bb.52:
	s_lshl_b32 s34, s26, 3
	s_ashr_i32 s35, s34, 31
	v_lshl_add_u64 v[18:19], s[34:35], 4, v[10:11]
	global_load_dwordx4 v[18:21], v[18:19], off
	s_movk_i32 s27, 0x1080
	v_add3_u32 v17, v5, v4, s27
	s_waitcnt vmcnt(0)
	ds_write2_b64 v17, v[18:19], v[20:21] offset1:1
.LBB127_53:
	s_or_b64 exec, exec, s[0:1]
	v_add_u32_e32 v17, 16, v12
	v_cmp_le_i32_e64 s[0:1], s25, v17
	s_and_saveexec_b64 s[34:35], s[0:1]
	s_xor_b64 s[0:1], exec, s[34:35]
	s_cbranch_execz .LBB127_55
; %bb.54:
	v_mov_b32_e32 v18, 0
	v_add_u32_e32 v17, v5, v4
	v_mov_b32_e32 v19, v18
	v_mov_b32_e32 v20, v18
	;; [unrolled: 1-line block ×3, first 2 shown]
	ds_write_b128 v17, v[18:21] offset:8448
.LBB127_55:
	s_andn2_saveexec_b64 s[0:1], s[0:1]
	s_cbranch_execz .LBB127_57
; %bb.56:
	s_lshl_b32 s34, s26, 4
	s_ashr_i32 s35, s34, 31
	v_lshl_add_u64 v[18:19], s[34:35], 4, v[10:11]
	global_load_dwordx4 v[18:21], v[18:19], off
	s_movk_i32 s27, 0x2100
	v_add3_u32 v17, v5, v4, s27
	s_waitcnt vmcnt(0)
	ds_write2_b64 v17, v[18:19], v[20:21] offset1:1
.LBB127_57:
	s_or_b64 exec, exec, s[0:1]
	v_add_u32_e32 v17, 24, v12
	v_cmp_le_i32_e64 s[0:1], s25, v17
	s_and_saveexec_b64 s[34:35], s[0:1]
	s_xor_b64 s[0:1], exec, s[34:35]
	s_cbranch_execz .LBB127_59
; %bb.58:
	v_mov_b32_e32 v18, 0
	v_add_u32_e32 v5, v5, v4
	v_mov_b32_e32 v19, v18
	v_mov_b32_e32 v20, v18
	;; [unrolled: 1-line block ×3, first 2 shown]
	ds_write_b128 v5, v[18:21] offset:12672
                                        ; implicit-def: $vgpr5
.LBB127_59:
	s_andn2_saveexec_b64 s[0:1], s[0:1]
	s_cbranch_execz .LBB127_61
; %bb.60:
	s_mul_i32 s34, s26, 24
	s_ashr_i32 s35, s34, 31
	v_lshl_add_u64 v[18:19], s[34:35], 4, v[10:11]
	global_load_dwordx4 v[18:21], v[18:19], off
	s_movk_i32 s25, 0x3180
	v_add3_u32 v5, v5, v4, s25
	s_waitcnt vmcnt(0)
	ds_write2_b64 v5, v[18:19], v[20:21] offset1:1
.LBB127_61:
	s_or_b64 exec, exec, s[0:1]
	v_mov_b32_e32 v5, 0
	v_lshl_add_u64 v[10:11], v[10:11], 0, v[4:5]
	s_lshl_b64 s[0:1], s[20:21], 4
	v_mov_b32_e32 v5, s1
	v_subrev_co_u32_e64 v10, s[0:1], s0, v10
	s_nop 1
	v_subb_co_u32_e64 v11, s[0:1], v11, v5, s[0:1]
	s_mov_b64 s[0:1], 0x210
	s_nop 0
	v_lshl_add_u64 v[10:11], v[10:11], 0, s[0:1]
	v_cndmask_b32_e32 v9, v11, v9, vcc
	v_cndmask_b32_e32 v8, v10, v8, vcc
.LBB127_62:
	v_add_u32_e32 v14, 0x4700, v14
	v_add_u32_e32 v5, 0x210, v15
	s_waitcnt lgkmcnt(0)
	s_barrier
	s_and_saveexec_b64 s[0:1], s[6:7]
	s_cbranch_execnz .LBB127_71
; %bb.63:
	s_or_b64 exec, exec, s[0:1]
	s_and_saveexec_b64 s[0:1], s[8:9]
	s_cbranch_execnz .LBB127_72
.LBB127_64:
	s_or_b64 exec, exec, s[0:1]
	s_and_saveexec_b64 s[0:1], s[10:11]
	s_cbranch_execnz .LBB127_73
.LBB127_65:
	s_or_b64 exec, exec, s[0:1]
	s_and_saveexec_b64 s[0:1], s[12:13]
	s_cbranch_execz .LBB127_67
.LBB127_66:
	ds_read_b128 v[18:21], v16
	v_lshl_add_u32 v10, v13, 4, v43
	s_waitcnt lgkmcnt(0)
	ds_write_b128 v10, v[18:21] offset:48
.LBB127_67:
	s_or_b64 exec, exec, s[0:1]
	s_waitcnt lgkmcnt(0)
	s_barrier
	ds_read_b128 v[18:21], v14 offset:512
	ds_read_b128 v[22:25], v7
	ds_read_b128 v[26:29], v14 offset:528
	ds_read_b128 v[30:33], v14 offset:544
	;; [unrolled: 1-line block ×3, first 2 shown]
	ds_read_b128 v[50:53], v15
	v_cmp_eq_u32_e64 s[6:7], 1, v12
	s_waitcnt lgkmcnt(4)
	v_mul_f64 v[10:11], v[20:21], v[24:25]
	v_fma_f64 v[10:11], v[18:19], v[22:23], -v[10:11]
	v_mul_f64 v[18:19], v[18:19], v[24:25]
	v_fmac_f64_e32 v[18:19], v[20:21], v[22:23]
	v_add_f64 v[22:23], v[18:19], 0
	s_waitcnt lgkmcnt(0)
	v_mul_f64 v[18:19], v[28:29], v[52:53]
	v_fma_f64 v[24:25], v[26:27], v[50:51], -v[18:19]
	v_mul_f64 v[26:27], v[26:27], v[52:53]
	ds_read_b128 v[18:21], v5
	v_add_f64 v[10:11], v[10:11], 0
	v_fmac_f64_e32 v[26:27], v[28:29], v[50:51]
	v_add_f64 v[10:11], v[10:11], v[24:25]
	v_add_f64 v[26:27], v[22:23], v[26:27]
	ds_read_b128 v[22:25], v16
	s_waitcnt lgkmcnt(1)
	v_mul_f64 v[16:17], v[32:33], v[20:21]
	v_mul_f64 v[20:21], v[30:31], v[20:21]
	v_fma_f64 v[16:17], v[30:31], v[18:19], -v[16:17]
	v_fmac_f64_e32 v[20:21], v[32:33], v[18:19]
	v_add_f64 v[10:11], v[10:11], v[16:17]
	v_add_f64 v[18:19], v[26:27], v[20:21]
	s_waitcnt lgkmcnt(0)
	v_mul_f64 v[16:17], v[48:49], v[24:25]
	v_mul_f64 v[20:21], v[46:47], v[24:25]
	v_fma_f64 v[16:17], v[46:47], v[22:23], -v[16:17]
	v_fmac_f64_e32 v[20:21], v[48:49], v[22:23]
	v_add_f64 v[16:17], v[10:11], v[16:17]
	v_add_f64 v[18:19], v[18:19], v[20:21]
	s_barrier
	ds_write_b128 v44, v[16:19]
	s_waitcnt lgkmcnt(0)
	s_barrier
	s_and_saveexec_b64 s[0:1], s[6:7]
	s_cbranch_execz .LBB127_69
; %bb.68:
	ds_read_b128 v[0:3], v43
	ds_read_b128 v[16:19], v43 offset:16
	ds_read_b128 v[20:23], v43 offset:32
	;; [unrolled: 1-line block ×3, first 2 shown]
	s_waitcnt lgkmcnt(2)
	v_add_f64 v[0:1], v[16:17], v[0:1]
	v_add_f64 v[10:11], v[18:19], v[2:3]
	s_waitcnt lgkmcnt(1)
	v_add_f64 v[16:17], v[0:1], v[20:21]
	ds_read_b128 v[0:3], v43 offset:64
	v_add_f64 v[10:11], v[10:11], v[22:23]
	s_waitcnt lgkmcnt(1)
	v_add_f64 v[20:21], v[16:17], v[24:25]
	ds_read_b128 v[16:19], v43 offset:80
	;; [unrolled: 4-line block ×3, first 2 shown]
	v_add_f64 v[10:11], v[10:11], v[2:3]
	ds_read_b128 v[0:3], v43 offset:112
	s_waitcnt lgkmcnt(2)
	v_add_f64 v[16:17], v[24:25], v[16:17]
	v_add_f64 v[10:11], v[10:11], v[18:19]
	s_waitcnt lgkmcnt(1)
	v_add_f64 v[16:17], v[16:17], v[20:21]
	v_add_f64 v[10:11], v[10:11], v[22:23]
	;; [unrolled: 3-line block ×3, first 2 shown]
.LBB127_69:
	s_or_b64 exec, exec, s[0:1]
	s_lshl_b64 s[0:1], s[36:37], 4
	v_mov_b32_e32 v5, s1
	v_subrev_co_u32_e64 v40, s[0:1], s0, v8
	s_and_b64 vcc, exec, s[14:15]
	s_nop 0
	v_subb_co_u32_e64 v41, s[0:1], v9, v5, s[0:1]
	s_barrier
	s_cbranch_vccnz .LBB127_74
; %bb.70:
	s_lshl_b32 s0, s26, 3
	s_ashr_i32 s1, s0, 31
	s_ashr_i32 s27, s26, 31
	v_lshl_add_u64 v[8:9], s[0:1], 4, v[40:41]
	s_lshl_b64 s[0:1], s[26:27], 7
	global_load_dwordx4 v[16:19], v[40:41], off
	v_lshl_add_u64 v[10:11], v[8:9], 0, s[0:1]
	global_load_dwordx4 v[20:23], v[8:9], off
	global_load_dwordx4 v[24:27], v[10:11], off
	v_lshl_add_u64 v[8:9], v[10:11], 0, s[0:1]
	global_load_dwordx4 v[28:31], v[8:9], off
	s_movk_i32 s0, 0x210
	v_mov_b32_e32 v5, 0x1080
	v_mov_b32_e32 v15, 0x2100
	;; [unrolled: 1-line block ×3, first 2 shown]
	v_mul_u32_u24_e32 v9, 0x210, v12
	v_add_u32_e32 v8, 8, v12
	v_add_u32_e32 v10, 16, v12
	v_add_u32_e32 v11, 24, v12
	v_mad_u32_u24 v33, v12, s0, v4
	v_mad_u32_u24 v7, v12, s0, v5
	;; [unrolled: 1-line block ×4, first 2 shown]
	v_add_u32_e32 v32, v4, v7
	v_add_u32_e32 v34, v4, v5
	;; [unrolled: 1-line block ×3, first 2 shown]
	s_waitcnt vmcnt(3)
	ds_write2_b64 v33, v[16:17], v[18:19] offset1:1
	s_waitcnt vmcnt(2)
	ds_write2_b64 v32, v[20:21], v[22:23] offset1:1
	;; [unrolled: 2-line block ×4, first 2 shown]
	s_cbranch_execz .LBB127_75
	s_branch .LBB127_92
.LBB127_71:
	ds_read_b128 v[18:21], v7
	v_lshl_add_u32 v10, v13, 4, v43
	s_waitcnt lgkmcnt(0)
	ds_write_b128 v10, v[18:21]
	s_or_b64 exec, exec, s[0:1]
	s_and_saveexec_b64 s[0:1], s[8:9]
	s_cbranch_execz .LBB127_64
.LBB127_72:
	ds_read_b128 v[18:21], v15
	v_lshl_add_u32 v10, v13, 4, v43
	s_waitcnt lgkmcnt(0)
	ds_write_b128 v10, v[18:21] offset:16
	s_or_b64 exec, exec, s[0:1]
	s_and_saveexec_b64 s[0:1], s[10:11]
	s_cbranch_execz .LBB127_65
.LBB127_73:
	ds_read_b128 v[18:21], v5
	v_lshl_add_u32 v10, v13, 4, v43
	s_waitcnt lgkmcnt(0)
	ds_write_b128 v10, v[18:21] offset:32
	s_or_b64 exec, exec, s[0:1]
	s_and_saveexec_b64 s[0:1], s[12:13]
	s_cbranch_execnz .LBB127_66
	s_branch .LBB127_67
.LBB127_74:
                                        ; implicit-def: $vgpr9
                                        ; implicit-def: $vgpr8
                                        ; implicit-def: $vgpr7
                                        ; implicit-def: $vgpr10
                                        ; implicit-def: $vgpr5
                                        ; implicit-def: $vgpr11
                                        ; implicit-def: $vgpr15
.LBB127_75:
	v_or_b32_e32 v5, 32, v6
	v_sub_co_u32_e32 v6, vcc, v40, v4
	s_ashr_i32 s21, s20, 31
	s_nop 0
	v_subbrev_co_u32_e32 v7, vcc, 0, v41, vcc
	s_movk_i32 s0, 0xfdf0
	v_lshl_add_u64 v[6:7], s[20:21], 4, v[6:7]
	s_mov_b32 s1, -1
	v_lshl_add_u64 v[6:7], v[6:7], 0, s[0:1]
	v_cmp_gt_i32_e32 vcc, s20, v5
	s_movk_i32 s8, 0x210
	v_cmp_le_i32_e64 s[0:1], s20, v12
	v_cndmask_b32_e32 v7, v7, v41, vcc
	v_cndmask_b32_e32 v6, v6, v40, vcc
	v_mad_u32_u24 v5, v12, s8, v4
	s_and_saveexec_b64 s[8:9], s[0:1]
	s_xor_b64 s[0:1], exec, s[8:9]
; %bb.76:
	v_mov_b32_e32 v8, 0
	v_mov_b32_e32 v9, v8
	;; [unrolled: 1-line block ×4, first 2 shown]
	ds_write_b128 v5, v[8:11]
                                        ; implicit-def: $vgpr5
; %bb.77:
	s_andn2_saveexec_b64 s[0:1], s[0:1]
	s_cbranch_execz .LBB127_79
; %bb.78:
	global_load_dwordx4 v[8:11], v[6:7], off
	s_waitcnt vmcnt(0)
	ds_write2_b64 v5, v[8:9], v[10:11] offset1:1
.LBB127_79:
	s_or_b64 exec, exec, s[0:1]
	v_add_u32_e32 v8, 8, v12
	v_mul_u32_u24_e32 v9, 0x210, v12
	v_cmp_le_i32_e64 s[0:1], s20, v8
	s_and_saveexec_b64 s[8:9], s[0:1]
	s_xor_b64 s[0:1], exec, s[8:9]
	s_cbranch_execz .LBB127_81
; %bb.80:
	v_mov_b32_e32 v16, 0
	v_add_u32_e32 v5, v9, v4
	v_mov_b32_e32 v17, v16
	v_mov_b32_e32 v18, v16
	;; [unrolled: 1-line block ×3, first 2 shown]
	ds_write_b128 v5, v[16:19] offset:4224
.LBB127_81:
	s_andn2_saveexec_b64 s[0:1], s[0:1]
	s_cbranch_execz .LBB127_83
; %bb.82:
	s_lshl_b32 s8, s26, 3
	s_ashr_i32 s9, s8, 31
	v_lshl_add_u64 v[10:11], s[8:9], 4, v[6:7]
	global_load_dwordx4 v[16:19], v[10:11], off
	s_movk_i32 s8, 0x1080
	v_add3_u32 v5, v9, v4, s8
	s_waitcnt vmcnt(0)
	ds_write2_b64 v5, v[16:17], v[18:19] offset1:1
.LBB127_83:
	s_or_b64 exec, exec, s[0:1]
	v_add_u32_e32 v10, 16, v12
	v_cmp_le_i32_e64 s[0:1], s20, v10
	s_and_saveexec_b64 s[8:9], s[0:1]
	s_xor_b64 s[0:1], exec, s[8:9]
	s_cbranch_execz .LBB127_85
; %bb.84:
	v_mov_b32_e32 v16, 0
	v_add_u32_e32 v5, v9, v4
	v_mov_b32_e32 v17, v16
	v_mov_b32_e32 v18, v16
	;; [unrolled: 1-line block ×3, first 2 shown]
	ds_write_b128 v5, v[16:19] offset:8448
.LBB127_85:
	s_andn2_saveexec_b64 s[0:1], s[0:1]
	s_cbranch_execz .LBB127_87
; %bb.86:
	s_lshl_b32 s8, s26, 4
	s_ashr_i32 s9, s8, 31
	v_lshl_add_u64 v[16:17], s[8:9], 4, v[6:7]
	global_load_dwordx4 v[16:19], v[16:17], off
	s_movk_i32 s8, 0x2100
	v_add3_u32 v5, v9, v4, s8
	s_waitcnt vmcnt(0)
	ds_write2_b64 v5, v[16:17], v[18:19] offset1:1
.LBB127_87:
	s_or_b64 exec, exec, s[0:1]
	v_add_u32_e32 v11, 24, v12
	v_cmp_le_i32_e64 s[0:1], s20, v11
                                        ; implicit-def: $vgpr15
	s_and_saveexec_b64 s[8:9], s[0:1]
	s_xor_b64 s[0:1], exec, s[8:9]
	s_cbranch_execz .LBB127_89
; %bb.88:
	v_add_u32_e32 v15, 0x3180, v9
	v_mov_b32_e32 v16, 0
	v_add_u32_e32 v5, v4, v15
	v_mov_b32_e32 v17, v16
	v_mov_b32_e32 v18, v16
	v_mov_b32_e32 v19, v16
	ds_write_b128 v5, v[16:19]
.LBB127_89:
	s_andn2_saveexec_b64 s[0:1], s[0:1]
	s_cbranch_execz .LBB127_91
; %bb.90:
	s_mul_i32 s8, s26, 24
	s_ashr_i32 s9, s8, 31
	v_lshl_add_u64 v[16:17], s[8:9], 4, v[6:7]
	global_load_dwordx4 v[16:19], v[16:17], off
	v_add_u32_e32 v15, 0x3180, v9
	v_add_u32_e32 v5, v4, v15
	s_waitcnt vmcnt(0)
	ds_write2_b64 v5, v[16:17], v[18:19] offset1:1
.LBB127_91:
	s_or_b64 exec, exec, s[0:1]
	v_mov_b32_e32 v5, 0
	v_lshl_add_u64 v[6:7], v[6:7], 0, v[4:5]
	s_lshl_b64 s[0:1], s[20:21], 4
	v_mov_b32_e32 v5, s1
	v_subrev_co_u32_e64 v6, s[0:1], s0, v6
	s_nop 1
	v_subb_co_u32_e64 v7, s[0:1], v7, v5, s[0:1]
	s_mov_b64 s[0:1], 0x210
	s_nop 0
	v_lshl_add_u64 v[6:7], v[6:7], 0, s[0:1]
	v_cndmask_b32_e32 v41, v7, v41, vcc
	v_cndmask_b32_e32 v40, v6, v40, vcc
	v_add_u32_e32 v7, 0x1080, v9
	v_add_u32_e32 v5, 0x2100, v9
.LBB127_92:
	v_add_u32_e32 v6, v4, v9
	v_lshlrev_b32_e32 v9, 4, v12
	s_waitcnt lgkmcnt(0)
	s_barrier
	ds_read_b128 v[20:23], v9 offset:18176
	ds_read_b128 v[24:27], v6
	v_add_u32_e32 v6, v4, v7
	v_lshlrev_b32_e32 v7, 4, v8
	ds_read_b128 v[46:49], v7 offset:18176
	ds_read_b128 v[50:53], v6
	v_lshlrev_b32_e32 v10, 4, v10
	v_add_u32_e32 v5, v4, v5
	ds_read_b128 v[54:57], v10 offset:18176
	ds_read_b128 v[58:61], v5
	v_lshlrev_b32_e32 v5, 4, v11
	s_waitcnt lgkmcnt(4)
	v_mul_f64 v[6:7], v[22:23], v[26:27]
	v_add_u32_e32 v4, v4, v15
	ds_read_b128 v[62:65], v5 offset:18176
	ds_read2_b64 v[66:69], v4 offset1:1
	v_fma_f64 v[6:7], v[20:21], v[24:25], -v[6:7]
	s_waitcnt lgkmcnt(4)
	v_mul_f64 v[8:9], v[48:49], v[52:53]
	v_add_f64 v[6:7], v[6:7], 0
	v_fma_f64 v[8:9], v[46:47], v[50:51], -v[8:9]
	v_add_f64 v[4:5], v[6:7], v[8:9]
	s_waitcnt lgkmcnt(2)
	v_mul_f64 v[6:7], v[56:57], v[60:61]
	v_fma_f64 v[6:7], v[54:55], v[58:59], -v[6:7]
	v_add_f64 v[4:5], v[4:5], v[6:7]
	s_waitcnt lgkmcnt(0)
	v_mul_f64 v[6:7], v[64:65], v[68:69]
	v_fma_f64 v[6:7], v[62:63], v[66:67], -v[6:7]
	v_add_f64 v[70:71], v[4:5], v[6:7]
	v_lshl_add_u32 v4, v13, 4, v43
	v_mul_f64 v[72:73], v[20:21], v[26:27]
	ds_read_b128 v[28:31], v4
	ds_read_b128 v[16:19], v4 offset:16
	ds_read_b128 v[8:11], v4 offset:32
	;; [unrolled: 1-line block ×3, first 2 shown]
	v_fmac_f64_e32 v[72:73], v[22:23], v[24:25]
	v_mul_f64 v[46:47], v[46:47], v[52:53]
	v_fmac_f64_e32 v[46:47], v[48:49], v[50:51]
	v_add_f64 v[48:49], v[72:73], 0
	ds_read_b128 v[32:35], v14 offset:512
	ds_read_b128 v[24:27], v14 offset:528
	;; [unrolled: 1-line block ×4, first 2 shown]
	v_add_f64 v[46:47], v[48:49], v[46:47]
	v_mul_f64 v[48:49], v[54:55], v[60:61]
	v_fmac_f64_e32 v[48:49], v[56:57], v[58:59]
	v_add_f64 v[46:47], v[46:47], v[48:49]
	v_mul_f64 v[48:49], v[62:63], v[68:69]
	v_fmac_f64_e32 v[48:49], v[64:65], v[66:67]
	v_add_f64 v[72:73], v[46:47], v[48:49]
	s_waitcnt lgkmcnt(0)
	s_barrier
	ds_write_b128 v44, v[70:73]
	s_waitcnt lgkmcnt(0)
	s_barrier
	s_and_saveexec_b64 s[0:1], s[6:7]
	s_cbranch_execz .LBB127_94
; %bb.93:
	ds_read_b128 v[46:49], v43
	ds_read_b128 v[50:53], v43 offset:16
	ds_read_b128 v[54:57], v43 offset:32
	;; [unrolled: 1-line block ×3, first 2 shown]
	s_waitcnt lgkmcnt(3)
	v_add_f64 v[0:1], v[0:1], v[46:47]
	v_add_f64 v[2:3], v[2:3], v[48:49]
	s_waitcnt lgkmcnt(2)
	v_add_f64 v[0:1], v[0:1], v[50:51]
	v_add_f64 v[46:47], v[2:3], v[52:53]
	s_waitcnt lgkmcnt(1)
	v_add_f64 v[48:49], v[0:1], v[54:55]
	ds_read_b128 v[0:3], v43 offset:64
	v_add_f64 v[46:47], v[46:47], v[56:57]
	s_waitcnt lgkmcnt(1)
	v_add_f64 v[50:51], v[48:49], v[58:59]
	v_add_f64 v[54:55], v[46:47], v[60:61]
	ds_read_b128 v[46:49], v43 offset:80
	s_waitcnt lgkmcnt(1)
	v_add_f64 v[56:57], v[50:51], v[0:1]
	ds_read_b128 v[50:53], v43 offset:96
	v_add_f64 v[54:55], v[54:55], v[2:3]
	ds_read_b128 v[0:3], v43 offset:112
	s_waitcnt lgkmcnt(2)
	v_add_f64 v[46:47], v[56:57], v[46:47]
	v_add_f64 v[48:49], v[54:55], v[48:49]
	s_waitcnt lgkmcnt(1)
	v_add_f64 v[46:47], v[46:47], v[50:51]
	v_add_f64 v[48:49], v[48:49], v[52:53]
	s_waitcnt lgkmcnt(0)
	v_add_f64 v[0:1], v[46:47], v[0:1]
	v_add_f64 v[2:3], v[48:49], v[2:3]
.LBB127_94:
	s_or_b64 exec, exec, s[0:1]
	v_mul_f64 v[46:47], v[30:31], v[34:35]
	v_fma_f64 v[46:47], v[28:29], v[32:33], -v[46:47]
	v_mul_f64 v[28:29], v[28:29], v[34:35]
	v_fmac_f64_e32 v[28:29], v[30:31], v[32:33]
	v_mul_f64 v[32:33], v[18:19], v[26:27]
	v_fma_f64 v[32:33], v[16:17], v[24:25], -v[32:33]
	v_mul_f64 v[16:17], v[16:17], v[26:27]
	v_fmac_f64_e32 v[16:17], v[18:19], v[24:25]
	v_mul_f64 v[24:25], v[10:11], v[22:23]
	v_add_f64 v[28:29], v[28:29], 0
	v_fma_f64 v[24:25], v[8:9], v[20:21], -v[24:25]
	v_mul_f64 v[8:9], v[8:9], v[22:23]
	v_add_f64 v[30:31], v[46:47], 0
	v_add_f64 v[16:17], v[28:29], v[16:17]
	v_fmac_f64_e32 v[8:9], v[10:11], v[20:21]
	v_add_f64 v[18:19], v[30:31], v[32:33]
	v_add_f64 v[8:9], v[16:17], v[8:9]
	v_mul_f64 v[16:17], v[6:7], v[14:15]
	v_mul_f64 v[14:15], v[4:5], v[14:15]
	v_add_f64 v[10:11], v[18:19], v[24:25]
	v_fma_f64 v[16:17], v[4:5], v[12:13], -v[16:17]
	v_fmac_f64_e32 v[14:15], v[6:7], v[12:13]
	v_add_f64 v[4:5], v[10:11], v[16:17]
	v_add_f64 v[6:7], v[8:9], v[14:15]
	s_barrier
	ds_write_b128 v44, v[4:7]
	s_waitcnt lgkmcnt(0)
	s_barrier
	s_and_saveexec_b64 s[0:1], s[4:5]
	s_cbranch_execz .LBB127_96
; %bb.95:
	ds_read_b128 v[4:7], v43
	ds_read_b128 v[8:11], v43 offset:16
	ds_read_b128 v[12:15], v43 offset:32
	;; [unrolled: 1-line block ×3, first 2 shown]
	s_waitcnt lgkmcnt(3)
	v_add_f64 v[0:1], v[0:1], v[4:5]
	v_add_f64 v[2:3], v[2:3], v[6:7]
	s_waitcnt lgkmcnt(2)
	v_add_f64 v[0:1], v[0:1], v[8:9]
	v_add_f64 v[4:5], v[2:3], v[10:11]
	s_waitcnt lgkmcnt(1)
	v_add_f64 v[6:7], v[0:1], v[12:13]
	ds_read_b128 v[0:3], v43 offset:64
	v_add_f64 v[4:5], v[4:5], v[14:15]
	s_waitcnt lgkmcnt(1)
	v_add_f64 v[8:9], v[6:7], v[16:17]
	v_add_f64 v[12:13], v[4:5], v[18:19]
	ds_read_b128 v[4:7], v43 offset:80
	s_waitcnt lgkmcnt(1)
	v_add_f64 v[14:15], v[8:9], v[0:1]
	ds_read_b128 v[8:11], v43 offset:96
	v_add_f64 v[12:13], v[12:13], v[2:3]
	ds_read_b128 v[0:3], v43 offset:112
	s_waitcnt lgkmcnt(2)
	v_add_f64 v[4:5], v[14:15], v[4:5]
	v_add_f64 v[6:7], v[12:13], v[6:7]
	s_waitcnt lgkmcnt(1)
	v_add_f64 v[4:5], v[4:5], v[8:9]
	v_add_f64 v[6:7], v[6:7], v[10:11]
	s_waitcnt lgkmcnt(0)
	v_add_f64 v[0:1], v[4:5], v[0:1]
	v_add_f64 v[2:3], v[6:7], v[2:3]
.LBB127_96:
	s_or_b64 exec, exec, s[0:1]
	s_mul_hi_u32 s0, s38, s3
	s_mul_i32 s40, s40, s3
	s_add_i32 s0, s0, s40
	s_mul_i32 s3, s38, s3
	s_mul_i32 s0, s0, s39
	s_mul_hi_u32 s1, s3, s39
	s_add_i32 s1, s1, s0
	s_mul_i32 s0, s3, s39
	s_lshl_b64 s[0:1], s[0:1], 4
	s_add_u32 s3, s22, s0
	s_mul_i32 s0, s38, s2
	s_addc_u32 s4, s23, s1
	s_ashr_i32 s1, s0, 31
	s_lshl_b64 s[0:1], s[0:1], 4
	s_add_u32 s6, s3, s0
	v_cmp_le_i32_e32 vcc, s20, v150
	s_addc_u32 s7, s4, s1
	s_and_b64 vcc, s[30:31], vcc
	s_cmp_lt_i32 s2, 1
	v_lshlrev_b32_e32 v156, 4, v150
	s_barrier
	s_cbranch_scc1 .LBB127_103
; %bb.97:
	s_mul_i32 s0, s33, s24
	s_ashr_i32 s1, s0, 31
	s_lshl_b64 s[0:1], s[0:1], 4
	v_mov_b32_e32 v4, s1
	v_subrev_co_u32_e64 v152, s[0:1], s0, v36
	s_ashr_i32 s21, s20, 31
	s_nop 0
	v_subb_co_u32_e64 v153, s[0:1], v37, v4, s[0:1]
	s_lshl_b64 s[0:1], s[28:29], 4
	s_nop 0
	v_mov_b32_e32 v4, s1
	v_subrev_co_u32_e64 v6, s[0:1], s0, v40
	v_lshrrev_b32_e32 v10, 4, v42
	s_nop 0
	v_subb_co_u32_e64 v7, s[0:1], v41, v4, s[0:1]
	v_lshlrev_b64 v[4:5], 4, v[38:39]
	v_sub_co_u32_e64 v4, s[0:1], v6, v4
	v_mul_lo_u32 v6, v149, s26
	s_nop 0
	v_subb_co_u32_e64 v5, s[0:1], v7, v5, s[0:1]
	v_lshl_add_u32 v6, v6, 2, v150
	v_ashrrev_i32_e32 v7, 31, v6
	s_movk_i32 s0, 0xfe00
	v_lshl_add_u64 v[4:5], v[6:7], 4, v[4:5]
	s_mov_b32 s1, -1
	v_lshl_add_u64 v[6:7], v[4:5], 0, s[0:1]
	v_sub_co_u32_e64 v4, s[0:1], v4, v156
	v_and_b32_e32 v11, 15, v150
	s_nop 0
	v_subbrev_co_u32_e64 v5, s[0:1], 0, v5, s[0:1]
	s_movk_i32 s0, 0xfdf0
	v_lshl_add_u64 v[4:5], s[20:21], 4, v[4:5]
	s_mov_b32 s1, -1
	v_lshl_add_u64 v[4:5], v[4:5], 0, s[0:1]
	v_cndmask_b32_e32 v9, v7, v5, vcc
	v_cndmask_b32_e32 v8, v6, v4, vcc
	v_mov_b32_e32 v4, 0x4300
	s_movk_i32 s0, 0x10c0
	v_and_b32_e32 v5, 48, v150
	v_lshl_add_u32 v158, v149, 6, v4
	v_mad_u32_u24 v160, v149, s0, v156
	v_lshlrev_b32_e32 v4, 6, v10
	s_movk_i32 s0, 0x430
	v_lshlrev_b32_e32 v5, 4, v5
	v_mad_u32_u24 v161, v11, s0, v4
	v_mul_i32_i24_e32 v4, 0xffffffd0, v10
	v_mad_u32_u24 v162, v11, s0, v5
	v_or_b32_e32 v5, 0xf0, v156
	s_ashr_i32 s27, s26, 31
	v_mov_b32_e32 v151, 0
	s_lshl_b32 s3, s33, 6
	v_add_u32_e32 v157, 0x4300, v156
	v_add_u32_e32 v159, 0x4700, v156
	v_cmp_gt_u32_e64 s[4:5], 64, v42
	v_mad_u32_u24 v163, v11, s0, v5
	s_lshl_b64 s[0:1], s[26:27], 4
	s_mul_hi_i32 s9, s26, 0xd0
	s_mul_i32 s8, s26, 0xd0
	s_mov_b32 s10, 0
	v_add_u32_e32 v164, v161, v4
	s_branch .LBB127_99
.LBB127_98:                             ;   in Loop: Header=BB127_99 Depth=1
	s_or_b64 exec, exec, s[12:13]
	v_mul_f64 v[132:133], v[6:7], v[34:35]
	v_fma_f64 v[132:133], v[4:5], v[32:33], -v[132:133]
	v_mul_f64 v[4:5], v[4:5], v[34:35]
	v_mul_f64 v[34:35], v[10:11], v[30:31]
	v_add_f64 v[0:1], v[0:1], v[132:133]
	v_fma_f64 v[34:35], v[8:9], v[28:29], -v[34:35]
	v_mul_f64 v[8:9], v[8:9], v[30:31]
	v_mul_f64 v[30:31], v[14:15], v[26:27]
	v_add_f64 v[0:1], v[0:1], v[34:35]
	v_fma_f64 v[30:31], v[12:13], v[24:25], -v[30:31]
	v_mul_f64 v[12:13], v[12:13], v[26:27]
	v_mul_f64 v[26:27], v[18:19], v[22:23]
	v_fmac_f64_e32 v[4:5], v[6:7], v[32:33]
	v_add_f64 v[0:1], v[0:1], v[30:31]
	v_fma_f64 v[26:27], v[16:17], v[20:21], -v[26:27]
	v_add_f64 v[2:3], v[2:3], v[4:5]
	v_mul_f64 v[4:5], v[38:39], v[70:71]
	v_add_f64 v[0:1], v[0:1], v[26:27]
	v_fma_f64 v[4:5], v[36:37], v[68:69], -v[4:5]
	v_add_f64 v[0:1], v[0:1], v[4:5]
	v_mul_f64 v[4:5], v[42:43], v[66:67]
	v_fma_f64 v[4:5], v[40:41], v[64:65], -v[4:5]
	v_add_f64 v[0:1], v[0:1], v[4:5]
	v_mul_f64 v[4:5], v[46:47], v[58:59]
	;; [unrolled: 3-line block ×4, first 2 shown]
	v_fmac_f64_e32 v[8:9], v[10:11], v[28:29]
	v_fma_f64 v[4:5], v[60:61], v[108:109], -v[4:5]
	v_mul_f64 v[16:17], v[16:17], v[22:23]
	v_add_f64 v[2:3], v[2:3], v[8:9]
	v_fmac_f64_e32 v[12:13], v[14:15], v[24:25]
	v_add_f64 v[0:1], v[0:1], v[4:5]
	v_mul_f64 v[4:5], v[74:75], v[106:107]
	v_add_f64 v[2:3], v[2:3], v[12:13]
	v_fmac_f64_e32 v[16:17], v[18:19], v[20:21]
	v_mul_f64 v[6:7], v[36:37], v[70:71]
	v_fma_f64 v[4:5], v[72:73], v[104:105], -v[4:5]
	v_add_f64 v[2:3], v[2:3], v[16:17]
	v_mul_f64 v[8:9], v[40:41], v[66:67]
	v_fmac_f64_e32 v[6:7], v[38:39], v[68:69]
	v_add_f64 v[0:1], v[0:1], v[4:5]
	v_mul_f64 v[4:5], v[78:79], v[98:99]
	v_mul_f64 v[10:11], v[44:45], v[58:59]
	v_add_f64 v[2:3], v[2:3], v[6:7]
	v_fmac_f64_e32 v[8:9], v[42:43], v[64:65]
	v_fma_f64 v[4:5], v[76:77], v[96:97], -v[4:5]
	v_mul_f64 v[12:13], v[48:49], v[54:55]
	v_add_f64 v[2:3], v[2:3], v[8:9]
	v_fmac_f64_e32 v[10:11], v[46:47], v[56:57]
	v_add_f64 v[0:1], v[0:1], v[4:5]
	v_mul_f64 v[4:5], v[82:83], v[86:87]
	v_add_f64 v[2:3], v[2:3], v[10:11]
	v_fmac_f64_e32 v[12:13], v[50:51], v[52:53]
	v_mul_f64 v[6:7], v[60:61], v[110:111]
	v_fma_f64 v[4:5], v[80:81], v[84:85], -v[4:5]
	v_add_f64 v[2:3], v[2:3], v[12:13]
	v_mul_f64 v[8:9], v[72:73], v[106:107]
	v_add_f64 v[0:1], v[0:1], v[4:5]
	v_fmac_f64_e32 v[6:7], v[62:63], v[108:109]
	v_mul_f64 v[4:5], v[90:91], v[118:119]
	v_mul_f64 v[10:11], v[76:77], v[98:99]
	v_add_f64 v[2:3], v[2:3], v[6:7]
	v_fmac_f64_e32 v[8:9], v[74:75], v[104:105]
	v_fma_f64 v[4:5], v[88:89], v[116:117], -v[4:5]
	v_mul_f64 v[12:13], v[80:81], v[86:87]
	v_add_f64 v[2:3], v[2:3], v[8:9]
	v_fmac_f64_e32 v[10:11], v[78:79], v[96:97]
	v_add_f64 v[0:1], v[0:1], v[4:5]
	v_mul_f64 v[4:5], v[94:95], v[122:123]
	v_add_f64 v[2:3], v[2:3], v[10:11]
	v_fmac_f64_e32 v[12:13], v[82:83], v[84:85]
	v_mul_f64 v[6:7], v[88:89], v[118:119]
	v_fma_f64 v[4:5], v[92:93], v[120:121], -v[4:5]
	v_add_f64 v[2:3], v[2:3], v[12:13]
	v_mul_f64 v[8:9], v[92:93], v[122:123]
	v_add_f64 v[0:1], v[0:1], v[4:5]
	v_mul_f64 v[4:5], v[102:103], v[126:127]
	v_fmac_f64_e32 v[6:7], v[90:91], v[116:117]
	v_fma_f64 v[4:5], v[100:101], v[124:125], -v[4:5]
	v_mul_f64 v[10:11], v[100:101], v[126:127]
	v_fmac_f64_e32 v[8:9], v[94:95], v[120:121]
	v_add_f64 v[2:3], v[2:3], v[6:7]
	v_add_f64 v[0:1], v[0:1], v[4:5]
	v_mul_f64 v[4:5], v[114:115], v[130:131]
	v_mul_f64 v[12:13], v[112:113], v[130:131]
	v_fmac_f64_e32 v[10:11], v[102:103], v[124:125]
	v_add_f64 v[2:3], v[2:3], v[8:9]
	v_fma_f64 v[4:5], v[112:113], v[128:129], -v[4:5]
	v_fmac_f64_e32 v[12:13], v[114:115], v[128:129]
	v_add_f64 v[2:3], v[2:3], v[10:11]
	s_add_i32 s2, s2, -1
	s_add_i32 s10, s10, s3
	v_add_f64 v[0:1], v[0:1], v[4:5]
	v_add_f64 v[2:3], v[2:3], v[12:13]
	v_add_u32_e32 v150, 64, v150
	s_cmp_eq_u32 s2, 0
	v_lshl_add_u64 v[8:9], v[154:155], 0, s[8:9]
	s_barrier
	s_cbranch_scc1 .LBB127_103
.LBB127_99:                             ; =>This Inner Loop Header: Depth=1
	s_and_saveexec_b64 s[12:13], s[18:19]
	s_cbranch_execz .LBB127_101
; %bb.100:                              ;   in Loop: Header=BB127_99 Depth=1
	s_ashr_i32 s11, s10, 31
	v_lshl_add_u64 v[4:5], s[10:11], 4, v[152:153]
	global_load_dwordx4 v[4:7], v[4:5], off
	s_waitcnt vmcnt(0)
	ds_write2_b64 v157, v[4:5], v[6:7] offset1:1
.LBB127_101:                            ;   in Loop: Header=BB127_99 Depth=1
	s_or_b64 exec, exec, s[12:13]
	s_waitcnt lgkmcnt(0)
	s_barrier
	global_load_dwordx4 v[4:7], v[8:9], off
	v_lshl_add_u64 v[12:13], v[8:9], 0, s[0:1]
	global_load_dwordx4 v[8:11], v[12:13], off
	v_lshl_add_u64 v[16:17], v[12:13], 0, s[0:1]
	global_load_dwordx4 v[12:15], v[16:17], off
	v_lshl_add_u64 v[40:41], v[16:17], 0, s[0:1]
	global_load_dwordx4 v[16:19], v[40:41], off
	ds_read_b128 v[36:39], v159
	ds_read_b128 v[32:35], v158
	ds_read_b128 v[28:31], v158 offset:16
	ds_read_b128 v[24:27], v158 offset:32
	;; [unrolled: 1-line block ×3, first 2 shown]
	v_lshl_add_u64 v[48:49], v[40:41], 0, s[8:9]
	s_waitcnt vmcnt(3) lgkmcnt(4)
	v_mul_f64 v[40:41], v[6:7], v[38:39]
	v_mul_f64 v[42:43], v[4:5], v[38:39]
	v_fma_f64 v[40:41], v[4:5], v[36:37], -v[40:41]
	v_fmac_f64_e32 v[42:43], v[6:7], v[36:37]
	s_waitcnt vmcnt(2)
	v_mul_f64 v[46:47], v[10:11], v[38:39]
	v_mul_f64 v[44:45], v[8:9], v[38:39]
	ds_write_b128 v160, v[40:43]
	v_fma_f64 v[42:43], v[8:9], v[36:37], -v[46:47]
	v_fmac_f64_e32 v[44:45], v[10:11], v[36:37]
	s_waitcnt vmcnt(1)
	v_mul_f64 v[40:41], v[14:15], v[38:39]
	v_mul_f64 v[46:47], v[12:13], v[38:39]
	ds_write_b128 v160, v[42:45] offset:1072
	v_fma_f64 v[44:45], v[12:13], v[36:37], -v[40:41]
	v_fmac_f64_e32 v[46:47], v[14:15], v[36:37]
	s_waitcnt vmcnt(0)
	v_mul_f64 v[42:43], v[18:19], v[38:39]
	v_mul_f64 v[40:41], v[16:17], v[38:39]
	ds_write_b128 v160, v[44:47] offset:2144
	v_fma_f64 v[38:39], v[16:17], v[36:37], -v[42:43]
	v_fmac_f64_e32 v[40:41], v[18:19], v[36:37]
	v_lshl_add_u64 v[44:45], v[48:49], 0, s[0:1]
	ds_write_b128 v160, v[38:41] offset:3216
	s_waitcnt lgkmcnt(0)
	s_barrier
	ds_read_b128 v[128:131], v161
	ds_read_b128 v[124:127], v161 offset:16
	ds_read_b128 v[120:123], v161 offset:32
	ds_read_b128 v[116:119], v161 offset:48
	s_waitcnt lgkmcnt(0)
	s_barrier
	global_load_dwordx4 v[36:39], v[48:49], off
	global_load_dwordx4 v[40:43], v[44:45], off
	v_lshl_add_u64 v[48:49], v[44:45], 0, s[0:1]
	v_lshl_add_u64 v[52:53], v[48:49], 0, s[0:1]
	global_load_dwordx4 v[44:47], v[48:49], off
	v_lshl_add_u64 v[88:89], v[52:53], 0, s[8:9]
	global_load_dwordx4 v[48:51], v[52:53], off
	ds_read_b128 v[60:63], v159
	ds_read_b128 v[68:71], v158 offset:256
	ds_read_b128 v[64:67], v158 offset:272
	;; [unrolled: 1-line block ×4, first 2 shown]
	v_add_f64 v[128:129], v[128:129], 0
	v_add_f64 v[130:131], v[130:131], 0
	v_add_f64 v[124:125], v[128:129], v[124:125]
	v_add_f64 v[126:127], v[130:131], v[126:127]
	v_add_f64 v[120:121], v[124:125], v[120:121]
	v_add_f64 v[122:123], v[126:127], v[122:123]
	v_add_f64 v[182:183], v[120:121], v[116:117]
	v_add_f64 v[184:185], v[122:123], v[118:119]
	s_waitcnt vmcnt(3) lgkmcnt(4)
	v_mul_f64 v[72:73], v[38:39], v[62:63]
	v_mul_f64 v[74:75], v[36:37], v[62:63]
	s_waitcnt vmcnt(2)
	v_mul_f64 v[76:77], v[42:43], v[62:63]
	v_mul_f64 v[78:79], v[40:41], v[62:63]
	s_waitcnt vmcnt(1)
	;; [unrolled: 3-line block ×3, first 2 shown]
	v_mul_f64 v[84:85], v[50:51], v[62:63]
	v_mul_f64 v[86:87], v[48:49], v[62:63]
	v_fma_f64 v[72:73], v[36:37], v[60:61], -v[72:73]
	v_fma_f64 v[76:77], v[40:41], v[60:61], -v[76:77]
	v_fmac_f64_e32 v[74:75], v[38:39], v[60:61]
	v_fma_f64 v[80:81], v[44:45], v[60:61], -v[80:81]
	v_fma_f64 v[84:85], v[48:49], v[60:61], -v[84:85]
	v_fmac_f64_e32 v[78:79], v[42:43], v[60:61]
	v_fmac_f64_e32 v[82:83], v[46:47], v[60:61]
	;; [unrolled: 1-line block ×3, first 2 shown]
	ds_write_b128 v160, v[72:75]
	ds_write_b128 v160, v[76:79] offset:1072
	ds_write_b128 v160, v[80:83] offset:2144
	;; [unrolled: 1-line block ×3, first 2 shown]
	v_lshl_add_u64 v[76:77], v[88:89], 0, s[0:1]
	v_lshl_add_u64 v[80:81], v[76:77], 0, s[0:1]
	s_waitcnt lgkmcnt(0)
	s_barrier
	ds_read_b128 v[144:147], v161
	ds_read_b128 v[140:143], v161 offset:16
	ds_read_b128 v[136:139], v161 offset:32
	ds_read_b128 v[132:135], v161 offset:48
	s_waitcnt lgkmcnt(0)
	s_barrier
	global_load_dwordx4 v[60:63], v[88:89], off
	global_load_dwordx4 v[72:75], v[76:77], off
	v_lshl_add_u64 v[84:85], v[80:81], 0, s[0:1]
	global_load_dwordx4 v[76:79], v[80:81], off
	v_lshl_add_u64 v[94:95], v[84:85], 0, s[8:9]
	global_load_dwordx4 v[80:83], v[84:85], off
	ds_read_b128 v[88:91], v159
	ds_read_b128 v[108:111], v158 offset:512
	ds_read_b128 v[104:107], v158 offset:528
	;; [unrolled: 1-line block ×4, first 2 shown]
	v_add_f64 v[116:117], v[144:145], 0
	v_add_f64 v[118:119], v[146:147], 0
	;; [unrolled: 1-line block ×8, first 2 shown]
	s_waitcnt vmcnt(3) lgkmcnt(4)
	v_mul_f64 v[100:101], v[62:63], v[90:91]
	v_mul_f64 v[92:93], v[60:61], v[90:91]
	s_waitcnt vmcnt(2)
	v_mul_f64 v[112:113], v[74:75], v[90:91]
	v_mul_f64 v[102:103], v[72:73], v[90:91]
	s_waitcnt vmcnt(1)
	v_mul_f64 v[154:155], v[78:79], v[90:91]
	v_mul_f64 v[114:115], v[76:77], v[90:91]
	s_waitcnt vmcnt(0)
	v_mul_f64 v[166:167], v[82:83], v[90:91]
	v_mul_f64 v[168:169], v[80:81], v[90:91]
	v_fma_f64 v[90:91], v[60:61], v[88:89], -v[100:101]
	v_fma_f64 v[100:101], v[72:73], v[88:89], -v[112:113]
	v_fmac_f64_e32 v[92:93], v[62:63], v[88:89]
	v_fma_f64 v[112:113], v[76:77], v[88:89], -v[154:155]
	v_fma_f64 v[166:167], v[80:81], v[88:89], -v[166:167]
	v_fmac_f64_e32 v[102:103], v[74:75], v[88:89]
	v_fmac_f64_e32 v[114:115], v[78:79], v[88:89]
	;; [unrolled: 1-line block ×3, first 2 shown]
	ds_write_b128 v160, v[90:93]
	ds_write_b128 v160, v[100:103] offset:1072
	ds_write_b128 v160, v[112:115] offset:2144
	;; [unrolled: 1-line block ×3, first 2 shown]
	v_lshl_add_u64 v[100:101], v[94:95], 0, s[0:1]
	v_lshl_add_u64 v[112:113], v[100:101], 0, s[0:1]
	s_waitcnt lgkmcnt(0)
	s_barrier
	ds_read_b128 v[166:169], v161
	ds_read_b128 v[170:173], v161 offset:16
	ds_read_b128 v[174:177], v161 offset:32
	;; [unrolled: 1-line block ×3, first 2 shown]
	s_waitcnt lgkmcnt(0)
	s_barrier
	global_load_dwordx4 v[88:91], v[94:95], off
	v_lshl_add_u64 v[154:155], v[112:113], 0, s[0:1]
	global_load_dwordx4 v[92:95], v[100:101], off
	v_add_f64 v[140:141], v[166:167], 0
	global_load_dwordx4 v[100:103], v[112:113], off
	v_add_f64 v[142:143], v[168:169], 0
	global_load_dwordx4 v[112:115], v[154:155], off
	ds_read_b128 v[136:139], v159
	ds_read_b128 v[116:119], v158 offset:768
	ds_read_b128 v[120:123], v158 offset:784
	;; [unrolled: 1-line block ×4, first 2 shown]
	v_add_f64 v[140:141], v[140:141], v[170:171]
	v_add_f64 v[142:143], v[142:143], v[172:173]
	;; [unrolled: 1-line block ×6, first 2 shown]
	s_waitcnt vmcnt(3) lgkmcnt(4)
	v_mul_f64 v[144:145], v[90:91], v[138:139]
	v_mul_f64 v[146:147], v[88:89], v[138:139]
	s_waitcnt vmcnt(2)
	v_mul_f64 v[166:167], v[94:95], v[138:139]
	v_mul_f64 v[168:169], v[92:93], v[138:139]
	s_waitcnt vmcnt(1)
	;; [unrolled: 3-line block ×3, first 2 shown]
	v_mul_f64 v[174:175], v[114:115], v[138:139]
	v_mul_f64 v[176:177], v[112:113], v[138:139]
	v_fma_f64 v[144:145], v[88:89], v[136:137], -v[144:145]
	v_fma_f64 v[166:167], v[92:93], v[136:137], -v[166:167]
	;; [unrolled: 1-line block ×3, first 2 shown]
	v_fmac_f64_e32 v[146:147], v[90:91], v[136:137]
	v_fmac_f64_e32 v[168:169], v[94:95], v[136:137]
	;; [unrolled: 1-line block ×3, first 2 shown]
	v_fma_f64 v[174:175], v[112:113], v[136:137], -v[174:175]
	v_fmac_f64_e32 v[176:177], v[114:115], v[136:137]
	ds_write_b128 v160, v[144:147]
	ds_write_b128 v160, v[166:169] offset:1072
	ds_write_b128 v160, v[170:173] offset:2144
	;; [unrolled: 1-line block ×3, first 2 shown]
	s_waitcnt lgkmcnt(0)
	s_barrier
	ds_read_b128 v[136:139], v161
	ds_read_b128 v[144:147], v161 offset:16
	ds_read_b128 v[166:169], v161 offset:32
	ds_read_b128 v[170:173], v161 offset:48
	s_waitcnt lgkmcnt(0)
	s_barrier
	ds_write_b128 v164, v[182:185]
	ds_write_b128 v164, v[132:135] offset:256
	ds_write_b128 v164, v[140:143] offset:512
	v_add_f64 v[132:133], v[136:137], 0
	v_add_f64 v[134:135], v[138:139], 0
	;; [unrolled: 1-line block ×8, first 2 shown]
	ds_write_b128 v164, v[132:135] offset:768
	s_waitcnt lgkmcnt(0)
	s_barrier
	s_and_saveexec_b64 s[12:13], s[4:5]
	s_cbranch_execz .LBB127_98
; %bb.102:                              ;   in Loop: Header=BB127_99 Depth=1
	ds_read_b128 v[132:135], v162
	ds_read_b128 v[136:139], v162 offset:16
	ds_read_b128 v[140:143], v162 offset:32
	;; [unrolled: 1-line block ×3, first 2 shown]
	s_waitcnt lgkmcnt(2)
	v_add_f64 v[132:133], v[136:137], v[132:133]
	v_add_f64 v[136:137], v[138:139], v[134:135]
	s_waitcnt lgkmcnt(1)
	v_add_f64 v[138:139], v[132:133], v[140:141]
	ds_read_b128 v[132:135], v162 offset:64
	v_add_f64 v[140:141], v[136:137], v[142:143]
	s_waitcnt lgkmcnt(1)
	v_add_f64 v[142:143], v[138:139], v[144:145]
	ds_read_b128 v[136:139], v162 offset:80
	;; [unrolled: 4-line block ×9, first 2 shown]
	v_add_f64 v[134:135], v[144:145], v[134:135]
	s_waitcnt lgkmcnt(1)
	v_add_f64 v[136:137], v[132:133], v[136:137]
	v_add_f64 v[144:145], v[134:135], v[138:139]
	ds_read_b128 v[132:135], v162 offset:208
	s_waitcnt lgkmcnt(1)
	v_add_f64 v[146:147], v[136:137], v[140:141]
	ds_read_b128 v[136:139], v162 offset:224
	v_add_f64 v[144:145], v[144:145], v[142:143]
	ds_read_b128 v[140:143], v163
	s_waitcnt lgkmcnt(2)
	v_add_f64 v[132:133], v[146:147], v[132:133]
	v_add_f64 v[134:135], v[144:145], v[134:135]
	s_waitcnt lgkmcnt(1)
	v_add_f64 v[132:133], v[132:133], v[136:137]
	v_add_f64 v[134:135], v[134:135], v[138:139]
	;; [unrolled: 3-line block ×3, first 2 shown]
	v_lshl_add_u64 v[136:137], v[150:151], 4, s[6:7]
	global_store_dwordx4 v[136:137], v[132:135], off
	s_branch .LBB127_98
.LBB127_103:
	s_movk_i32 s0, 0x430
	v_mad_u32_u24 v4, v149, s0, v156
	s_nor_b64 s[0:1], s[16:17], vcc
	ds_write_b128 v4, v[0:3]
	s_waitcnt lgkmcnt(0)
	s_barrier
	s_and_saveexec_b64 s[2:3], s[0:1]
	s_cbranch_execz .LBB127_105
; %bb.104:
	ds_read_b128 v[0:3], v156 offset:1072
	ds_read_b128 v[4:7], v156
	ds_read_b128 v[8:11], v156 offset:2144
	ds_read_b128 v[12:15], v156 offset:3216
	v_ashrrev_i32_e32 v149, 31, v148
	s_waitcnt lgkmcnt(2)
	v_add_f64 v[0:1], v[0:1], v[4:5]
	v_add_f64 v[2:3], v[2:3], v[6:7]
	s_waitcnt lgkmcnt(1)
	v_add_f64 v[0:1], v[0:1], v[8:9]
	v_add_f64 v[2:3], v[2:3], v[10:11]
	;; [unrolled: 3-line block ×3, first 2 shown]
	v_lshl_add_u64 v[4:5], v[148:149], 4, s[6:7]
	global_store_dwordx4 v[4:5], v[0:3], off
.LBB127_105:
	s_endpgm
	.section	.rodata,"a",@progbits
	.p2align	6, 0x0
	.amdhsa_kernel _ZL26rocblas_hemvn_kernel_lowerILb0ELi64ELi4ELi33ELi32ELi16EiPK19rocblas_complex_numIdES3_PS1_EviT6_lT7_lT5_lS6_lS7_lS5_lT8_i
		.amdhsa_group_segment_fixed_size 19200
		.amdhsa_private_segment_fixed_size 0
		.amdhsa_kernarg_size 376
		.amdhsa_user_sgpr_count 2
		.amdhsa_user_sgpr_dispatch_ptr 0
		.amdhsa_user_sgpr_queue_ptr 0
		.amdhsa_user_sgpr_kernarg_segment_ptr 1
		.amdhsa_user_sgpr_dispatch_id 0
		.amdhsa_user_sgpr_kernarg_preload_length 0
		.amdhsa_user_sgpr_kernarg_preload_offset 0
		.amdhsa_user_sgpr_private_segment_size 0
		.amdhsa_uses_dynamic_stack 0
		.amdhsa_enable_private_segment 0
		.amdhsa_system_sgpr_workgroup_id_x 1
		.amdhsa_system_sgpr_workgroup_id_y 0
		.amdhsa_system_sgpr_workgroup_id_z 1
		.amdhsa_system_sgpr_workgroup_info 0
		.amdhsa_system_vgpr_workitem_id 1
		.amdhsa_next_free_vgpr 186
		.amdhsa_next_free_sgpr 41
		.amdhsa_accum_offset 188
		.amdhsa_reserve_vcc 1
		.amdhsa_float_round_mode_32 0
		.amdhsa_float_round_mode_16_64 0
		.amdhsa_float_denorm_mode_32 3
		.amdhsa_float_denorm_mode_16_64 3
		.amdhsa_dx10_clamp 1
		.amdhsa_ieee_mode 1
		.amdhsa_fp16_overflow 0
		.amdhsa_tg_split 0
		.amdhsa_exception_fp_ieee_invalid_op 0
		.amdhsa_exception_fp_denorm_src 0
		.amdhsa_exception_fp_ieee_div_zero 0
		.amdhsa_exception_fp_ieee_overflow 0
		.amdhsa_exception_fp_ieee_underflow 0
		.amdhsa_exception_fp_ieee_inexact 0
		.amdhsa_exception_int_div_zero 0
	.end_amdhsa_kernel
	.section	.text._ZL26rocblas_hemvn_kernel_lowerILb0ELi64ELi4ELi33ELi32ELi16EiPK19rocblas_complex_numIdES3_PS1_EviT6_lT7_lT5_lS6_lS7_lS5_lT8_i,"axG",@progbits,_ZL26rocblas_hemvn_kernel_lowerILb0ELi64ELi4ELi33ELi32ELi16EiPK19rocblas_complex_numIdES3_PS1_EviT6_lT7_lT5_lS6_lS7_lS5_lT8_i,comdat
.Lfunc_end127:
	.size	_ZL26rocblas_hemvn_kernel_lowerILb0ELi64ELi4ELi33ELi32ELi16EiPK19rocblas_complex_numIdES3_PS1_EviT6_lT7_lT5_lS6_lS7_lS5_lT8_i, .Lfunc_end127-_ZL26rocblas_hemvn_kernel_lowerILb0ELi64ELi4ELi33ELi32ELi16EiPK19rocblas_complex_numIdES3_PS1_EviT6_lT7_lT5_lS6_lS7_lS5_lT8_i
                                        ; -- End function
	.set _ZL26rocblas_hemvn_kernel_lowerILb0ELi64ELi4ELi33ELi32ELi16EiPK19rocblas_complex_numIdES3_PS1_EviT6_lT7_lT5_lS6_lS7_lS5_lT8_i.num_vgpr, 186
	.set _ZL26rocblas_hemvn_kernel_lowerILb0ELi64ELi4ELi33ELi32ELi16EiPK19rocblas_complex_numIdES3_PS1_EviT6_lT7_lT5_lS6_lS7_lS5_lT8_i.num_agpr, 0
	.set _ZL26rocblas_hemvn_kernel_lowerILb0ELi64ELi4ELi33ELi32ELi16EiPK19rocblas_complex_numIdES3_PS1_EviT6_lT7_lT5_lS6_lS7_lS5_lT8_i.numbered_sgpr, 41
	.set _ZL26rocblas_hemvn_kernel_lowerILb0ELi64ELi4ELi33ELi32ELi16EiPK19rocblas_complex_numIdES3_PS1_EviT6_lT7_lT5_lS6_lS7_lS5_lT8_i.num_named_barrier, 0
	.set _ZL26rocblas_hemvn_kernel_lowerILb0ELi64ELi4ELi33ELi32ELi16EiPK19rocblas_complex_numIdES3_PS1_EviT6_lT7_lT5_lS6_lS7_lS5_lT8_i.private_seg_size, 0
	.set _ZL26rocblas_hemvn_kernel_lowerILb0ELi64ELi4ELi33ELi32ELi16EiPK19rocblas_complex_numIdES3_PS1_EviT6_lT7_lT5_lS6_lS7_lS5_lT8_i.uses_vcc, 1
	.set _ZL26rocblas_hemvn_kernel_lowerILb0ELi64ELi4ELi33ELi32ELi16EiPK19rocblas_complex_numIdES3_PS1_EviT6_lT7_lT5_lS6_lS7_lS5_lT8_i.uses_flat_scratch, 0
	.set _ZL26rocblas_hemvn_kernel_lowerILb0ELi64ELi4ELi33ELi32ELi16EiPK19rocblas_complex_numIdES3_PS1_EviT6_lT7_lT5_lS6_lS7_lS5_lT8_i.has_dyn_sized_stack, 0
	.set _ZL26rocblas_hemvn_kernel_lowerILb0ELi64ELi4ELi33ELi32ELi16EiPK19rocblas_complex_numIdES3_PS1_EviT6_lT7_lT5_lS6_lS7_lS5_lT8_i.has_recursion, 0
	.set _ZL26rocblas_hemvn_kernel_lowerILb0ELi64ELi4ELi33ELi32ELi16EiPK19rocblas_complex_numIdES3_PS1_EviT6_lT7_lT5_lS6_lS7_lS5_lT8_i.has_indirect_call, 0
	.section	.AMDGPU.csdata,"",@progbits
; Kernel info:
; codeLenInByte = 9016
; TotalNumSgprs: 47
; NumVgprs: 186
; NumAgprs: 0
; TotalNumVgprs: 186
; ScratchSize: 0
; MemoryBound: 0
; FloatMode: 240
; IeeeMode: 1
; LDSByteSize: 19200 bytes/workgroup (compile time only)
; SGPRBlocks: 5
; VGPRBlocks: 23
; NumSGPRsForWavesPerEU: 47
; NumVGPRsForWavesPerEU: 186
; AccumOffset: 188
; Occupancy: 2
; WaveLimiterHint : 1
; COMPUTE_PGM_RSRC2:SCRATCH_EN: 0
; COMPUTE_PGM_RSRC2:USER_SGPR: 2
; COMPUTE_PGM_RSRC2:TRAP_HANDLER: 0
; COMPUTE_PGM_RSRC2:TGID_X_EN: 1
; COMPUTE_PGM_RSRC2:TGID_Y_EN: 0
; COMPUTE_PGM_RSRC2:TGID_Z_EN: 1
; COMPUTE_PGM_RSRC2:TIDIG_COMP_CNT: 1
; COMPUTE_PGM_RSRC3_GFX90A:ACCUM_OFFSET: 46
; COMPUTE_PGM_RSRC3_GFX90A:TG_SPLIT: 0
	.section	.text._ZL26rocblas_hemvn_kernel_lowerILb0ELi64ELi4ELi33ELi32ELi16El19rocblas_complex_numIdEPKS1_PS1_EviT6_lT7_lT5_lS6_lS7_lS5_lT8_i,"axG",@progbits,_ZL26rocblas_hemvn_kernel_lowerILb0ELi64ELi4ELi33ELi32ELi16El19rocblas_complex_numIdEPKS1_PS1_EviT6_lT7_lT5_lS6_lS7_lS5_lT8_i,comdat
	.globl	_ZL26rocblas_hemvn_kernel_lowerILb0ELi64ELi4ELi33ELi32ELi16El19rocblas_complex_numIdEPKS1_PS1_EviT6_lT7_lT5_lS6_lS7_lS5_lT8_i ; -- Begin function _ZL26rocblas_hemvn_kernel_lowerILb0ELi64ELi4ELi33ELi32ELi16El19rocblas_complex_numIdEPKS1_PS1_EviT6_lT7_lT5_lS6_lS7_lS5_lT8_i
	.p2align	8
	.type	_ZL26rocblas_hemvn_kernel_lowerILb0ELi64ELi4ELi33ELi32ELi16El19rocblas_complex_numIdEPKS1_PS1_EviT6_lT7_lT5_lS6_lS7_lS5_lT8_i,@function
_ZL26rocblas_hemvn_kernel_lowerILb0ELi64ELi4ELi33ELi32ELi16El19rocblas_complex_numIdEPKS1_PS1_EviT6_lT7_lT5_lS6_lS7_lS5_lT8_i: ; @_ZL26rocblas_hemvn_kernel_lowerILb0ELi64ELi4ELi33ELi32ELi16El19rocblas_complex_numIdEPKS1_PS1_EviT6_lT7_lT5_lS6_lS7_lS5_lT8_i
; %bb.0:
	s_load_dwordx2 s[6:7], s[0:1], 0x94
	s_add_u32 s4, s0, 0x88
	s_addc_u32 s5, s1, 0
	s_waitcnt lgkmcnt(0)
	s_lshr_b32 s8, s6, 16
	s_and_b32 s6, s6, 0xffff
	s_and_b32 s7, s7, 0xffff
	s_mul_i32 s6, s8, s6
	s_mul_i32 s6, s6, s7
	s_cmpk_lg_i32 s6, 0x100
	s_cbranch_scc1 .LBB128_105
; %bb.1:
	s_load_dwordx4 s[8:11], s[0:1], 0x8
	s_waitcnt lgkmcnt(0)
	v_cmp_neq_f64_e64 s[6:7], s[8:9], 0
	v_cmp_neq_f64_e64 s[8:9], s[10:11], 0
	s_or_b64 s[6:7], s[6:7], s[8:9]
	s_mov_b64 s[8:9], -1
	s_and_b64 vcc, exec, s[6:7]
	s_cbranch_vccnz .LBB128_3
; %bb.2:
	s_load_dwordx4 s[8:11], s[0:1], 0x60
	s_waitcnt lgkmcnt(0)
	v_cmp_neq_f64_e64 s[8:9], s[8:9], 1.0
	v_cmp_neq_f64_e64 s[10:11], s[10:11], 0
	s_or_b64 s[8:9], s[8:9], s[10:11]
.LBB128_3:
	s_andn2_b64 vcc, exec, s[8:9]
	s_cbranch_vccnz .LBB128_105
; %bb.4:
	s_andn2_b64 vcc, exec, s[6:7]
	s_cbranch_vccnz .LBB128_105
; %bb.5:
	s_load_dwordx16 s[36:51], s[0:1], 0x20
	s_load_dword s34, s[4:5], 0x0
	s_load_dword s33, s[0:1], 0x0
	v_and_b32_e32 v159, 0x3ff, v0
	v_bfe_u32 v158, v0, 10, 10
	s_waitcnt lgkmcnt(0)
	s_mul_i32 s5, s51, s3
	s_mul_hi_u32 s6, s50, s3
	s_mul_i32 s4, s50, s3
	s_add_i32 s5, s6, s5
	s_lshl_b64 s[4:5], s[4:5], 4
	s_add_u32 s6, s44, s4
	s_addc_u32 s7, s45, s5
	s_lshl_b64 s[4:5], s[46:47], 4
	s_add_u32 s4, s6, s4
	s_addc_u32 s5, s7, s5
	s_ashr_i32 s35, s33, 31
	s_lshr_b32 s7, s35, 26
	s_add_i32 s7, s33, s7
	s_lshl_b32 s24, s2, 6
	s_andn2_b32 s7, s7, 63
	s_add_i32 s6, s34, -1
	s_sub_i32 s7, s33, s7
	v_add_u32_e32 v148, s24, v159
	s_cmp_eq_u32 s2, s6
	v_ashrrev_i32_e32 v149, 31, v148
	s_cselect_b32 s22, s7, 0
	v_mul_lo_u32 v2, s48, v149
	v_mul_lo_u32 v3, s49, v148
	v_mad_u64_u32 v[0:1], s[6:7], s48, v148, 0
	v_add3_u32 v1, v1, v2, v3
	v_lshl_add_u64 v[36:37], v[0:1], 4, s[4:5]
	v_cmp_ne_u32_e64 s[4:5], 0, v158
	v_cmp_eq_u32_e64 s[18:19], 0, v158
	s_and_saveexec_b64 s[6:7], s[18:19]
	s_cbranch_execz .LBB128_10
; %bb.6:
	s_cmp_lg_u32 s22, 0
	s_cselect_b64 s[8:9], -1, 0
	v_cmp_le_i32_e32 vcc, s22, v159
	v_mov_b32_e32 v0, 0x4700
	s_and_b64 s[8:9], s[8:9], vcc
	v_lshl_add_u32 v0, v159, 4, v0
	s_and_saveexec_b64 s[10:11], s[8:9]
	s_xor_b64 s[8:9], exec, s[10:11]
; %bb.7:
	v_mov_b32_e32 v2, 0
	v_mov_b32_e32 v3, v2
	v_mov_b32_e32 v4, v2
	v_mov_b32_e32 v5, v2
	ds_write_b128 v0, v[2:5]
                                        ; implicit-def: $vgpr0
; %bb.8:
	s_andn2_saveexec_b64 s[8:9], s[8:9]
	s_cbranch_execz .LBB128_10
; %bb.9:
	global_load_dwordx4 v[2:5], v[36:37], off
	s_waitcnt vmcnt(0)
	ds_write2_b64 v0, v[2:3], v[4:5] offset1:1
.LBB128_10:
	s_or_b64 exec, exec, s[6:7]
	s_mul_i32 s6, s43, s3
	s_mul_hi_u32 s7, s42, s3
	s_add_i32 s7, s7, s6
	s_mul_i32 s6, s42, s3
	s_lshl_b64 s[6:7], s[6:7], 4
	s_add_u32 s8, s36, s6
	s_addc_u32 s9, s37, s7
	s_lshl_b64 s[6:7], s[38:39], 4
	s_add_u32 s8, s8, s6
	s_addc_u32 s9, s9, s7
	s_ashr_i32 s25, s24, 31
	v_lshl_add_u32 v42, v158, 6, v159
	s_lshl_b64 s[6:7], s[24:25], 4
	v_and_b32_e32 v4, 31, v159
	v_lshrrev_b32_e32 v12, 5, v42
	s_add_u32 s6, s8, s6
	v_mov_b32_e32 v5, 0
	s_addc_u32 s7, s9, s7
	v_mad_u64_u32 v[38:39], s[8:9], s40, v12, v[4:5]
	v_mov_b32_e32 v0, v39
	v_mad_u64_u32 v[0:1], s[8:9], s41, v12, v[0:1]
	v_mov_b32_e32 v39, v0
	v_lshl_add_u64 v[0:1], v[38:39], 4, s[6:7]
	s_mul_hi_u32 s6, s40, s24
	s_mul_i32 s7, s40, s25
	s_add_i32 s6, s6, s7
	s_mul_i32 s7, s41, s24
	s_add_i32 s27, s6, s7
	s_cmp_lg_u32 s22, 0
	s_mul_i32 s26, s40, s24
	s_cselect_b64 s[28:29], -1, 0
	s_cmp_eq_u32 s22, 0
	v_lshl_add_u64 v[6:7], s[26:27], 4, v[0:1]
	s_cselect_b64 s[20:21], -1, 0
	s_mov_b64 s[6:7], -1
	s_and_b64 vcc, exec, s[28:29]
	s_cbranch_vccnz .LBB128_12
; %bb.11:
	s_lshl_b64 s[6:7], s[40:41], 7
	v_lshl_add_u64 v[18:19], v[6:7], 0, s[6:7]
	global_load_dwordx4 v[0:3], v[6:7], off
	v_lshl_add_u64 v[20:21], v[18:19], 0, s[6:7]
	global_load_dwordx4 v[8:11], v[18:19], off
	global_load_dwordx4 v[14:17], v[20:21], off
	v_lshl_add_u64 v[18:19], v[20:21], 0, s[6:7]
	global_load_dwordx4 v[18:21], v[18:19], off
	v_mul_u32_u24_e32 v5, 0x210, v12
	v_lshl_add_u32 v5, v4, 4, v5
	s_mov_b64 s[6:7], 0
	v_add_u32_e32 v13, 0x1080, v5
	v_add_u32_e32 v22, 0x2100, v5
	;; [unrolled: 1-line block ×3, first 2 shown]
	s_waitcnt vmcnt(3)
	ds_write2_b64 v5, v[0:1], v[2:3] offset1:1
	s_waitcnt vmcnt(2)
	ds_write2_b64 v13, v[8:9], v[10:11] offset1:1
	;; [unrolled: 2-line block ×4, first 2 shown]
.LBB128_12:
	s_andn2_b64 vcc, exec, s[6:7]
	v_lshlrev_b32_e32 v13, 4, v4
	s_cbranch_vccnz .LBB128_30
; %bb.13:
	v_lshlrev_b32_e32 v0, 4, v4
	v_sub_co_u32_e32 v2, vcc, v6, v0
	s_ashr_i32 s23, s22, 31
	s_nop 0
	v_subbrev_co_u32_e32 v3, vcc, 0, v7, vcc
	v_lshl_add_u64 v[2:3], s[22:23], 4, v[2:3]
	v_lshl_add_u64 v[2:3], v[2:3], 0, -16
	v_cmp_gt_i32_e32 vcc, s22, v4
	s_movk_i32 s8, 0x210
	v_cmp_le_i32_e64 s[6:7], s22, v12
	v_cndmask_b32_e32 v3, v3, v7, vcc
	v_cndmask_b32_e32 v2, v2, v6, vcc
	v_mad_u32_u24 v1, v12, s8, v13
	s_and_saveexec_b64 s[8:9], s[6:7]
	s_xor_b64 s[6:7], exec, s[8:9]
; %bb.14:
	v_mov_b32_e32 v8, 0
	v_mov_b32_e32 v9, v8
	v_mov_b32_e32 v10, v8
	v_mov_b32_e32 v11, v8
	ds_write_b128 v1, v[8:11]
                                        ; implicit-def: $vgpr1
; %bb.15:
	s_andn2_saveexec_b64 s[6:7], s[6:7]
	s_cbranch_execz .LBB128_17
; %bb.16:
	global_load_dwordx4 v[8:11], v[2:3], off
	s_waitcnt vmcnt(0)
	ds_write2_b64 v1, v[8:9], v[10:11] offset1:1
.LBB128_17:
	s_or_b64 exec, exec, s[6:7]
	v_add_u32_e32 v5, 8, v12
	v_mul_u32_u24_e32 v1, 0x210, v12
	v_cmp_le_i32_e64 s[6:7], s22, v5
	s_and_saveexec_b64 s[8:9], s[6:7]
	s_xor_b64 s[6:7], exec, s[8:9]
	s_cbranch_execz .LBB128_19
; %bb.18:
	v_mov_b32_e32 v8, 0
	v_add_u32_e32 v5, v1, v13
	v_mov_b32_e32 v9, v8
	v_mov_b32_e32 v10, v8
	;; [unrolled: 1-line block ×3, first 2 shown]
	ds_write_b128 v5, v[8:11] offset:4224
.LBB128_19:
	s_andn2_saveexec_b64 s[6:7], s[6:7]
	s_cbranch_execz .LBB128_21
; %bb.20:
	s_lshl_b64 s[8:9], s[40:41], 7
	v_lshl_add_u64 v[8:9], v[2:3], 0, s[8:9]
	global_load_dwordx4 v[8:11], v[8:9], off
	s_movk_i32 s8, 0x1080
	v_add3_u32 v5, v1, v13, s8
	s_waitcnt vmcnt(0)
	ds_write2_b64 v5, v[8:9], v[10:11] offset1:1
.LBB128_21:
	s_or_b64 exec, exec, s[6:7]
	v_add_u32_e32 v5, 16, v12
	v_cmp_le_i32_e64 s[6:7], s22, v5
	s_and_saveexec_b64 s[8:9], s[6:7]
	s_xor_b64 s[6:7], exec, s[8:9]
	s_cbranch_execz .LBB128_23
; %bb.22:
	v_mov_b32_e32 v8, 0
	v_add_u32_e32 v5, v1, v13
	v_mov_b32_e32 v9, v8
	v_mov_b32_e32 v10, v8
	;; [unrolled: 1-line block ×3, first 2 shown]
	ds_write_b128 v5, v[8:11] offset:8448
.LBB128_23:
	s_andn2_saveexec_b64 s[6:7], s[6:7]
	s_cbranch_execz .LBB128_25
; %bb.24:
	s_lshl_b64 s[8:9], s[40:41], 8
	v_lshl_add_u64 v[8:9], v[2:3], 0, s[8:9]
	global_load_dwordx4 v[8:11], v[8:9], off
	s_movk_i32 s8, 0x2100
	v_add3_u32 v5, v1, v13, s8
	s_waitcnt vmcnt(0)
	ds_write2_b64 v5, v[8:9], v[10:11] offset1:1
.LBB128_25:
	s_or_b64 exec, exec, s[6:7]
	v_add_u32_e32 v5, 24, v12
	v_cmp_le_i32_e64 s[6:7], s22, v5
	s_and_saveexec_b64 s[8:9], s[6:7]
	s_xor_b64 s[6:7], exec, s[8:9]
	s_cbranch_execz .LBB128_27
; %bb.26:
	v_mov_b32_e32 v8, 0
	v_add_u32_e32 v1, v1, v13
	v_mov_b32_e32 v9, v8
	v_mov_b32_e32 v10, v8
	;; [unrolled: 1-line block ×3, first 2 shown]
	ds_write_b128 v1, v[8:11] offset:12672
                                        ; implicit-def: $vgpr1
.LBB128_27:
	s_andn2_saveexec_b64 s[6:7], s[6:7]
	s_cbranch_execz .LBB128_29
; %bb.28:
	v_mov_b32_e32 v5, 0x180
	v_mad_u64_u32 v[8:9], s[8:9], s40, v5, v[2:3]
	s_mul_i32 s8, s41, 0x180
	s_nop 0
	v_add_u32_e32 v9, s8, v9
	global_load_dwordx4 v[8:11], v[8:9], off
	s_movk_i32 s8, 0x3180
	v_add3_u32 v1, v1, v13, s8
	s_waitcnt vmcnt(0)
	ds_write2_b64 v1, v[8:9], v[10:11] offset1:1
.LBB128_29:
	s_or_b64 exec, exec, s[6:7]
	v_mov_b32_e32 v1, 0
	v_lshl_add_u64 v[0:1], v[2:3], 0, v[0:1]
	s_lshl_b64 s[6:7], s[22:23], 4
	v_mov_b32_e32 v2, s7
	v_subrev_co_u32_e64 v0, s[6:7], s6, v0
	s_nop 1
	v_subb_co_u32_e64 v1, s[6:7], v1, v2, s[6:7]
	v_lshl_add_u64 v[0:1], v[0:1], 0, 16
	v_cndmask_b32_e32 v7, v1, v7, vcc
	v_cndmask_b32_e32 v6, v0, v6, vcc
.LBB128_30:
	v_lshlrev_b32_e32 v14, 2, v12
	v_lshl_or_b32 v1, v4, 9, v13
	v_cmp_lt_u32_e64 s[8:9], v14, v4
	s_waitcnt lgkmcnt(0)
	s_barrier
	s_and_saveexec_b64 s[6:7], s[8:9]
	s_cbranch_execz .LBB128_32
; %bb.31:
	s_movk_i32 s10, 0x840
	v_mad_u32_u24 v0, v12, s10, v13
	ds_read_b128 v[8:11], v0
	v_lshl_add_u32 v0, v14, 4, v1
	s_waitcnt lgkmcnt(0)
	ds_write_b128 v0, v[8:11]
.LBB128_32:
	s_or_b64 exec, exec, s[6:7]
	v_or_b32_e32 v0, 1, v14
	v_cmp_lt_u32_e64 s[10:11], v0, v4
	s_and_saveexec_b64 s[6:7], s[10:11]
	s_cbranch_execz .LBB128_34
; %bb.33:
	s_movk_i32 s12, 0x210
	v_mad_u32_u24 v2, v0, s12, v13
	ds_read_b128 v[8:11], v2
	v_lshl_add_u32 v2, v14, 4, v1
	s_waitcnt lgkmcnt(0)
	ds_write_b128 v2, v[8:11] offset:16
.LBB128_34:
	s_or_b64 exec, exec, s[6:7]
	v_or_b32_e32 v2, 2, v14
	v_cmp_lt_u32_e64 s[12:13], v2, v4
	s_and_saveexec_b64 s[6:7], s[12:13]
	s_cbranch_execz .LBB128_36
; %bb.35:
	s_movk_i32 s14, 0x210
	v_mad_u32_u24 v2, v2, s14, v13
	ds_read_b128 v[8:11], v2
	v_lshl_add_u32 v2, v14, 4, v1
	s_waitcnt lgkmcnt(0)
	ds_write_b128 v2, v[8:11] offset:32
.LBB128_36:
	s_or_b64 exec, exec, s[6:7]
	v_or_b32_e32 v3, 3, v14
	v_cmp_lt_u32_e64 s[14:15], v3, v4
	v_cmp_ge_u32_e32 vcc, v3, v4
                                        ; implicit-def: $vgpr2
	s_and_saveexec_b64 s[6:7], vcc
	s_xor_b64 s[6:7], exec, s[6:7]
; %bb.37:
	v_mul_u32_u24_e32 v2, 0x210, v3
                                        ; implicit-def: $vgpr1
                                        ; implicit-def: $vgpr3
; %bb.38:
	s_andn2_saveexec_b64 s[6:7], s[6:7]
	s_cbranch_execz .LBB128_40
; %bb.39:
	s_movk_i32 s16, 0x210
	v_mad_u32_u24 v2, v3, s16, v13
	ds_read_b128 v[8:11], v2
	v_lshl_add_u32 v1, v14, 4, v1
	v_mul_u32_u24_e32 v2, 0x210, v3
	s_waitcnt lgkmcnt(0)
	ds_write_b128 v1, v[8:11] offset:48
.LBB128_40:
	s_or_b64 exec, exec, s[6:7]
	s_movk_i32 s6, 0x840
	v_lshlrev_b32_e32 v18, 4, v14
	s_movk_i32 s23, 0x210
	s_waitcnt lgkmcnt(0)
	s_barrier
	v_mad_u32_u24 v5, v12, s6, v13
	ds_read_b128 v[8:11], v18 offset:18176
	ds_read_b128 v[20:23], v18 offset:18192
	ds_read_b128 v[24:27], v5
	ds_read_b128 v[28:31], v18 offset:18208
	ds_read_b128 v[32:35], v18 offset:18224
	v_mad_u32_u24 v16, v0, s23, v13
	ds_read_b128 v[44:47], v16
	s_waitcnt lgkmcnt(3)
	v_mul_f64 v[0:1], v[10:11], v[26:27]
	v_fma_f64 v[40:41], v[8:9], v[24:25], -v[0:1]
	v_mul_f64 v[8:9], v[8:9], v[26:27]
	v_fmac_f64_e32 v[8:9], v[10:11], v[24:25]
	v_add_f64 v[26:27], v[8:9], 0
	s_waitcnt lgkmcnt(0)
	v_mul_f64 v[8:9], v[22:23], v[46:47]
	v_add_f64 v[24:25], v[40:41], 0
	v_fma_f64 v[40:41], v[20:21], v[44:45], -v[8:9]
	v_mul_f64 v[20:21], v[20:21], v[46:47]
	v_fmac_f64_e32 v[20:21], v[22:23], v[44:45]
	ds_read_b128 v[8:11], v16 offset:528
	v_add_u32_e32 v17, v13, v2
	v_add_f64 v[26:27], v[26:27], v[20:21]
	ds_read_b128 v[20:23], v17
	v_add_f64 v[24:25], v[24:25], v[40:41]
	s_waitcnt lgkmcnt(1)
	v_mul_f64 v[2:3], v[30:31], v[10:11]
	v_mul_f64 v[10:11], v[28:29], v[10:11]
	v_fma_f64 v[2:3], v[28:29], v[8:9], -v[2:3]
	v_fmac_f64_e32 v[10:11], v[30:31], v[8:9]
	s_waitcnt lgkmcnt(0)
	v_mul_f64 v[8:9], v[34:35], v[22:23]
	v_add_f64 v[2:3], v[24:25], v[2:3]
	v_fma_f64 v[8:9], v[32:33], v[20:21], -v[8:9]
	v_mul_f64 v[22:23], v[32:33], v[22:23]
	v_add_f64 v[8:9], v[2:3], v[8:9]
	v_mul_u32_u24_e32 v2, 33, v4
	v_add_f64 v[10:11], v[26:27], v[10:11]
	v_fmac_f64_e32 v[22:23], v[34:35], v[20:21]
	v_lshlrev_b32_e32 v43, 4, v2
	v_mov_b64_e32 v[0:1], 0
	v_add_f64 v[10:11], v[10:11], v[22:23]
	v_lshl_add_u32 v44, v12, 4, v43
	v_cmp_gt_u32_e64 s[6:7], 32, v42
	v_mov_b64_e32 v[2:3], 0
	s_barrier
	ds_write_b128 v44, v[8:11]
	s_waitcnt lgkmcnt(0)
	s_barrier
	s_and_saveexec_b64 s[16:17], s[6:7]
	s_cbranch_execz .LBB128_42
; %bb.41:
	ds_read_b128 v[0:3], v43
	ds_read_b128 v[8:11], v43 offset:16
	ds_read_b128 v[20:23], v43 offset:32
	;; [unrolled: 1-line block ×3, first 2 shown]
	s_waitcnt lgkmcnt(2)
	v_add_f64 v[0:1], v[8:9], v[0:1]
	v_add_f64 v[8:9], v[10:11], v[2:3]
	s_waitcnt lgkmcnt(1)
	v_add_f64 v[10:11], v[0:1], v[20:21]
	ds_read_b128 v[0:3], v43 offset:64
	v_add_f64 v[8:9], v[8:9], v[22:23]
	s_waitcnt lgkmcnt(1)
	v_add_f64 v[20:21], v[10:11], v[24:25]
	v_add_f64 v[24:25], v[8:9], v[26:27]
	ds_read_b128 v[8:11], v43 offset:80
	s_waitcnt lgkmcnt(1)
	v_add_f64 v[26:27], v[20:21], v[0:1]
	ds_read_b128 v[20:23], v43 offset:96
	v_add_f64 v[24:25], v[24:25], v[2:3]
	ds_read_b128 v[0:3], v43 offset:112
	s_waitcnt lgkmcnt(2)
	v_add_f64 v[8:9], v[26:27], v[8:9]
	v_add_f64 v[10:11], v[24:25], v[10:11]
	s_waitcnt lgkmcnt(1)
	v_add_f64 v[8:9], v[8:9], v[20:21]
	v_add_f64 v[10:11], v[10:11], v[22:23]
	s_waitcnt lgkmcnt(0)
	v_add_f64 v[0:1], v[8:9], v[0:1]
	v_add_f64 v[2:3], v[10:11], v[2:3]
.LBB128_42:
	s_or_b64 exec, exec, s[16:17]
	s_lshl_b64 s[16:17], s[40:41], 9
	v_lshl_add_u64 v[10:11], v[6:7], 0, s[16:17]
	s_mov_b64 s[16:17], 0x200
	v_cndmask_b32_e64 v8, 0, 1, s[20:21]
	v_lshl_add_u64 v[6:7], v[10:11], 0, s[16:17]
	v_mad_u32_u24 v15, v12, s23, v13
	v_cmp_ne_u32_e64 s[16:17], 1, v8
	s_andn2_b64 vcc, exec, s[20:21]
	s_mov_b64 s[20:21], -1
	s_barrier
	s_cbranch_vccnz .LBB128_44
; %bb.43:
	s_lshl_b64 s[20:21], s[40:41], 7
	v_lshl_add_u64 v[8:9], v[10:11], 0, s[20:21]
	global_load_dwordx4 v[20:23], v[6:7], off
	v_lshl_add_u64 v[32:33], v[8:9], 0, s[20:21]
	global_load_dwordx4 v[24:27], v[8:9], off offset:512
	global_load_dwordx4 v[28:31], v[32:33], off offset:512
	v_lshl_add_u64 v[8:9], v[32:33], 0, s[20:21]
	global_load_dwordx4 v[32:35], v[8:9], off offset:512
	s_mov_b64 s[20:21], 0
	v_add_u32_e32 v8, 0x1080, v15
	v_add_u32_e32 v9, 0x2100, v15
	;; [unrolled: 1-line block ×3, first 2 shown]
	s_waitcnt vmcnt(3)
	ds_write2_b64 v15, v[20:21], v[22:23] offset1:1
	s_waitcnt vmcnt(2)
	ds_write2_b64 v8, v[24:25], v[26:27] offset1:1
	;; [unrolled: 2-line block ×4, first 2 shown]
.LBB128_44:
	s_andn2_b64 vcc, exec, s[20:21]
	s_cbranch_vccnz .LBB128_62
; %bb.45:
	v_lshlrev_b32_e32 v8, 4, v4
	v_sub_co_u32_e32 v10, vcc, v10, v8
	s_ashr_i32 s23, s22, 31
	s_nop 0
	v_subbrev_co_u32_e32 v11, vcc, 0, v11, vcc
	v_or_b32_e32 v9, 32, v4
	v_lshl_add_u64 v[10:11], s[22:23], 4, v[10:11]
	v_lshl_add_u64 v[10:11], v[10:11], 0, -16
	v_cmp_gt_i32_e32 vcc, s22, v9
	s_sub_i32 s30, s22, 32
	v_cmp_le_i32_e64 s[20:21], s30, v12
	v_cndmask_b32_e32 v11, v11, v7, vcc
	v_cndmask_b32_e32 v10, v10, v6, vcc
	s_and_saveexec_b64 s[36:37], s[20:21]
	s_xor_b64 s[20:21], exec, s[36:37]
; %bb.46:
	v_mov_b32_e32 v20, 0
	v_mov_b32_e32 v21, v20
	;; [unrolled: 1-line block ×4, first 2 shown]
	ds_write_b128 v15, v[20:23]
; %bb.47:
	s_andn2_saveexec_b64 s[20:21], s[20:21]
	s_cbranch_execz .LBB128_49
; %bb.48:
	global_load_dwordx4 v[20:23], v[10:11], off
	s_waitcnt vmcnt(0)
	ds_write2_b64 v15, v[20:21], v[22:23] offset1:1
.LBB128_49:
	s_or_b64 exec, exec, s[20:21]
	v_add_u32_e32 v19, 8, v12
	v_mul_u32_u24_e32 v9, 0x210, v12
	v_cmp_le_i32_e64 s[20:21], s30, v19
	s_and_saveexec_b64 s[36:37], s[20:21]
	s_xor_b64 s[20:21], exec, s[36:37]
	s_cbranch_execz .LBB128_51
; %bb.50:
	v_mov_b32_e32 v20, 0
	v_add_u32_e32 v19, v9, v13
	v_mov_b32_e32 v21, v20
	v_mov_b32_e32 v22, v20
	;; [unrolled: 1-line block ×3, first 2 shown]
	ds_write_b128 v19, v[20:23] offset:4224
.LBB128_51:
	s_andn2_saveexec_b64 s[20:21], s[20:21]
	s_cbranch_execz .LBB128_53
; %bb.52:
	s_lshl_b64 s[36:37], s[40:41], 7
	v_lshl_add_u64 v[20:21], v[10:11], 0, s[36:37]
	global_load_dwordx4 v[20:23], v[20:21], off
	s_movk_i32 s31, 0x1080
	v_add3_u32 v19, v9, v13, s31
	s_waitcnt vmcnt(0)
	ds_write2_b64 v19, v[20:21], v[22:23] offset1:1
.LBB128_53:
	s_or_b64 exec, exec, s[20:21]
	v_add_u32_e32 v19, 16, v12
	v_cmp_le_i32_e64 s[20:21], s30, v19
	s_and_saveexec_b64 s[36:37], s[20:21]
	s_xor_b64 s[20:21], exec, s[36:37]
	s_cbranch_execz .LBB128_55
; %bb.54:
	v_mov_b32_e32 v20, 0
	v_add_u32_e32 v19, v9, v13
	v_mov_b32_e32 v21, v20
	v_mov_b32_e32 v22, v20
	;; [unrolled: 1-line block ×3, first 2 shown]
	ds_write_b128 v19, v[20:23] offset:8448
.LBB128_55:
	s_andn2_saveexec_b64 s[20:21], s[20:21]
	s_cbranch_execz .LBB128_57
; %bb.56:
	s_lshl_b64 s[36:37], s[40:41], 8
	v_lshl_add_u64 v[20:21], v[10:11], 0, s[36:37]
	global_load_dwordx4 v[20:23], v[20:21], off
	s_movk_i32 s31, 0x2100
	v_add3_u32 v19, v9, v13, s31
	s_waitcnt vmcnt(0)
	ds_write2_b64 v19, v[20:21], v[22:23] offset1:1
.LBB128_57:
	s_or_b64 exec, exec, s[20:21]
	v_add_u32_e32 v19, 24, v12
	v_cmp_le_i32_e64 s[20:21], s30, v19
	s_and_saveexec_b64 s[30:31], s[20:21]
	s_xor_b64 s[20:21], exec, s[30:31]
	s_cbranch_execz .LBB128_59
; %bb.58:
	v_mov_b32_e32 v20, 0
	v_add_u32_e32 v9, v9, v13
	v_mov_b32_e32 v21, v20
	v_mov_b32_e32 v22, v20
	;; [unrolled: 1-line block ×3, first 2 shown]
	ds_write_b128 v9, v[20:23] offset:12672
                                        ; implicit-def: $vgpr9
.LBB128_59:
	s_andn2_saveexec_b64 s[20:21], s[20:21]
	s_cbranch_execz .LBB128_61
; %bb.60:
	v_mov_b32_e32 v19, 0x180
	v_mad_u64_u32 v[20:21], s[30:31], s40, v19, v[10:11]
	s_mul_i32 s30, s41, 0x180
	s_nop 0
	v_add_u32_e32 v21, s30, v21
	global_load_dwordx4 v[20:23], v[20:21], off
	s_movk_i32 s30, 0x3180
	v_add3_u32 v9, v9, v13, s30
	s_waitcnt vmcnt(0)
	ds_write2_b64 v9, v[20:21], v[22:23] offset1:1
.LBB128_61:
	s_or_b64 exec, exec, s[20:21]
	v_mov_b32_e32 v9, 0
	v_lshl_add_u64 v[8:9], v[10:11], 0, v[8:9]
	s_lshl_b64 s[20:21], s[22:23], 4
	v_mov_b32_e32 v10, s21
	v_subrev_co_u32_e64 v8, s[20:21], s20, v8
	s_nop 1
	v_subb_co_u32_e64 v9, s[20:21], v9, v10, s[20:21]
	s_mov_b64 s[20:21], 0x210
	s_nop 0
	v_lshl_add_u64 v[8:9], v[8:9], 0, s[20:21]
	v_cndmask_b32_e32 v7, v9, v7, vcc
	v_cndmask_b32_e32 v6, v8, v6, vcc
.LBB128_62:
	v_add_u32_e32 v45, 0x4700, v18
	v_add_u32_e32 v8, 0x210, v16
	s_lshl_b64 s[20:21], s[40:41], 5
	s_waitcnt lgkmcnt(0)
	s_barrier
	s_and_saveexec_b64 s[30:31], s[8:9]
	s_cbranch_execnz .LBB128_71
; %bb.63:
	s_or_b64 exec, exec, s[30:31]
	s_and_saveexec_b64 s[8:9], s[10:11]
	s_cbranch_execnz .LBB128_72
.LBB128_64:
	s_or_b64 exec, exec, s[8:9]
	s_and_saveexec_b64 s[8:9], s[12:13]
	s_cbranch_execnz .LBB128_73
.LBB128_65:
	s_or_b64 exec, exec, s[8:9]
	s_and_saveexec_b64 s[8:9], s[14:15]
	s_cbranch_execz .LBB128_67
.LBB128_66:
	ds_read_b128 v[18:21], v17
	v_lshl_add_u32 v9, v14, 4, v43
	s_waitcnt lgkmcnt(0)
	ds_write_b128 v9, v[18:21] offset:48
.LBB128_67:
	s_or_b64 exec, exec, s[8:9]
	s_waitcnt lgkmcnt(0)
	s_barrier
	ds_read_b128 v[18:21], v45 offset:512
	ds_read_b128 v[22:25], v5
	ds_read_b128 v[26:29], v45 offset:528
	ds_read_b128 v[30:33], v45 offset:544
	;; [unrolled: 1-line block ×3, first 2 shown]
	ds_read_b128 v[50:53], v16
	v_cmp_eq_u32_e64 s[8:9], 1, v12
	s_waitcnt lgkmcnt(4)
	v_mul_f64 v[10:11], v[20:21], v[24:25]
	v_fma_f64 v[10:11], v[18:19], v[22:23], -v[10:11]
	v_mul_f64 v[18:19], v[18:19], v[24:25]
	v_fmac_f64_e32 v[18:19], v[20:21], v[22:23]
	v_add_f64 v[20:21], v[10:11], 0
	s_waitcnt lgkmcnt(0)
	v_mul_f64 v[10:11], v[28:29], v[52:53]
	v_fma_f64 v[22:23], v[26:27], v[50:51], -v[10:11]
	v_mul_f64 v[24:25], v[26:27], v[52:53]
	ds_read_b128 v[8:11], v8
	v_add_f64 v[18:19], v[18:19], 0
	v_fmac_f64_e32 v[24:25], v[28:29], v[50:51]
	v_add_f64 v[20:21], v[20:21], v[22:23]
	v_add_f64 v[22:23], v[18:19], v[24:25]
	ds_read_b128 v[16:19], v17
	s_waitcnt lgkmcnt(1)
	v_mul_f64 v[24:25], v[32:33], v[10:11]
	v_fma_f64 v[24:25], v[30:31], v[8:9], -v[24:25]
	v_mul_f64 v[10:11], v[30:31], v[10:11]
	v_fmac_f64_e32 v[10:11], v[32:33], v[8:9]
	v_add_f64 v[8:9], v[20:21], v[24:25]
	s_waitcnt lgkmcnt(0)
	v_mul_f64 v[20:21], v[48:49], v[18:19]
	v_mul_f64 v[18:19], v[46:47], v[18:19]
	v_add_f64 v[10:11], v[22:23], v[10:11]
	v_fma_f64 v[20:21], v[46:47], v[16:17], -v[20:21]
	v_fmac_f64_e32 v[18:19], v[48:49], v[16:17]
	v_add_f64 v[8:9], v[8:9], v[20:21]
	v_add_f64 v[10:11], v[10:11], v[18:19]
	s_barrier
	ds_write_b128 v44, v[8:11]
	s_waitcnt lgkmcnt(0)
	s_barrier
	s_and_saveexec_b64 s[10:11], s[8:9]
	s_cbranch_execz .LBB128_69
; %bb.68:
	ds_read_b128 v[0:3], v43
	ds_read_b128 v[8:11], v43 offset:16
	ds_read_b128 v[16:19], v43 offset:32
	;; [unrolled: 1-line block ×3, first 2 shown]
	s_waitcnt lgkmcnt(2)
	v_add_f64 v[0:1], v[8:9], v[0:1]
	v_add_f64 v[8:9], v[10:11], v[2:3]
	s_waitcnt lgkmcnt(1)
	v_add_f64 v[10:11], v[0:1], v[16:17]
	ds_read_b128 v[0:3], v43 offset:64
	v_add_f64 v[8:9], v[8:9], v[18:19]
	s_waitcnt lgkmcnt(1)
	v_add_f64 v[16:17], v[10:11], v[20:21]
	v_add_f64 v[20:21], v[8:9], v[22:23]
	ds_read_b128 v[8:11], v43 offset:80
	s_waitcnt lgkmcnt(1)
	v_add_f64 v[22:23], v[16:17], v[0:1]
	ds_read_b128 v[16:19], v43 offset:96
	v_add_f64 v[20:21], v[20:21], v[2:3]
	ds_read_b128 v[0:3], v43 offset:112
	s_waitcnt lgkmcnt(2)
	v_add_f64 v[8:9], v[22:23], v[8:9]
	v_add_f64 v[10:11], v[20:21], v[10:11]
	s_waitcnt lgkmcnt(1)
	v_add_f64 v[8:9], v[8:9], v[16:17]
	v_add_f64 v[10:11], v[10:11], v[18:19]
	;; [unrolled: 3-line block ×3, first 2 shown]
.LBB128_69:
	s_or_b64 exec, exec, s[10:11]
	s_lshl_b64 s[10:11], s[20:21], 4
	v_mov_b32_e32 v5, s11
	v_subrev_co_u32_e64 v40, s[10:11], s10, v6
	s_and_b64 vcc, exec, s[16:17]
	s_nop 0
	v_subb_co_u32_e64 v41, s[10:11], v7, v5, s[10:11]
	s_barrier
	s_cbranch_vccnz .LBB128_74
; %bb.70:
	s_lshl_b64 s[10:11], s[40:41], 7
	v_lshl_add_u64 v[6:7], v[40:41], 0, s[10:11]
	global_load_dwordx4 v[16:19], v[40:41], off
	v_lshl_add_u64 v[8:9], v[6:7], 0, s[10:11]
	global_load_dwordx4 v[20:23], v[6:7], off
	global_load_dwordx4 v[24:27], v[8:9], off
	v_lshl_add_u64 v[6:7], v[8:9], 0, s[10:11]
	global_load_dwordx4 v[28:31], v[6:7], off
	v_add_u32_e32 v8, 8, v12
	s_movk_i32 s10, 0x210
	v_mov_b32_e32 v5, 0x1080
	v_mov_b32_e32 v7, 0x2100
	v_add_u32_e32 v9, 16, v12
	v_add_u32_e32 v10, 24, v12
	v_mul_u32_u24_e32 v6, 0x210, v8
	v_mad_u32_u24 v32, v8, s10, v13
	v_mad_u32_u24 v5, v8, s10, v5
	v_mad_u32_u24 v11, v8, s10, v7
	v_add_u32_e32 v7, v13, v5
	v_add_u32_e32 v33, v13, v11
	s_waitcnt vmcnt(3)
	ds_write2_b64 v15, v[16:17], v[18:19] offset1:1
	s_waitcnt vmcnt(2)
	ds_write2_b64 v32, v[20:21], v[22:23] offset1:1
	;; [unrolled: 2-line block ×4, first 2 shown]
	s_cbranch_execz .LBB128_75
	s_branch .LBB128_92
.LBB128_71:
	ds_read_b128 v[18:21], v5
	v_lshl_add_u32 v9, v14, 4, v43
	s_waitcnt lgkmcnt(0)
	ds_write_b128 v9, v[18:21]
	s_or_b64 exec, exec, s[30:31]
	s_and_saveexec_b64 s[8:9], s[10:11]
	s_cbranch_execz .LBB128_64
.LBB128_72:
	ds_read_b128 v[18:21], v16
	v_lshl_add_u32 v9, v14, 4, v43
	s_waitcnt lgkmcnt(0)
	ds_write_b128 v9, v[18:21] offset:16
	s_or_b64 exec, exec, s[8:9]
	s_and_saveexec_b64 s[8:9], s[12:13]
	s_cbranch_execz .LBB128_65
.LBB128_73:
	ds_read_b128 v[18:21], v8
	v_lshl_add_u32 v9, v14, 4, v43
	s_waitcnt lgkmcnt(0)
	ds_write_b128 v9, v[18:21] offset:32
	s_or_b64 exec, exec, s[8:9]
	s_and_saveexec_b64 s[8:9], s[14:15]
	s_cbranch_execnz .LBB128_66
	s_branch .LBB128_67
.LBB128_74:
                                        ; implicit-def: $vgpr8
                                        ; implicit-def: $vgpr6
                                        ; implicit-def: $vgpr9
                                        ; implicit-def: $vgpr5
                                        ; implicit-def: $vgpr10
                                        ; implicit-def: $vgpr11
.LBB128_75:
	v_or_b32_e32 v5, 32, v4
	v_lshlrev_b32_e32 v4, 4, v4
	v_sub_co_u32_e32 v6, vcc, v40, v4
	s_ashr_i32 s23, s22, 31
	s_nop 0
	v_subbrev_co_u32_e32 v7, vcc, 0, v41, vcc
	s_movk_i32 s10, 0xfdf0
	v_lshl_add_u64 v[6:7], s[22:23], 4, v[6:7]
	s_mov_b32 s11, -1
	v_lshl_add_u64 v[6:7], v[6:7], 0, s[10:11]
	v_cmp_gt_i32_e32 vcc, s22, v5
	v_cmp_le_i32_e64 s[10:11], s22, v12
	s_nop 0
	v_cndmask_b32_e32 v7, v7, v41, vcc
	v_cndmask_b32_e32 v6, v6, v40, vcc
	s_and_saveexec_b64 s[12:13], s[10:11]
	s_xor_b64 s[10:11], exec, s[12:13]
; %bb.76:
	v_mov_b32_e32 v8, 0
	v_mov_b32_e32 v9, v8
	;; [unrolled: 1-line block ×4, first 2 shown]
	ds_write_b128 v15, v[8:11]
; %bb.77:
	s_andn2_saveexec_b64 s[10:11], s[10:11]
	s_cbranch_execz .LBB128_79
; %bb.78:
	global_load_dwordx4 v[8:11], v[6:7], off
	s_waitcnt vmcnt(0)
	ds_write2_b64 v15, v[8:9], v[10:11] offset1:1
.LBB128_79:
	s_or_b64 exec, exec, s[10:11]
	v_add_u32_e32 v8, 8, v12
	v_cmp_le_i32_e64 s[10:11], s22, v8
	s_and_saveexec_b64 s[12:13], s[10:11]
	s_xor_b64 s[10:11], exec, s[12:13]
	s_cbranch_execz .LBB128_81
; %bb.80:
	s_movk_i32 s12, 0x210
	v_mov_b32_e32 v16, 0
	v_mad_u32_u24 v5, v8, s12, v13
	v_mov_b32_e32 v17, v16
	v_mov_b32_e32 v18, v16
	;; [unrolled: 1-line block ×3, first 2 shown]
	ds_write_b128 v5, v[16:19]
.LBB128_81:
	s_andn2_saveexec_b64 s[10:11], s[10:11]
	s_cbranch_execz .LBB128_83
; %bb.82:
	s_lshl_b64 s[12:13], s[40:41], 7
	v_lshl_add_u64 v[10:11], v[6:7], 0, s[12:13]
	global_load_dwordx4 v[16:19], v[10:11], off
	s_movk_i32 s12, 0x210
	v_mad_u32_u24 v5, v8, s12, v13
	s_waitcnt vmcnt(0)
	ds_write2_b64 v5, v[16:17], v[18:19] offset1:1
.LBB128_83:
	s_or_b64 exec, exec, s[10:11]
	v_add_u32_e32 v9, 16, v12
	v_cmp_le_i32_e64 s[10:11], s22, v9
	s_and_saveexec_b64 s[12:13], s[10:11]
	s_xor_b64 s[10:11], exec, s[12:13]
	s_cbranch_execz .LBB128_85
; %bb.84:
	s_movk_i32 s12, 0x210
	v_mov_b32_e32 v16, 0
	v_mad_u32_u24 v5, v9, s12, v13
	v_mov_b32_e32 v17, v16
	v_mov_b32_e32 v18, v16
	;; [unrolled: 1-line block ×3, first 2 shown]
	ds_write_b128 v5, v[16:19]
.LBB128_85:
	s_andn2_saveexec_b64 s[10:11], s[10:11]
	s_cbranch_execz .LBB128_87
; %bb.86:
	s_lshl_b64 s[12:13], s[40:41], 8
	v_lshl_add_u64 v[10:11], v[6:7], 0, s[12:13]
	global_load_dwordx4 v[16:19], v[10:11], off
	s_movk_i32 s12, 0x210
	v_mad_u32_u24 v5, v9, s12, v13
	s_waitcnt vmcnt(0)
	ds_write2_b64 v5, v[16:17], v[18:19] offset1:1
.LBB128_87:
	s_or_b64 exec, exec, s[10:11]
	v_add_u32_e32 v10, 24, v12
	v_cmp_le_i32_e64 s[10:11], s22, v10
                                        ; implicit-def: $vgpr11
	s_and_saveexec_b64 s[12:13], s[10:11]
	s_xor_b64 s[10:11], exec, s[12:13]
	s_cbranch_execz .LBB128_89
; %bb.88:
	s_movk_i32 s12, 0x210
	v_mov_b32_e32 v16, 0
	v_mul_u32_u24_e32 v11, 0x210, v10
	v_mad_u32_u24 v5, v10, s12, v13
	v_mov_b32_e32 v17, v16
	v_mov_b32_e32 v18, v16
	;; [unrolled: 1-line block ×3, first 2 shown]
	ds_write_b128 v5, v[16:19]
.LBB128_89:
	s_andn2_saveexec_b64 s[10:11], s[10:11]
	s_cbranch_execz .LBB128_91
; %bb.90:
	v_mov_b32_e32 v5, 0x180
	v_mad_u64_u32 v[16:17], s[12:13], s40, v5, v[6:7]
	s_mul_i32 s12, s41, 0x180
	s_nop 0
	v_add_u32_e32 v17, s12, v17
	global_load_dwordx4 v[16:19], v[16:17], off
	s_movk_i32 s12, 0x210
	v_mul_u32_u24_e32 v11, 0x210, v10
	v_mad_u32_u24 v5, v10, s12, v13
	s_waitcnt vmcnt(0)
	ds_write2_b64 v5, v[16:17], v[18:19] offset1:1
.LBB128_91:
	s_or_b64 exec, exec, s[10:11]
	v_mov_b32_e32 v5, 0
	v_lshl_add_u64 v[4:5], v[6:7], 0, v[4:5]
	s_lshl_b64 s[10:11], s[22:23], 4
	v_mov_b32_e32 v6, s11
	v_subrev_co_u32_e64 v4, s[10:11], s10, v4
	s_nop 1
	v_subb_co_u32_e64 v5, s[10:11], v5, v6, s[10:11]
	s_mov_b64 s[10:11], 0x210
	s_nop 0
	v_lshl_add_u64 v[4:5], v[4:5], 0, s[10:11]
	v_cndmask_b32_e32 v40, v4, v40, vcc
	s_movk_i32 s10, 0x210
	v_mov_b32_e32 v4, 0x1080
	v_cndmask_b32_e32 v41, v5, v41, vcc
	v_mul_u32_u24_e32 v6, 0x210, v8
	v_mad_u32_u24 v5, v8, s10, v4
.LBB128_92:
	v_lshlrev_b32_e32 v4, 4, v12
	s_waitcnt lgkmcnt(0)
	s_barrier
	ds_read_b128 v[20:23], v4 offset:18176
	ds_read_b128 v[24:27], v15
	v_add_u32_e32 v4, v13, v6
	v_lshlrev_b32_e32 v6, 4, v8
	ds_read_b128 v[46:49], v6 offset:18176
	ds_read_b128 v[50:53], v4
	v_add_u32_e32 v4, v13, v5
	v_lshlrev_b32_e32 v5, 4, v9
	ds_read_b128 v[54:57], v5 offset:18176
	ds_read_b128 v[58:61], v4
	v_lshlrev_b32_e32 v5, 4, v10
	s_waitcnt lgkmcnt(4)
	v_mul_f64 v[6:7], v[22:23], v[26:27]
	v_add_u32_e32 v4, v13, v11
	ds_read_b128 v[62:65], v5 offset:18176
	ds_read2_b64 v[66:69], v4 offset1:1
	v_fma_f64 v[6:7], v[20:21], v[24:25], -v[6:7]
	s_waitcnt lgkmcnt(4)
	v_mul_f64 v[16:17], v[48:49], v[52:53]
	v_add_f64 v[6:7], v[6:7], 0
	v_fma_f64 v[16:17], v[46:47], v[50:51], -v[16:17]
	v_add_f64 v[4:5], v[6:7], v[16:17]
	s_waitcnt lgkmcnt(2)
	v_mul_f64 v[6:7], v[56:57], v[60:61]
	v_fma_f64 v[6:7], v[54:55], v[58:59], -v[6:7]
	v_add_f64 v[4:5], v[4:5], v[6:7]
	s_waitcnt lgkmcnt(0)
	v_mul_f64 v[6:7], v[64:65], v[68:69]
	v_fma_f64 v[6:7], v[62:63], v[66:67], -v[6:7]
	v_add_f64 v[70:71], v[4:5], v[6:7]
	v_lshl_add_u32 v4, v14, 4, v43
	v_mul_f64 v[72:73], v[20:21], v[26:27]
	ds_read_b128 v[28:31], v4
	ds_read_b128 v[16:19], v4 offset:16
	ds_read_b128 v[8:11], v4 offset:32
	;; [unrolled: 1-line block ×3, first 2 shown]
	v_fmac_f64_e32 v[72:73], v[22:23], v[24:25]
	v_mul_f64 v[46:47], v[46:47], v[52:53]
	v_fmac_f64_e32 v[46:47], v[48:49], v[50:51]
	v_add_f64 v[48:49], v[72:73], 0
	ds_read_b128 v[32:35], v45 offset:512
	ds_read_b128 v[24:27], v45 offset:528
	ds_read_b128 v[20:23], v45 offset:544
	ds_read_b128 v[12:15], v45 offset:560
	v_add_f64 v[46:47], v[48:49], v[46:47]
	v_mul_f64 v[48:49], v[54:55], v[60:61]
	v_fmac_f64_e32 v[48:49], v[56:57], v[58:59]
	v_add_f64 v[46:47], v[46:47], v[48:49]
	v_mul_f64 v[48:49], v[62:63], v[68:69]
	v_fmac_f64_e32 v[48:49], v[64:65], v[66:67]
	v_add_f64 v[72:73], v[46:47], v[48:49]
	s_waitcnt lgkmcnt(0)
	s_barrier
	ds_write_b128 v44, v[70:73]
	s_waitcnt lgkmcnt(0)
	s_barrier
	s_and_saveexec_b64 s[10:11], s[8:9]
	s_cbranch_execz .LBB128_94
; %bb.93:
	ds_read_b128 v[46:49], v43
	ds_read_b128 v[50:53], v43 offset:16
	ds_read_b128 v[54:57], v43 offset:32
	;; [unrolled: 1-line block ×3, first 2 shown]
	s_waitcnt lgkmcnt(3)
	v_add_f64 v[0:1], v[0:1], v[46:47]
	v_add_f64 v[2:3], v[2:3], v[48:49]
	s_waitcnt lgkmcnt(2)
	v_add_f64 v[0:1], v[0:1], v[50:51]
	v_add_f64 v[46:47], v[2:3], v[52:53]
	s_waitcnt lgkmcnt(1)
	v_add_f64 v[48:49], v[0:1], v[54:55]
	ds_read_b128 v[0:3], v43 offset:64
	v_add_f64 v[46:47], v[46:47], v[56:57]
	s_waitcnt lgkmcnt(1)
	v_add_f64 v[50:51], v[48:49], v[58:59]
	v_add_f64 v[54:55], v[46:47], v[60:61]
	ds_read_b128 v[46:49], v43 offset:80
	s_waitcnt lgkmcnt(1)
	v_add_f64 v[56:57], v[50:51], v[0:1]
	ds_read_b128 v[50:53], v43 offset:96
	v_add_f64 v[54:55], v[54:55], v[2:3]
	ds_read_b128 v[0:3], v43 offset:112
	s_waitcnt lgkmcnt(2)
	v_add_f64 v[46:47], v[56:57], v[46:47]
	v_add_f64 v[48:49], v[54:55], v[48:49]
	s_waitcnt lgkmcnt(1)
	v_add_f64 v[46:47], v[46:47], v[50:51]
	v_add_f64 v[48:49], v[48:49], v[52:53]
	;; [unrolled: 3-line block ×3, first 2 shown]
.LBB128_94:
	s_or_b64 exec, exec, s[10:11]
	v_mul_f64 v[46:47], v[30:31], v[34:35]
	v_fma_f64 v[46:47], v[28:29], v[32:33], -v[46:47]
	v_mul_f64 v[28:29], v[28:29], v[34:35]
	v_fmac_f64_e32 v[28:29], v[30:31], v[32:33]
	v_mul_f64 v[32:33], v[18:19], v[26:27]
	v_fma_f64 v[32:33], v[16:17], v[24:25], -v[32:33]
	v_mul_f64 v[16:17], v[16:17], v[26:27]
	v_fmac_f64_e32 v[16:17], v[18:19], v[24:25]
	v_mul_f64 v[24:25], v[10:11], v[22:23]
	v_add_f64 v[28:29], v[28:29], 0
	v_fma_f64 v[24:25], v[8:9], v[20:21], -v[24:25]
	v_mul_f64 v[8:9], v[8:9], v[22:23]
	v_add_f64 v[30:31], v[46:47], 0
	v_add_f64 v[16:17], v[28:29], v[16:17]
	v_fmac_f64_e32 v[8:9], v[10:11], v[20:21]
	v_add_f64 v[18:19], v[30:31], v[32:33]
	v_add_f64 v[8:9], v[16:17], v[8:9]
	v_mul_f64 v[16:17], v[6:7], v[14:15]
	v_mul_f64 v[14:15], v[4:5], v[14:15]
	v_add_f64 v[10:11], v[18:19], v[24:25]
	v_fma_f64 v[16:17], v[4:5], v[12:13], -v[16:17]
	v_fmac_f64_e32 v[14:15], v[6:7], v[12:13]
	v_add_f64 v[4:5], v[10:11], v[16:17]
	v_add_f64 v[6:7], v[8:9], v[14:15]
	s_barrier
	ds_write_b128 v44, v[4:7]
	s_waitcnt lgkmcnt(0)
	s_barrier
	s_and_saveexec_b64 s[8:9], s[6:7]
	s_cbranch_execz .LBB128_96
; %bb.95:
	ds_read_b128 v[4:7], v43
	ds_read_b128 v[8:11], v43 offset:16
	ds_read_b128 v[12:15], v43 offset:32
	;; [unrolled: 1-line block ×3, first 2 shown]
	s_waitcnt lgkmcnt(3)
	v_add_f64 v[0:1], v[0:1], v[4:5]
	v_add_f64 v[2:3], v[2:3], v[6:7]
	s_waitcnt lgkmcnt(2)
	v_add_f64 v[0:1], v[0:1], v[8:9]
	v_add_f64 v[4:5], v[2:3], v[10:11]
	s_waitcnt lgkmcnt(1)
	v_add_f64 v[6:7], v[0:1], v[12:13]
	ds_read_b128 v[0:3], v43 offset:64
	v_add_f64 v[4:5], v[4:5], v[14:15]
	s_waitcnt lgkmcnt(1)
	v_add_f64 v[8:9], v[6:7], v[16:17]
	v_add_f64 v[12:13], v[4:5], v[18:19]
	ds_read_b128 v[4:7], v43 offset:80
	s_waitcnt lgkmcnt(1)
	v_add_f64 v[14:15], v[8:9], v[0:1]
	ds_read_b128 v[8:11], v43 offset:96
	v_add_f64 v[12:13], v[12:13], v[2:3]
	ds_read_b128 v[0:3], v43 offset:112
	s_waitcnt lgkmcnt(2)
	v_add_f64 v[4:5], v[14:15], v[4:5]
	v_add_f64 v[6:7], v[12:13], v[6:7]
	s_waitcnt lgkmcnt(1)
	v_add_f64 v[4:5], v[4:5], v[8:9]
	v_add_f64 v[6:7], v[6:7], v[10:11]
	;; [unrolled: 3-line block ×3, first 2 shown]
.LBB128_96:
	s_or_b64 exec, exec, s[8:9]
	s_load_dwordx2 s[0:1], s[0:1], 0x78
	s_mul_hi_u32 s6, s33, s3
	s_mul_i32 s35, s35, s3
	s_add_i32 s6, s6, s35
	s_mul_i32 s3, s33, s3
	s_mul_i32 s6, s6, s34
	s_mul_hi_u32 s7, s3, s34
	s_add_i32 s7, s7, s6
	s_mul_i32 s6, s3, s34
	s_lshl_b64 s[6:7], s[6:7], 4
	s_waitcnt lgkmcnt(0)
	s_add_u32 s3, s0, s6
	s_mul_i32 s0, s33, s2
	s_addc_u32 s7, s1, s7
	s_ashr_i32 s1, s0, 31
	s_lshl_b64 s[0:1], s[0:1], 4
	s_add_u32 s6, s3, s0
	v_cmp_le_i32_e32 vcc, s22, v159
	s_addc_u32 s7, s7, s1
	s_and_b64 vcc, s[28:29], vcc
	s_cmp_lt_i32 s2, 1
	v_lshlrev_b32_e32 v150, 4, v159
	s_barrier
	s_cbranch_scc1 .LBB128_103
; %bb.97:
	s_mul_i32 s0, s48, s25
	s_mul_hi_u32 s1, s48, s24
	s_add_i32 s0, s1, s0
	s_mul_i32 s1, s49, s24
	s_add_i32 s1, s0, s1
	s_mul_i32 s0, s48, s24
	s_lshl_b64 s[0:1], s[0:1], 4
	v_mov_b32_e32 v4, s1
	v_subrev_co_u32_e64 v152, s[0:1], s0, v36
	v_lshlrev_b32_e32 v9, 2, v158
	s_nop 0
	v_subb_co_u32_e64 v153, s[0:1], v37, v4, s[0:1]
	s_lshl_b64 s[0:1], s[26:27], 4
	s_nop 0
	v_mov_b32_e32 v4, s1
	v_subrev_co_u32_e64 v6, s[0:1], s0, v40
	s_ashr_i32 s23, s22, 31
	s_nop 0
	v_subb_co_u32_e64 v7, s[0:1], v41, v4, s[0:1]
	v_lshlrev_b64 v[4:5], 4, v[38:39]
	v_sub_co_u32_e64 v4, s[0:1], v6, v4
	v_mov_b32_e32 v155, 0
	s_nop 0
	v_subb_co_u32_e64 v5, s[0:1], v7, v5, s[0:1]
	v_mad_u64_u32 v[6:7], s[0:1], s40, v9, 0
	v_mov_b32_e32 v8, v7
	v_mad_u64_u32 v[8:9], s[0:1], s41, v9, v[8:9]
	v_mov_b32_e32 v7, v8
	v_lshl_add_u64 v[4:5], v[6:7], 4, v[4:5]
	s_movk_i32 s0, 0xfdf0
	v_lshl_add_u64 v[6:7], s[22:23], 4, v[4:5]
	s_mov_b32 s1, -1
	v_lshl_add_u64 v[6:7], v[6:7], 0, s[0:1]
	v_mov_b32_e32 v151, v155
	s_movk_i32 s0, 0xfe00
	v_lshl_add_u64 v[4:5], v[4:5], 0, v[150:151]
	s_mov_b32 s1, -1
	v_lshl_add_u64 v[4:5], v[4:5], 0, s[0:1]
	v_cndmask_b32_e32 v9, v5, v7, vcc
	v_and_b32_e32 v5, 48, v159
	v_lshrrev_b32_e32 v10, 4, v42
	v_and_b32_e32 v11, 15, v159
	v_cndmask_b32_e32 v8, v4, v6, vcc
	v_mov_b32_e32 v4, 0x4300
	s_movk_i32 s3, 0x430
	v_lshlrev_b32_e32 v5, 4, v5
	v_lshl_add_u32 v160, v158, 6, v4
	v_lshlrev_b32_e32 v4, 6, v10
	v_mad_u32_u24 v164, v11, s3, v5
	v_or_b32_e32 v5, 0xf0, v150
	s_movk_i32 s0, 0x10c0
	v_mad_u32_u24 v163, v11, s3, v4
	v_mul_i32_i24_e32 v4, 0xffffffd0, v10
	v_mad_u32_u24 v165, v11, s3, v5
	s_mul_i32 s3, s41, 0xd0
	s_mul_hi_u32 s10, s40, 0xd0
	v_add_u32_e32 v151, 0x4300, v150
	v_add_u32_e32 v161, 0x4700, v150
	v_mad_u32_u24 v162, v158, s0, v150
	v_cmp_gt_u32_e64 s[0:1], 64, v42
	s_lshl_b64 s[8:9], s[40:41], 4
	s_add_i32 s11, s10, s3
	s_mul_i32 s10, s40, 0xd0
	s_mov_b32 s3, 0
	v_add_u32_e32 v166, v163, v4
	s_branch .LBB128_99
.LBB128_98:                             ;   in Loop: Header=BB128_99 Depth=1
	s_or_b64 exec, exec, s[12:13]
	v_mul_f64 v[132:133], v[6:7], v[34:35]
	v_fma_f64 v[132:133], v[4:5], v[32:33], -v[132:133]
	v_mul_f64 v[4:5], v[4:5], v[34:35]
	v_mul_f64 v[34:35], v[10:11], v[30:31]
	v_add_f64 v[0:1], v[0:1], v[132:133]
	v_fma_f64 v[34:35], v[8:9], v[28:29], -v[34:35]
	v_mul_f64 v[8:9], v[8:9], v[30:31]
	v_mul_f64 v[30:31], v[14:15], v[26:27]
	v_add_f64 v[0:1], v[0:1], v[34:35]
	v_fma_f64 v[30:31], v[12:13], v[24:25], -v[30:31]
	v_mul_f64 v[12:13], v[12:13], v[26:27]
	v_mul_f64 v[26:27], v[18:19], v[22:23]
	v_fmac_f64_e32 v[4:5], v[6:7], v[32:33]
	v_add_f64 v[0:1], v[0:1], v[30:31]
	v_fma_f64 v[26:27], v[16:17], v[20:21], -v[26:27]
	v_add_f64 v[2:3], v[2:3], v[4:5]
	v_mul_f64 v[4:5], v[38:39], v[70:71]
	v_add_f64 v[0:1], v[0:1], v[26:27]
	v_fma_f64 v[4:5], v[36:37], v[68:69], -v[4:5]
	v_add_f64 v[0:1], v[0:1], v[4:5]
	v_mul_f64 v[4:5], v[42:43], v[66:67]
	v_fma_f64 v[4:5], v[40:41], v[64:65], -v[4:5]
	v_add_f64 v[0:1], v[0:1], v[4:5]
	v_mul_f64 v[4:5], v[46:47], v[58:59]
	;; [unrolled: 3-line block ×4, first 2 shown]
	v_fmac_f64_e32 v[8:9], v[10:11], v[28:29]
	v_fma_f64 v[4:5], v[60:61], v[108:109], -v[4:5]
	v_mul_f64 v[16:17], v[16:17], v[22:23]
	v_add_f64 v[2:3], v[2:3], v[8:9]
	v_fmac_f64_e32 v[12:13], v[14:15], v[24:25]
	v_add_f64 v[0:1], v[0:1], v[4:5]
	v_mul_f64 v[4:5], v[74:75], v[106:107]
	v_add_f64 v[2:3], v[2:3], v[12:13]
	v_fmac_f64_e32 v[16:17], v[18:19], v[20:21]
	v_mul_f64 v[6:7], v[36:37], v[70:71]
	v_fma_f64 v[4:5], v[72:73], v[104:105], -v[4:5]
	v_add_f64 v[2:3], v[2:3], v[16:17]
	v_mul_f64 v[8:9], v[40:41], v[66:67]
	v_fmac_f64_e32 v[6:7], v[38:39], v[68:69]
	v_add_f64 v[0:1], v[0:1], v[4:5]
	v_mul_f64 v[4:5], v[78:79], v[98:99]
	v_mul_f64 v[10:11], v[44:45], v[58:59]
	v_add_f64 v[2:3], v[2:3], v[6:7]
	v_fmac_f64_e32 v[8:9], v[42:43], v[64:65]
	v_fma_f64 v[4:5], v[76:77], v[96:97], -v[4:5]
	v_mul_f64 v[12:13], v[48:49], v[54:55]
	v_add_f64 v[2:3], v[2:3], v[8:9]
	v_fmac_f64_e32 v[10:11], v[46:47], v[56:57]
	v_add_f64 v[0:1], v[0:1], v[4:5]
	v_mul_f64 v[4:5], v[82:83], v[86:87]
	v_add_f64 v[2:3], v[2:3], v[10:11]
	v_fmac_f64_e32 v[12:13], v[50:51], v[52:53]
	v_mul_f64 v[6:7], v[60:61], v[110:111]
	v_fma_f64 v[4:5], v[80:81], v[84:85], -v[4:5]
	v_add_f64 v[2:3], v[2:3], v[12:13]
	v_mul_f64 v[8:9], v[72:73], v[106:107]
	v_add_f64 v[0:1], v[0:1], v[4:5]
	v_fmac_f64_e32 v[6:7], v[62:63], v[108:109]
	v_mul_f64 v[4:5], v[90:91], v[118:119]
	v_mul_f64 v[10:11], v[76:77], v[98:99]
	v_add_f64 v[2:3], v[2:3], v[6:7]
	v_fmac_f64_e32 v[8:9], v[74:75], v[104:105]
	v_fma_f64 v[4:5], v[88:89], v[116:117], -v[4:5]
	v_mul_f64 v[12:13], v[80:81], v[86:87]
	v_add_f64 v[2:3], v[2:3], v[8:9]
	v_fmac_f64_e32 v[10:11], v[78:79], v[96:97]
	v_add_f64 v[0:1], v[0:1], v[4:5]
	v_mul_f64 v[4:5], v[94:95], v[122:123]
	v_add_f64 v[2:3], v[2:3], v[10:11]
	v_fmac_f64_e32 v[12:13], v[82:83], v[84:85]
	v_mul_f64 v[6:7], v[88:89], v[118:119]
	v_fma_f64 v[4:5], v[92:93], v[120:121], -v[4:5]
	v_add_f64 v[2:3], v[2:3], v[12:13]
	v_mul_f64 v[8:9], v[92:93], v[122:123]
	v_add_f64 v[0:1], v[0:1], v[4:5]
	v_mul_f64 v[4:5], v[102:103], v[126:127]
	v_fmac_f64_e32 v[6:7], v[90:91], v[116:117]
	v_fma_f64 v[4:5], v[100:101], v[124:125], -v[4:5]
	v_mul_f64 v[10:11], v[100:101], v[126:127]
	v_fmac_f64_e32 v[8:9], v[94:95], v[120:121]
	v_add_f64 v[2:3], v[2:3], v[6:7]
	v_add_f64 v[0:1], v[0:1], v[4:5]
	v_mul_f64 v[4:5], v[114:115], v[130:131]
	v_mul_f64 v[12:13], v[112:113], v[130:131]
	v_fmac_f64_e32 v[10:11], v[102:103], v[124:125]
	v_add_f64 v[2:3], v[2:3], v[8:9]
	v_fma_f64 v[4:5], v[112:113], v[128:129], -v[4:5]
	v_fmac_f64_e32 v[12:13], v[114:115], v[128:129]
	v_add_f64 v[2:3], v[2:3], v[10:11]
	s_add_i32 s3, s3, 64
	s_add_i32 s2, s2, -1
	v_add_f64 v[0:1], v[0:1], v[4:5]
	v_add_f64 v[2:3], v[2:3], v[12:13]
	s_cmp_eq_u32 s2, 0
	v_lshl_add_u64 v[8:9], v[156:157], 0, s[10:11]
	s_barrier
	s_cbranch_scc1 .LBB128_103
.LBB128_99:                             ; =>This Inner Loop Header: Depth=1
	s_and_saveexec_b64 s[12:13], s[18:19]
	s_cbranch_execz .LBB128_101
; %bb.100:                              ;   in Loop: Header=BB128_99 Depth=1
	s_mul_i32 s14, s49, s3
	s_mul_hi_u32 s15, s48, s3
	s_add_i32 s15, s15, s14
	s_mul_i32 s14, s48, s3
	v_lshl_add_u64 v[4:5], s[14:15], 4, v[152:153]
	global_load_dwordx4 v[4:7], v[4:5], off
	s_waitcnt vmcnt(0)
	ds_write2_b64 v151, v[4:5], v[6:7] offset1:1
.LBB128_101:                            ;   in Loop: Header=BB128_99 Depth=1
	s_or_b64 exec, exec, s[12:13]
	s_waitcnt lgkmcnt(0)
	s_barrier
	global_load_dwordx4 v[4:7], v[8:9], off
	v_lshl_add_u64 v[12:13], v[8:9], 0, s[8:9]
	global_load_dwordx4 v[8:11], v[12:13], off
	v_lshl_add_u64 v[16:17], v[12:13], 0, s[8:9]
	;; [unrolled: 2-line block ×3, first 2 shown]
	global_load_dwordx4 v[16:19], v[40:41], off
	ds_read_b128 v[36:39], v161
	ds_read_b128 v[32:35], v160
	ds_read_b128 v[28:31], v160 offset:16
	ds_read_b128 v[24:27], v160 offset:32
	;; [unrolled: 1-line block ×3, first 2 shown]
	v_lshl_add_u64 v[48:49], v[40:41], 0, s[10:11]
	s_waitcnt vmcnt(3) lgkmcnt(4)
	v_mul_f64 v[40:41], v[6:7], v[38:39]
	v_mul_f64 v[42:43], v[4:5], v[38:39]
	v_fma_f64 v[40:41], v[4:5], v[36:37], -v[40:41]
	v_fmac_f64_e32 v[42:43], v[6:7], v[36:37]
	s_waitcnt vmcnt(2)
	v_mul_f64 v[46:47], v[10:11], v[38:39]
	v_mul_f64 v[44:45], v[8:9], v[38:39]
	ds_write_b128 v162, v[40:43]
	v_fma_f64 v[42:43], v[8:9], v[36:37], -v[46:47]
	v_fmac_f64_e32 v[44:45], v[10:11], v[36:37]
	s_waitcnt vmcnt(1)
	v_mul_f64 v[40:41], v[14:15], v[38:39]
	v_mul_f64 v[46:47], v[12:13], v[38:39]
	ds_write_b128 v162, v[42:45] offset:1072
	v_fma_f64 v[44:45], v[12:13], v[36:37], -v[40:41]
	v_fmac_f64_e32 v[46:47], v[14:15], v[36:37]
	s_waitcnt vmcnt(0)
	v_mul_f64 v[42:43], v[18:19], v[38:39]
	v_mul_f64 v[40:41], v[16:17], v[38:39]
	ds_write_b128 v162, v[44:47] offset:2144
	v_fma_f64 v[38:39], v[16:17], v[36:37], -v[42:43]
	v_fmac_f64_e32 v[40:41], v[18:19], v[36:37]
	v_lshl_add_u64 v[44:45], v[48:49], 0, s[8:9]
	ds_write_b128 v162, v[38:41] offset:3216
	s_waitcnt lgkmcnt(0)
	s_barrier
	ds_read_b128 v[128:131], v163
	ds_read_b128 v[124:127], v163 offset:16
	ds_read_b128 v[120:123], v163 offset:32
	;; [unrolled: 1-line block ×3, first 2 shown]
	s_waitcnt lgkmcnt(0)
	s_barrier
	global_load_dwordx4 v[36:39], v[48:49], off
	global_load_dwordx4 v[40:43], v[44:45], off
	v_lshl_add_u64 v[48:49], v[44:45], 0, s[8:9]
	v_lshl_add_u64 v[52:53], v[48:49], 0, s[8:9]
	global_load_dwordx4 v[44:47], v[48:49], off
	v_lshl_add_u64 v[88:89], v[52:53], 0, s[10:11]
	global_load_dwordx4 v[48:51], v[52:53], off
	ds_read_b128 v[60:63], v161
	ds_read_b128 v[68:71], v160 offset:256
	ds_read_b128 v[64:67], v160 offset:272
	;; [unrolled: 1-line block ×4, first 2 shown]
	v_add_f64 v[128:129], v[128:129], 0
	v_add_f64 v[130:131], v[130:131], 0
	;; [unrolled: 1-line block ×8, first 2 shown]
	s_waitcnt vmcnt(3) lgkmcnt(4)
	v_mul_f64 v[72:73], v[38:39], v[62:63]
	v_mul_f64 v[74:75], v[36:37], v[62:63]
	s_waitcnt vmcnt(2)
	v_mul_f64 v[76:77], v[42:43], v[62:63]
	v_mul_f64 v[78:79], v[40:41], v[62:63]
	s_waitcnt vmcnt(1)
	;; [unrolled: 3-line block ×3, first 2 shown]
	v_mul_f64 v[84:85], v[50:51], v[62:63]
	v_mul_f64 v[86:87], v[48:49], v[62:63]
	v_fma_f64 v[72:73], v[36:37], v[60:61], -v[72:73]
	v_fma_f64 v[76:77], v[40:41], v[60:61], -v[76:77]
	v_fmac_f64_e32 v[74:75], v[38:39], v[60:61]
	v_fma_f64 v[80:81], v[44:45], v[60:61], -v[80:81]
	v_fma_f64 v[84:85], v[48:49], v[60:61], -v[84:85]
	v_fmac_f64_e32 v[78:79], v[42:43], v[60:61]
	v_fmac_f64_e32 v[82:83], v[46:47], v[60:61]
	;; [unrolled: 1-line block ×3, first 2 shown]
	ds_write_b128 v162, v[72:75]
	ds_write_b128 v162, v[76:79] offset:1072
	ds_write_b128 v162, v[80:83] offset:2144
	;; [unrolled: 1-line block ×3, first 2 shown]
	v_lshl_add_u64 v[76:77], v[88:89], 0, s[8:9]
	v_lshl_add_u64 v[80:81], v[76:77], 0, s[8:9]
	s_waitcnt lgkmcnt(0)
	s_barrier
	ds_read_b128 v[144:147], v163
	ds_read_b128 v[140:143], v163 offset:16
	ds_read_b128 v[136:139], v163 offset:32
	;; [unrolled: 1-line block ×3, first 2 shown]
	s_waitcnt lgkmcnt(0)
	s_barrier
	global_load_dwordx4 v[60:63], v[88:89], off
	global_load_dwordx4 v[72:75], v[76:77], off
	v_lshl_add_u64 v[84:85], v[80:81], 0, s[8:9]
	global_load_dwordx4 v[76:79], v[80:81], off
	v_lshl_add_u64 v[94:95], v[84:85], 0, s[10:11]
	global_load_dwordx4 v[80:83], v[84:85], off
	ds_read_b128 v[88:91], v161
	ds_read_b128 v[108:111], v160 offset:512
	ds_read_b128 v[104:107], v160 offset:528
	;; [unrolled: 1-line block ×4, first 2 shown]
	v_add_f64 v[116:117], v[144:145], 0
	v_add_f64 v[118:119], v[146:147], 0
	;; [unrolled: 1-line block ×8, first 2 shown]
	s_waitcnt vmcnt(3) lgkmcnt(4)
	v_mul_f64 v[100:101], v[62:63], v[90:91]
	v_mul_f64 v[92:93], v[60:61], v[90:91]
	s_waitcnt vmcnt(2)
	v_mul_f64 v[112:113], v[74:75], v[90:91]
	v_mul_f64 v[102:103], v[72:73], v[90:91]
	s_waitcnt vmcnt(1)
	;; [unrolled: 3-line block ×3, first 2 shown]
	v_mul_f64 v[168:169], v[82:83], v[90:91]
	v_mul_f64 v[170:171], v[80:81], v[90:91]
	v_fma_f64 v[90:91], v[60:61], v[88:89], -v[100:101]
	v_fma_f64 v[100:101], v[72:73], v[88:89], -v[112:113]
	v_fmac_f64_e32 v[92:93], v[62:63], v[88:89]
	v_fma_f64 v[112:113], v[76:77], v[88:89], -v[156:157]
	v_fma_f64 v[168:169], v[80:81], v[88:89], -v[168:169]
	v_fmac_f64_e32 v[102:103], v[74:75], v[88:89]
	v_fmac_f64_e32 v[114:115], v[78:79], v[88:89]
	;; [unrolled: 1-line block ×3, first 2 shown]
	ds_write_b128 v162, v[90:93]
	ds_write_b128 v162, v[100:103] offset:1072
	ds_write_b128 v162, v[112:115] offset:2144
	;; [unrolled: 1-line block ×3, first 2 shown]
	v_lshl_add_u64 v[100:101], v[94:95], 0, s[8:9]
	v_lshl_add_u64 v[112:113], v[100:101], 0, s[8:9]
	s_waitcnt lgkmcnt(0)
	s_barrier
	ds_read_b128 v[168:171], v163
	ds_read_b128 v[172:175], v163 offset:16
	ds_read_b128 v[176:179], v163 offset:32
	;; [unrolled: 1-line block ×3, first 2 shown]
	s_waitcnt lgkmcnt(0)
	s_barrier
	global_load_dwordx4 v[88:91], v[94:95], off
	v_lshl_add_u64 v[156:157], v[112:113], 0, s[8:9]
	global_load_dwordx4 v[92:95], v[100:101], off
	v_add_f64 v[140:141], v[168:169], 0
	global_load_dwordx4 v[100:103], v[112:113], off
	v_add_f64 v[142:143], v[170:171], 0
	global_load_dwordx4 v[112:115], v[156:157], off
	ds_read_b128 v[136:139], v161
	ds_read_b128 v[116:119], v160 offset:768
	ds_read_b128 v[120:123], v160 offset:784
	;; [unrolled: 1-line block ×4, first 2 shown]
	v_add_f64 v[140:141], v[140:141], v[172:173]
	v_add_f64 v[142:143], v[142:143], v[174:175]
	;; [unrolled: 1-line block ×6, first 2 shown]
	s_waitcnt vmcnt(3) lgkmcnt(4)
	v_mul_f64 v[144:145], v[90:91], v[138:139]
	v_mul_f64 v[146:147], v[88:89], v[138:139]
	s_waitcnt vmcnt(2)
	v_mul_f64 v[168:169], v[94:95], v[138:139]
	v_mul_f64 v[170:171], v[92:93], v[138:139]
	s_waitcnt vmcnt(1)
	;; [unrolled: 3-line block ×3, first 2 shown]
	v_mul_f64 v[176:177], v[114:115], v[138:139]
	v_mul_f64 v[178:179], v[112:113], v[138:139]
	v_fma_f64 v[144:145], v[88:89], v[136:137], -v[144:145]
	v_fma_f64 v[168:169], v[92:93], v[136:137], -v[168:169]
	;; [unrolled: 1-line block ×3, first 2 shown]
	v_fmac_f64_e32 v[146:147], v[90:91], v[136:137]
	v_fmac_f64_e32 v[170:171], v[94:95], v[136:137]
	;; [unrolled: 1-line block ×3, first 2 shown]
	v_fma_f64 v[176:177], v[112:113], v[136:137], -v[176:177]
	v_fmac_f64_e32 v[178:179], v[114:115], v[136:137]
	ds_write_b128 v162, v[144:147]
	ds_write_b128 v162, v[168:171] offset:1072
	ds_write_b128 v162, v[172:175] offset:2144
	;; [unrolled: 1-line block ×3, first 2 shown]
	s_waitcnt lgkmcnt(0)
	s_barrier
	ds_read_b128 v[136:139], v163
	ds_read_b128 v[144:147], v163 offset:16
	ds_read_b128 v[168:171], v163 offset:32
	;; [unrolled: 1-line block ×3, first 2 shown]
	s_waitcnt lgkmcnt(0)
	s_barrier
	ds_write_b128 v166, v[184:187]
	ds_write_b128 v166, v[132:135] offset:256
	ds_write_b128 v166, v[140:143] offset:512
	v_add_f64 v[132:133], v[136:137], 0
	v_add_f64 v[134:135], v[138:139], 0
	;; [unrolled: 1-line block ×8, first 2 shown]
	ds_write_b128 v166, v[132:135] offset:768
	s_waitcnt lgkmcnt(0)
	s_barrier
	s_and_saveexec_b64 s[12:13], s[0:1]
	s_cbranch_execz .LBB128_98
; %bb.102:                              ;   in Loop: Header=BB128_99 Depth=1
	ds_read_b128 v[132:135], v164
	ds_read_b128 v[136:139], v164 offset:16
	ds_read_b128 v[140:143], v164 offset:32
	;; [unrolled: 1-line block ×3, first 2 shown]
	v_add_u32_e32 v154, s3, v159
	s_waitcnt lgkmcnt(2)
	v_add_f64 v[132:133], v[136:137], v[132:133]
	v_add_f64 v[136:137], v[138:139], v[134:135]
	s_waitcnt lgkmcnt(1)
	v_add_f64 v[138:139], v[132:133], v[140:141]
	ds_read_b128 v[132:135], v164 offset:64
	v_add_f64 v[140:141], v[136:137], v[142:143]
	s_waitcnt lgkmcnt(1)
	v_add_f64 v[142:143], v[138:139], v[144:145]
	ds_read_b128 v[136:139], v164 offset:80
	;; [unrolled: 4-line block ×9, first 2 shown]
	v_add_f64 v[134:135], v[144:145], v[134:135]
	s_waitcnt lgkmcnt(1)
	v_add_f64 v[136:137], v[132:133], v[136:137]
	v_add_f64 v[144:145], v[134:135], v[138:139]
	ds_read_b128 v[132:135], v164 offset:208
	s_waitcnt lgkmcnt(1)
	v_add_f64 v[146:147], v[136:137], v[140:141]
	ds_read_b128 v[136:139], v164 offset:224
	v_add_f64 v[144:145], v[144:145], v[142:143]
	ds_read_b128 v[140:143], v165
	s_waitcnt lgkmcnt(2)
	v_add_f64 v[132:133], v[146:147], v[132:133]
	v_add_f64 v[134:135], v[144:145], v[134:135]
	s_waitcnt lgkmcnt(1)
	v_add_f64 v[132:133], v[132:133], v[136:137]
	v_add_f64 v[134:135], v[134:135], v[138:139]
	;; [unrolled: 3-line block ×3, first 2 shown]
	v_lshl_add_u64 v[136:137], v[154:155], 4, s[6:7]
	global_store_dwordx4 v[136:137], v[132:135], off
	s_branch .LBB128_98
.LBB128_103:
	s_movk_i32 s0, 0x430
	v_mad_u32_u24 v4, v158, s0, v150
	s_nor_b64 s[0:1], s[4:5], vcc
	ds_write_b128 v4, v[0:3]
	s_waitcnt lgkmcnt(0)
	s_barrier
	s_and_saveexec_b64 s[2:3], s[0:1]
	s_cbranch_execz .LBB128_105
; %bb.104:
	ds_read_b128 v[0:3], v150 offset:1072
	ds_read_b128 v[4:7], v150
	ds_read_b128 v[8:11], v150 offset:2144
	ds_read_b128 v[12:15], v150 offset:3216
	s_waitcnt lgkmcnt(2)
	v_add_f64 v[0:1], v[0:1], v[4:5]
	v_add_f64 v[2:3], v[2:3], v[6:7]
	s_waitcnt lgkmcnt(1)
	v_add_f64 v[0:1], v[0:1], v[8:9]
	v_add_f64 v[2:3], v[2:3], v[10:11]
	;; [unrolled: 3-line block ×3, first 2 shown]
	v_lshl_add_u64 v[4:5], v[148:149], 4, s[6:7]
	global_store_dwordx4 v[4:5], v[0:3], off
.LBB128_105:
	s_endpgm
	.section	.rodata,"a",@progbits
	.p2align	6, 0x0
	.amdhsa_kernel _ZL26rocblas_hemvn_kernel_lowerILb0ELi64ELi4ELi33ELi32ELi16El19rocblas_complex_numIdEPKS1_PS1_EviT6_lT7_lT5_lS6_lS7_lS5_lT8_i
		.amdhsa_group_segment_fixed_size 19200
		.amdhsa_private_segment_fixed_size 0
		.amdhsa_kernarg_size 392
		.amdhsa_user_sgpr_count 2
		.amdhsa_user_sgpr_dispatch_ptr 0
		.amdhsa_user_sgpr_queue_ptr 0
		.amdhsa_user_sgpr_kernarg_segment_ptr 1
		.amdhsa_user_sgpr_dispatch_id 0
		.amdhsa_user_sgpr_kernarg_preload_length 0
		.amdhsa_user_sgpr_kernarg_preload_offset 0
		.amdhsa_user_sgpr_private_segment_size 0
		.amdhsa_uses_dynamic_stack 0
		.amdhsa_enable_private_segment 0
		.amdhsa_system_sgpr_workgroup_id_x 1
		.amdhsa_system_sgpr_workgroup_id_y 0
		.amdhsa_system_sgpr_workgroup_id_z 1
		.amdhsa_system_sgpr_workgroup_info 0
		.amdhsa_system_vgpr_workitem_id 1
		.amdhsa_next_free_vgpr 188
		.amdhsa_next_free_sgpr 52
		.amdhsa_accum_offset 188
		.amdhsa_reserve_vcc 1
		.amdhsa_float_round_mode_32 0
		.amdhsa_float_round_mode_16_64 0
		.amdhsa_float_denorm_mode_32 3
		.amdhsa_float_denorm_mode_16_64 3
		.amdhsa_dx10_clamp 1
		.amdhsa_ieee_mode 1
		.amdhsa_fp16_overflow 0
		.amdhsa_tg_split 0
		.amdhsa_exception_fp_ieee_invalid_op 0
		.amdhsa_exception_fp_denorm_src 0
		.amdhsa_exception_fp_ieee_div_zero 0
		.amdhsa_exception_fp_ieee_overflow 0
		.amdhsa_exception_fp_ieee_underflow 0
		.amdhsa_exception_fp_ieee_inexact 0
		.amdhsa_exception_int_div_zero 0
	.end_amdhsa_kernel
	.section	.text._ZL26rocblas_hemvn_kernel_lowerILb0ELi64ELi4ELi33ELi32ELi16El19rocblas_complex_numIdEPKS1_PS1_EviT6_lT7_lT5_lS6_lS7_lS5_lT8_i,"axG",@progbits,_ZL26rocblas_hemvn_kernel_lowerILb0ELi64ELi4ELi33ELi32ELi16El19rocblas_complex_numIdEPKS1_PS1_EviT6_lT7_lT5_lS6_lS7_lS5_lT8_i,comdat
.Lfunc_end128:
	.size	_ZL26rocblas_hemvn_kernel_lowerILb0ELi64ELi4ELi33ELi32ELi16El19rocblas_complex_numIdEPKS1_PS1_EviT6_lT7_lT5_lS6_lS7_lS5_lT8_i, .Lfunc_end128-_ZL26rocblas_hemvn_kernel_lowerILb0ELi64ELi4ELi33ELi32ELi16El19rocblas_complex_numIdEPKS1_PS1_EviT6_lT7_lT5_lS6_lS7_lS5_lT8_i
                                        ; -- End function
	.set _ZL26rocblas_hemvn_kernel_lowerILb0ELi64ELi4ELi33ELi32ELi16El19rocblas_complex_numIdEPKS1_PS1_EviT6_lT7_lT5_lS6_lS7_lS5_lT8_i.num_vgpr, 188
	.set _ZL26rocblas_hemvn_kernel_lowerILb0ELi64ELi4ELi33ELi32ELi16El19rocblas_complex_numIdEPKS1_PS1_EviT6_lT7_lT5_lS6_lS7_lS5_lT8_i.num_agpr, 0
	.set _ZL26rocblas_hemvn_kernel_lowerILb0ELi64ELi4ELi33ELi32ELi16El19rocblas_complex_numIdEPKS1_PS1_EviT6_lT7_lT5_lS6_lS7_lS5_lT8_i.numbered_sgpr, 52
	.set _ZL26rocblas_hemvn_kernel_lowerILb0ELi64ELi4ELi33ELi32ELi16El19rocblas_complex_numIdEPKS1_PS1_EviT6_lT7_lT5_lS6_lS7_lS5_lT8_i.num_named_barrier, 0
	.set _ZL26rocblas_hemvn_kernel_lowerILb0ELi64ELi4ELi33ELi32ELi16El19rocblas_complex_numIdEPKS1_PS1_EviT6_lT7_lT5_lS6_lS7_lS5_lT8_i.private_seg_size, 0
	.set _ZL26rocblas_hemvn_kernel_lowerILb0ELi64ELi4ELi33ELi32ELi16El19rocblas_complex_numIdEPKS1_PS1_EviT6_lT7_lT5_lS6_lS7_lS5_lT8_i.uses_vcc, 1
	.set _ZL26rocblas_hemvn_kernel_lowerILb0ELi64ELi4ELi33ELi32ELi16El19rocblas_complex_numIdEPKS1_PS1_EviT6_lT7_lT5_lS6_lS7_lS5_lT8_i.uses_flat_scratch, 0
	.set _ZL26rocblas_hemvn_kernel_lowerILb0ELi64ELi4ELi33ELi32ELi16El19rocblas_complex_numIdEPKS1_PS1_EviT6_lT7_lT5_lS6_lS7_lS5_lT8_i.has_dyn_sized_stack, 0
	.set _ZL26rocblas_hemvn_kernel_lowerILb0ELi64ELi4ELi33ELi32ELi16El19rocblas_complex_numIdEPKS1_PS1_EviT6_lT7_lT5_lS6_lS7_lS5_lT8_i.has_recursion, 0
	.set _ZL26rocblas_hemvn_kernel_lowerILb0ELi64ELi4ELi33ELi32ELi16El19rocblas_complex_numIdEPKS1_PS1_EviT6_lT7_lT5_lS6_lS7_lS5_lT8_i.has_indirect_call, 0
	.section	.AMDGPU.csdata,"",@progbits
; Kernel info:
; codeLenInByte = 8996
; TotalNumSgprs: 58
; NumVgprs: 188
; NumAgprs: 0
; TotalNumVgprs: 188
; ScratchSize: 0
; MemoryBound: 0
; FloatMode: 240
; IeeeMode: 1
; LDSByteSize: 19200 bytes/workgroup (compile time only)
; SGPRBlocks: 7
; VGPRBlocks: 23
; NumSGPRsForWavesPerEU: 58
; NumVGPRsForWavesPerEU: 188
; AccumOffset: 188
; Occupancy: 2
; WaveLimiterHint : 0
; COMPUTE_PGM_RSRC2:SCRATCH_EN: 0
; COMPUTE_PGM_RSRC2:USER_SGPR: 2
; COMPUTE_PGM_RSRC2:TRAP_HANDLER: 0
; COMPUTE_PGM_RSRC2:TGID_X_EN: 1
; COMPUTE_PGM_RSRC2:TGID_Y_EN: 0
; COMPUTE_PGM_RSRC2:TGID_Z_EN: 1
; COMPUTE_PGM_RSRC2:TIDIG_COMP_CNT: 1
; COMPUTE_PGM_RSRC3_GFX90A:ACCUM_OFFSET: 46
; COMPUTE_PGM_RSRC3_GFX90A:TG_SPLIT: 0
	.section	.text._ZL26rocblas_hemvn_kernel_lowerILb0ELi64ELi4ELi33ELi32ELi16Ei19rocblas_complex_numIdEPKS1_PS1_EviT6_lT7_lT5_lS6_lS7_lS5_lT8_i,"axG",@progbits,_ZL26rocblas_hemvn_kernel_lowerILb0ELi64ELi4ELi33ELi32ELi16Ei19rocblas_complex_numIdEPKS1_PS1_EviT6_lT7_lT5_lS6_lS7_lS5_lT8_i,comdat
	.globl	_ZL26rocblas_hemvn_kernel_lowerILb0ELi64ELi4ELi33ELi32ELi16Ei19rocblas_complex_numIdEPKS1_PS1_EviT6_lT7_lT5_lS6_lS7_lS5_lT8_i ; -- Begin function _ZL26rocblas_hemvn_kernel_lowerILb0ELi64ELi4ELi33ELi32ELi16Ei19rocblas_complex_numIdEPKS1_PS1_EviT6_lT7_lT5_lS6_lS7_lS5_lT8_i
	.p2align	8
	.type	_ZL26rocblas_hemvn_kernel_lowerILb0ELi64ELi4ELi33ELi32ELi16Ei19rocblas_complex_numIdEPKS1_PS1_EviT6_lT7_lT5_lS6_lS7_lS5_lT8_i,@function
_ZL26rocblas_hemvn_kernel_lowerILb0ELi64ELi4ELi33ELi32ELi16Ei19rocblas_complex_numIdEPKS1_PS1_EviT6_lT7_lT5_lS6_lS7_lS5_lT8_i: ; @_ZL26rocblas_hemvn_kernel_lowerILb0ELi64ELi4ELi33ELi32ELi16Ei19rocblas_complex_numIdEPKS1_PS1_EviT6_lT7_lT5_lS6_lS7_lS5_lT8_i
; %bb.0:
	s_load_dwordx2 s[4:5], s[0:1], 0x94
	s_add_u32 s12, s0, 0x88
	s_addc_u32 s13, s1, 0
	s_waitcnt lgkmcnt(0)
	s_lshr_b32 s6, s4, 16
	s_and_b32 s4, s4, 0xffff
	s_and_b32 s5, s5, 0xffff
	s_mul_i32 s4, s6, s4
	s_mul_i32 s4, s4, s5
	s_cmpk_lg_i32 s4, 0x100
	s_cbranch_scc1 .LBB129_105
; %bb.1:
	s_load_dwordx4 s[16:19], s[0:1], 0x8
	s_load_dwordx4 s[4:7], s[0:1], 0x58
	s_load_dwordx2 s[10:11], s[0:1], 0x68
	s_waitcnt lgkmcnt(0)
	v_cmp_neq_f64_e64 s[8:9], s[16:17], 0
	v_cmp_neq_f64_e64 s[14:15], s[18:19], 0
	s_or_b64 s[8:9], s[8:9], s[14:15]
	s_mov_b64 s[14:15], -1
	s_and_b64 vcc, exec, s[8:9]
	s_cbranch_vccnz .LBB129_3
; %bb.2:
	v_cmp_neq_f64_e64 s[6:7], s[6:7], 1.0
	v_cmp_neq_f64_e64 s[10:11], s[10:11], 0
	s_or_b64 s[14:15], s[6:7], s[10:11]
.LBB129_3:
	s_andn2_b64 vcc, exec, s[14:15]
	s_cbranch_vccnz .LBB129_105
; %bb.4:
	s_andn2_b64 vcc, exec, s[8:9]
	s_cbranch_vccnz .LBB129_105
; %bb.5:
	s_load_dword s37, s[12:13], 0x0
	s_load_dword s36, s[0:1], 0x0
	s_load_dwordx4 s[8:11], s[0:1], 0x38
	s_load_dwordx2 s[6:7], s[0:1], 0x48
	s_load_dword s33, s[0:1], 0x50
	s_mul_i32 s5, s5, s3
	s_mul_hi_u32 s12, s4, s3
	s_add_i32 s5, s12, s5
	s_mul_i32 s4, s4, s3
	s_lshl_b64 s[4:5], s[4:5], 4
	s_waitcnt lgkmcnt(0)
	s_add_u32 s10, s10, s4
	s_addc_u32 s11, s11, s5
	s_lshl_b64 s[4:5], s[6:7], 4
	s_add_u32 s4, s10, s4
	s_addc_u32 s5, s11, s5
	s_ashr_i32 s38, s36, 31
	s_lshr_b32 s7, s38, 26
	v_and_b32_e32 v150, 0x3ff, v0
	s_lshl_b32 s26, s2, 6
	s_add_i32 s7, s36, s7
	s_andn2_b32 s7, s7, 63
	v_add_u32_e32 v148, s26, v150
	v_bfe_u32 v149, v0, 10, 10
	s_add_i32 s6, s37, -1
	s_sub_i32 s7, s36, s7
	v_mul_lo_u32 v0, s33, v148
	s_cmp_eq_u32 s2, s6
	v_ashrrev_i32_e32 v1, 31, v0
	s_cselect_b32 s22, s7, 0
	v_lshl_add_u64 v[36:37], v[0:1], 4, s[4:5]
	v_cmp_ne_u32_e64 s[4:5], 0, v149
	v_cmp_eq_u32_e64 s[18:19], 0, v149
	s_and_saveexec_b64 s[6:7], s[18:19]
	s_cbranch_execz .LBB129_10
; %bb.6:
	s_cmp_lg_u32 s22, 0
	s_cselect_b64 s[10:11], -1, 0
	v_cmp_le_i32_e32 vcc, s22, v150
	v_mov_b32_e32 v0, 0x4700
	s_and_b64 s[10:11], s[10:11], vcc
	v_lshl_add_u32 v0, v150, 4, v0
	s_and_saveexec_b64 s[12:13], s[10:11]
	s_xor_b64 s[10:11], exec, s[12:13]
; %bb.7:
	v_mov_b32_e32 v2, 0
	v_mov_b32_e32 v3, v2
	;; [unrolled: 1-line block ×4, first 2 shown]
	ds_write_b128 v0, v[2:5]
                                        ; implicit-def: $vgpr0
; %bb.8:
	s_andn2_saveexec_b64 s[10:11], s[10:11]
	s_cbranch_execz .LBB129_10
; %bb.9:
	global_load_dwordx4 v[2:5], v[36:37], off
	s_waitcnt vmcnt(0)
	ds_write2_b64 v0, v[2:3], v[4:5] offset1:1
.LBB129_10:
	s_or_b64 exec, exec, s[6:7]
	s_load_dwordx4 s[12:15], s[0:1], 0x20
	s_load_dword s24, s[0:1], 0x30
	s_mul_i32 s6, s9, s3
	s_mul_hi_u32 s7, s8, s3
	s_add_i32 s7, s7, s6
	s_mul_i32 s6, s8, s3
	s_lshl_b64 s[6:7], s[6:7], 4
	s_waitcnt lgkmcnt(0)
	s_add_u32 s8, s12, s6
	s_addc_u32 s9, s13, s7
	s_lshl_b64 s[6:7], s[14:15], 4
	s_add_u32 s8, s8, s6
	s_addc_u32 s9, s9, s7
	s_ashr_i32 s27, s26, 31
	v_lshl_add_u32 v42, v149, 6, v150
	s_lshl_b64 s[6:7], s[26:27], 4
	v_and_b32_e32 v6, 31, v150
	v_lshrrev_b32_e32 v12, 5, v42
	s_add_u32 s6, s8, s6
	s_mul_i32 s28, s24, s26
	s_addc_u32 s7, s9, s7
	v_mad_u64_u32 v[38:39], s[8:9], s24, v12, v[6:7]
	s_ashr_i32 s29, s28, 31
	v_ashrrev_i32_e32 v39, 31, v38
	s_cmp_lg_u32 s22, 0
	v_lshl_add_u64 v[0:1], v[38:39], 4, s[6:7]
	s_cselect_b64 s[30:31], -1, 0
	s_cmp_eq_u32 s22, 0
	v_lshl_add_u64 v[8:9], s[28:29], 4, v[0:1]
	s_cselect_b64 s[20:21], -1, 0
	s_mov_b64 s[6:7], -1
	s_and_b64 vcc, exec, s[30:31]
	s_cbranch_vccnz .LBB129_12
; %bb.11:
	s_lshl_b32 s6, s24, 3
	s_ashr_i32 s7, s6, 31
	s_ashr_i32 s25, s24, 31
	v_lshl_add_u64 v[4:5], s[6:7], 4, v[8:9]
	s_lshl_b64 s[6:7], s[24:25], 7
	global_load_dwordx4 v[0:3], v[8:9], off
	v_lshl_add_u64 v[10:11], v[4:5], 0, s[6:7]
	global_load_dwordx4 v[14:17], v[4:5], off
	global_load_dwordx4 v[18:21], v[10:11], off
	v_lshl_add_u64 v[4:5], v[10:11], 0, s[6:7]
	global_load_dwordx4 v[22:25], v[4:5], off
	v_mul_u32_u24_e32 v4, 0x210, v12
	v_lshl_add_u32 v4, v6, 4, v4
	s_mov_b64 s[6:7], 0
	v_add_u32_e32 v5, 0x1080, v4
	v_add_u32_e32 v7, 0x2100, v4
	;; [unrolled: 1-line block ×3, first 2 shown]
	s_waitcnt vmcnt(3)
	ds_write2_b64 v4, v[0:1], v[2:3] offset1:1
	s_waitcnt vmcnt(2)
	ds_write2_b64 v5, v[14:15], v[16:17] offset1:1
	;; [unrolled: 2-line block ×4, first 2 shown]
.LBB129_12:
	s_andn2_b64 vcc, exec, s[6:7]
	v_lshlrev_b32_e32 v4, 4, v6
	s_cbranch_vccnz .LBB129_30
; %bb.13:
	v_sub_co_u32_e32 v0, vcc, v8, v4
	s_ashr_i32 s23, s22, 31
	s_nop 0
	v_subbrev_co_u32_e32 v1, vcc, 0, v9, vcc
	v_lshl_add_u64 v[0:1], s[22:23], 4, v[0:1]
	v_lshl_add_u64 v[0:1], v[0:1], 0, -16
	v_cmp_gt_i32_e32 vcc, s22, v6
	s_movk_i32 s8, 0x210
	v_cmp_le_i32_e64 s[6:7], s22, v12
	v_cndmask_b32_e32 v1, v1, v9, vcc
	v_cndmask_b32_e32 v0, v0, v8, vcc
	v_mad_u32_u24 v2, v12, s8, v4
	s_and_saveexec_b64 s[8:9], s[6:7]
	s_xor_b64 s[6:7], exec, s[8:9]
; %bb.14:
	v_mov_b32_e32 v14, 0
	v_mov_b32_e32 v15, v14
	;; [unrolled: 1-line block ×4, first 2 shown]
	ds_write_b128 v2, v[14:17]
                                        ; implicit-def: $vgpr2
; %bb.15:
	s_andn2_saveexec_b64 s[6:7], s[6:7]
	s_cbranch_execz .LBB129_17
; %bb.16:
	global_load_dwordx4 v[14:17], v[0:1], off
	s_waitcnt vmcnt(0)
	ds_write2_b64 v2, v[14:15], v[16:17] offset1:1
.LBB129_17:
	s_or_b64 exec, exec, s[6:7]
	v_add_u32_e32 v3, 8, v12
	v_mul_u32_u24_e32 v2, 0x210, v12
	v_cmp_le_i32_e64 s[6:7], s22, v3
	s_and_saveexec_b64 s[8:9], s[6:7]
	s_xor_b64 s[6:7], exec, s[8:9]
	s_cbranch_execz .LBB129_19
; %bb.18:
	v_mov_b32_e32 v14, 0
	v_add_u32_e32 v3, v2, v4
	v_mov_b32_e32 v15, v14
	v_mov_b32_e32 v16, v14
	;; [unrolled: 1-line block ×3, first 2 shown]
	ds_write_b128 v3, v[14:17] offset:4224
.LBB129_19:
	s_andn2_saveexec_b64 s[6:7], s[6:7]
	s_cbranch_execz .LBB129_21
; %bb.20:
	s_lshl_b32 s8, s24, 3
	s_ashr_i32 s9, s8, 31
	v_lshl_add_u64 v[10:11], s[8:9], 4, v[0:1]
	global_load_dwordx4 v[14:17], v[10:11], off
	s_movk_i32 s8, 0x1080
	v_add3_u32 v3, v2, v4, s8
	s_waitcnt vmcnt(0)
	ds_write2_b64 v3, v[14:15], v[16:17] offset1:1
.LBB129_21:
	s_or_b64 exec, exec, s[6:7]
	v_add_u32_e32 v3, 16, v12
	v_cmp_le_i32_e64 s[6:7], s22, v3
	s_and_saveexec_b64 s[8:9], s[6:7]
	s_xor_b64 s[6:7], exec, s[8:9]
	s_cbranch_execz .LBB129_23
; %bb.22:
	v_mov_b32_e32 v14, 0
	v_add_u32_e32 v3, v2, v4
	v_mov_b32_e32 v15, v14
	v_mov_b32_e32 v16, v14
	;; [unrolled: 1-line block ×3, first 2 shown]
	ds_write_b128 v3, v[14:17] offset:8448
.LBB129_23:
	s_andn2_saveexec_b64 s[6:7], s[6:7]
	s_cbranch_execz .LBB129_25
; %bb.24:
	s_lshl_b32 s8, s24, 4
	s_ashr_i32 s9, s8, 31
	v_lshl_add_u64 v[10:11], s[8:9], 4, v[0:1]
	global_load_dwordx4 v[14:17], v[10:11], off
	s_movk_i32 s8, 0x2100
	v_add3_u32 v3, v2, v4, s8
	s_waitcnt vmcnt(0)
	ds_write2_b64 v3, v[14:15], v[16:17] offset1:1
.LBB129_25:
	s_or_b64 exec, exec, s[6:7]
	v_add_u32_e32 v3, 24, v12
	v_cmp_le_i32_e64 s[6:7], s22, v3
	s_and_saveexec_b64 s[8:9], s[6:7]
	s_xor_b64 s[6:7], exec, s[8:9]
	s_cbranch_execz .LBB129_27
; %bb.26:
	v_mov_b32_e32 v14, 0
	v_add_u32_e32 v2, v2, v4
	v_mov_b32_e32 v15, v14
	v_mov_b32_e32 v16, v14
	;; [unrolled: 1-line block ×3, first 2 shown]
	ds_write_b128 v2, v[14:17] offset:12672
                                        ; implicit-def: $vgpr2
.LBB129_27:
	s_andn2_saveexec_b64 s[6:7], s[6:7]
	s_cbranch_execz .LBB129_29
; %bb.28:
	s_mul_i32 s8, s24, 24
	s_ashr_i32 s9, s8, 31
	v_lshl_add_u64 v[10:11], s[8:9], 4, v[0:1]
	global_load_dwordx4 v[14:17], v[10:11], off
	s_movk_i32 s8, 0x3180
	v_add3_u32 v2, v2, v4, s8
	s_waitcnt vmcnt(0)
	ds_write2_b64 v2, v[14:15], v[16:17] offset1:1
.LBB129_29:
	s_or_b64 exec, exec, s[6:7]
	v_mov_b32_e32 v5, 0
	v_lshl_add_u64 v[0:1], v[0:1], 0, v[4:5]
	s_lshl_b64 s[6:7], s[22:23], 4
	v_mov_b32_e32 v2, s7
	v_subrev_co_u32_e64 v0, s[6:7], s6, v0
	s_nop 1
	v_subb_co_u32_e64 v1, s[6:7], v1, v2, s[6:7]
	v_lshl_add_u64 v[0:1], v[0:1], 0, 16
	v_cndmask_b32_e32 v9, v1, v9, vcc
	v_cndmask_b32_e32 v8, v0, v8, vcc
.LBB129_30:
	v_lshlrev_b32_e32 v13, 2, v12
	v_lshl_or_b32 v1, v6, 9, v4
	v_cmp_lt_u32_e64 s[8:9], v13, v6
	s_waitcnt lgkmcnt(0)
	s_barrier
	s_and_saveexec_b64 s[6:7], s[8:9]
	s_cbranch_execz .LBB129_32
; %bb.31:
	s_movk_i32 s10, 0x840
	v_mad_u32_u24 v0, v12, s10, v4
	ds_read_b128 v[14:17], v0
	v_lshl_add_u32 v0, v13, 4, v1
	s_waitcnt lgkmcnt(0)
	ds_write_b128 v0, v[14:17]
.LBB129_32:
	s_or_b64 exec, exec, s[6:7]
	v_or_b32_e32 v0, 1, v13
	v_cmp_lt_u32_e64 s[10:11], v0, v6
	s_and_saveexec_b64 s[6:7], s[10:11]
	s_cbranch_execz .LBB129_34
; %bb.33:
	s_movk_i32 s12, 0x210
	v_mad_u32_u24 v2, v0, s12, v4
	ds_read_b128 v[14:17], v2
	v_lshl_add_u32 v2, v13, 4, v1
	s_waitcnt lgkmcnt(0)
	ds_write_b128 v2, v[14:17] offset:16
.LBB129_34:
	s_or_b64 exec, exec, s[6:7]
	v_or_b32_e32 v2, 2, v13
	v_cmp_lt_u32_e64 s[12:13], v2, v6
	s_and_saveexec_b64 s[6:7], s[12:13]
	s_cbranch_execz .LBB129_36
; %bb.35:
	s_movk_i32 s14, 0x210
	v_mad_u32_u24 v2, v2, s14, v4
	ds_read_b128 v[14:17], v2
	v_lshl_add_u32 v2, v13, 4, v1
	s_waitcnt lgkmcnt(0)
	ds_write_b128 v2, v[14:17] offset:32
.LBB129_36:
	s_or_b64 exec, exec, s[6:7]
	v_or_b32_e32 v3, 3, v13
	v_cmp_lt_u32_e64 s[14:15], v3, v6
	v_cmp_ge_u32_e32 vcc, v3, v6
                                        ; implicit-def: $vgpr2
	s_and_saveexec_b64 s[6:7], vcc
	s_xor_b64 s[6:7], exec, s[6:7]
; %bb.37:
	v_mul_u32_u24_e32 v2, 0x210, v3
                                        ; implicit-def: $vgpr1
                                        ; implicit-def: $vgpr3
; %bb.38:
	s_andn2_saveexec_b64 s[6:7], s[6:7]
	s_cbranch_execz .LBB129_40
; %bb.39:
	s_movk_i32 s16, 0x210
	v_mad_u32_u24 v2, v3, s16, v4
	ds_read_b128 v[14:17], v2
	v_lshl_add_u32 v1, v13, 4, v1
	v_mul_u32_u24_e32 v2, 0x210, v3
	s_waitcnt lgkmcnt(0)
	ds_write_b128 v1, v[14:17] offset:48
.LBB129_40:
	s_or_b64 exec, exec, s[6:7]
	s_movk_i32 s6, 0x840
	v_mad_u32_u24 v7, v12, s6, v4
	s_movk_i32 s6, 0x210
	v_lshlrev_b32_e32 v14, 4, v13
	v_mad_u32_u24 v15, v0, s6, v4
	s_waitcnt lgkmcnt(0)
	s_barrier
	ds_read_b128 v[16:19], v14 offset:18176
	ds_read_b128 v[20:23], v14 offset:18192
	ds_read_b128 v[24:27], v7
	ds_read_b128 v[28:31], v14 offset:18208
	ds_read_b128 v[32:35], v14 offset:18224
	ds_read_b128 v[44:47], v15
	v_cmp_gt_u32_e64 s[6:7], 32, v42
	s_waitcnt lgkmcnt(3)
	v_mul_f64 v[0:1], v[18:19], v[26:27]
	v_fma_f64 v[10:11], v[16:17], v[24:25], -v[0:1]
	v_mul_f64 v[16:17], v[16:17], v[26:27]
	v_fmac_f64_e32 v[16:17], v[18:19], v[24:25]
	s_waitcnt lgkmcnt(0)
	v_mul_f64 v[26:27], v[20:21], v[46:47]
	v_add_f64 v[16:17], v[16:17], 0
	v_mul_f64 v[18:19], v[22:23], v[46:47]
	v_fmac_f64_e32 v[26:27], v[22:23], v[44:45]
	v_add_f64 v[10:11], v[10:11], 0
	v_fma_f64 v[24:25], v[20:21], v[44:45], -v[18:19]
	ds_read_b128 v[18:21], v15 offset:528
	v_add_f64 v[26:27], v[16:17], v[26:27]
	v_add_u32_e32 v16, v4, v2
	v_add_f64 v[10:11], v[10:11], v[24:25]
	ds_read_b128 v[22:25], v16
	s_waitcnt lgkmcnt(1)
	v_mul_f64 v[2:3], v[30:31], v[20:21]
	v_mul_f64 v[20:21], v[28:29], v[20:21]
	v_fma_f64 v[2:3], v[28:29], v[18:19], -v[2:3]
	v_fmac_f64_e32 v[20:21], v[30:31], v[18:19]
	s_waitcnt lgkmcnt(0)
	v_mul_f64 v[18:19], v[34:35], v[24:25]
	v_add_f64 v[2:3], v[10:11], v[2:3]
	v_fma_f64 v[18:19], v[32:33], v[22:23], -v[18:19]
	v_add_f64 v[10:11], v[26:27], v[20:21]
	v_mul_f64 v[20:21], v[32:33], v[24:25]
	v_add_f64 v[18:19], v[2:3], v[18:19]
	v_mul_u32_u24_e32 v2, 33, v6
	v_fmac_f64_e32 v[20:21], v[34:35], v[22:23]
	v_lshlrev_b32_e32 v43, 4, v2
	v_mov_b64_e32 v[0:1], 0
	v_add_f64 v[20:21], v[10:11], v[20:21]
	v_lshl_add_u32 v44, v12, 4, v43
	v_mov_b64_e32 v[2:3], 0
	s_barrier
	ds_write_b128 v44, v[18:21]
	s_waitcnt lgkmcnt(0)
	s_barrier
	s_and_saveexec_b64 s[16:17], s[6:7]
	s_cbranch_execz .LBB129_42
; %bb.41:
	ds_read_b128 v[0:3], v43
	ds_read_b128 v[18:21], v43 offset:16
	ds_read_b128 v[22:25], v43 offset:32
	;; [unrolled: 1-line block ×3, first 2 shown]
	s_waitcnt lgkmcnt(2)
	v_add_f64 v[0:1], v[18:19], v[0:1]
	v_add_f64 v[10:11], v[20:21], v[2:3]
	s_waitcnt lgkmcnt(1)
	v_add_f64 v[18:19], v[0:1], v[22:23]
	ds_read_b128 v[0:3], v43 offset:64
	v_add_f64 v[10:11], v[10:11], v[24:25]
	s_waitcnt lgkmcnt(1)
	v_add_f64 v[22:23], v[18:19], v[26:27]
	ds_read_b128 v[18:21], v43 offset:80
	v_add_f64 v[10:11], v[10:11], v[28:29]
	s_waitcnt lgkmcnt(1)
	v_add_f64 v[26:27], v[22:23], v[0:1]
	ds_read_b128 v[22:25], v43 offset:96
	v_add_f64 v[10:11], v[10:11], v[2:3]
	ds_read_b128 v[0:3], v43 offset:112
	s_waitcnt lgkmcnt(2)
	v_add_f64 v[18:19], v[26:27], v[18:19]
	v_add_f64 v[10:11], v[10:11], v[20:21]
	s_waitcnt lgkmcnt(1)
	v_add_f64 v[18:19], v[18:19], v[22:23]
	v_add_f64 v[10:11], v[10:11], v[24:25]
	;; [unrolled: 3-line block ×3, first 2 shown]
.LBB129_42:
	s_or_b64 exec, exec, s[16:17]
	s_lshl_b32 s34, s24, 5
	s_ashr_i32 s35, s34, 31
	v_lshl_add_u64 v[10:11], s[34:35], 4, v[8:9]
	s_mov_b64 s[16:17], 0x200
	v_cndmask_b32_e64 v5, 0, 1, s[20:21]
	v_lshl_add_u64 v[8:9], v[10:11], 0, s[16:17]
	v_cmp_ne_u32_e64 s[16:17], 1, v5
	s_andn2_b64 vcc, exec, s[20:21]
	s_mov_b64 s[20:21], -1
	s_barrier
	s_cbranch_vccnz .LBB129_44
; %bb.43:
	s_lshl_b32 s20, s24, 3
	s_ashr_i32 s21, s20, 31
	s_ashr_i32 s25, s24, 31
	v_lshl_add_u64 v[30:31], s[20:21], 4, v[10:11]
	s_lshl_b64 s[20:21], s[24:25], 7
	global_load_dwordx4 v[18:21], v[8:9], off
	v_lshl_add_u64 v[32:33], v[30:31], 0, s[20:21]
	global_load_dwordx4 v[22:25], v[30:31], off offset:512
	global_load_dwordx4 v[26:29], v[32:33], off offset:512
	v_lshl_add_u64 v[30:31], v[32:33], 0, s[20:21]
	global_load_dwordx4 v[30:33], v[30:31], off offset:512
	s_movk_i32 s20, 0x210
	v_mad_u32_u24 v5, v12, s20, v4
	s_mov_b64 s[20:21], 0
	v_add_u32_e32 v17, 0x1080, v5
	v_add_u32_e32 v34, 0x2100, v5
	;; [unrolled: 1-line block ×3, first 2 shown]
	s_waitcnt vmcnt(3)
	ds_write2_b64 v5, v[18:19], v[20:21] offset1:1
	s_waitcnt vmcnt(2)
	ds_write2_b64 v17, v[22:23], v[24:25] offset1:1
	;; [unrolled: 2-line block ×4, first 2 shown]
.LBB129_44:
	s_andn2_b64 vcc, exec, s[20:21]
	s_cbranch_vccnz .LBB129_62
; %bb.45:
	v_sub_co_u32_e32 v10, vcc, v10, v4
	s_ashr_i32 s23, s22, 31
	s_nop 0
	v_subbrev_co_u32_e32 v11, vcc, 0, v11, vcc
	v_or_b32_e32 v5, 32, v6
	v_lshl_add_u64 v[10:11], s[22:23], 4, v[10:11]
	v_lshl_add_u64 v[10:11], v[10:11], 0, -16
	v_cmp_gt_i32_e32 vcc, s22, v5
	s_sub_i32 s25, s22, 32
	s_movk_i32 s27, 0x210
	v_cndmask_b32_e32 v11, v11, v9, vcc
	v_cndmask_b32_e32 v10, v10, v8, vcc
	v_cmp_le_i32_e64 s[20:21], s25, v12
	v_mad_u32_u24 v5, v12, s27, v4
	s_and_saveexec_b64 s[40:41], s[20:21]
	s_xor_b64 s[20:21], exec, s[40:41]
; %bb.46:
	v_mov_b32_e32 v18, 0
	v_mov_b32_e32 v19, v18
	;; [unrolled: 1-line block ×4, first 2 shown]
	ds_write_b128 v5, v[18:21]
                                        ; implicit-def: $vgpr5
; %bb.47:
	s_andn2_saveexec_b64 s[20:21], s[20:21]
	s_cbranch_execz .LBB129_49
; %bb.48:
	global_load_dwordx4 v[18:21], v[10:11], off
	s_waitcnt vmcnt(0)
	ds_write2_b64 v5, v[18:19], v[20:21] offset1:1
.LBB129_49:
	s_or_b64 exec, exec, s[20:21]
	v_add_u32_e32 v17, 8, v12
	v_mul_u32_u24_e32 v5, 0x210, v12
	v_cmp_le_i32_e64 s[20:21], s25, v17
	s_and_saveexec_b64 s[40:41], s[20:21]
	s_xor_b64 s[20:21], exec, s[40:41]
	s_cbranch_execz .LBB129_51
; %bb.50:
	v_mov_b32_e32 v18, 0
	v_add_u32_e32 v17, v5, v4
	v_mov_b32_e32 v19, v18
	v_mov_b32_e32 v20, v18
	;; [unrolled: 1-line block ×3, first 2 shown]
	ds_write_b128 v17, v[18:21] offset:4224
.LBB129_51:
	s_andn2_saveexec_b64 s[20:21], s[20:21]
	s_cbranch_execz .LBB129_53
; %bb.52:
	s_lshl_b32 s40, s24, 3
	s_ashr_i32 s41, s40, 31
	v_lshl_add_u64 v[18:19], s[40:41], 4, v[10:11]
	global_load_dwordx4 v[18:21], v[18:19], off
	s_movk_i32 s27, 0x1080
	v_add3_u32 v17, v5, v4, s27
	s_waitcnt vmcnt(0)
	ds_write2_b64 v17, v[18:19], v[20:21] offset1:1
.LBB129_53:
	s_or_b64 exec, exec, s[20:21]
	v_add_u32_e32 v17, 16, v12
	v_cmp_le_i32_e64 s[20:21], s25, v17
	s_and_saveexec_b64 s[40:41], s[20:21]
	s_xor_b64 s[20:21], exec, s[40:41]
	s_cbranch_execz .LBB129_55
; %bb.54:
	v_mov_b32_e32 v18, 0
	v_add_u32_e32 v17, v5, v4
	v_mov_b32_e32 v19, v18
	v_mov_b32_e32 v20, v18
	;; [unrolled: 1-line block ×3, first 2 shown]
	ds_write_b128 v17, v[18:21] offset:8448
.LBB129_55:
	s_andn2_saveexec_b64 s[20:21], s[20:21]
	s_cbranch_execz .LBB129_57
; %bb.56:
	s_lshl_b32 s40, s24, 4
	s_ashr_i32 s41, s40, 31
	v_lshl_add_u64 v[18:19], s[40:41], 4, v[10:11]
	global_load_dwordx4 v[18:21], v[18:19], off
	s_movk_i32 s27, 0x2100
	v_add3_u32 v17, v5, v4, s27
	s_waitcnt vmcnt(0)
	ds_write2_b64 v17, v[18:19], v[20:21] offset1:1
.LBB129_57:
	s_or_b64 exec, exec, s[20:21]
	v_add_u32_e32 v17, 24, v12
	v_cmp_le_i32_e64 s[20:21], s25, v17
	s_and_saveexec_b64 s[40:41], s[20:21]
	s_xor_b64 s[20:21], exec, s[40:41]
	s_cbranch_execz .LBB129_59
; %bb.58:
	v_mov_b32_e32 v18, 0
	v_add_u32_e32 v5, v5, v4
	v_mov_b32_e32 v19, v18
	v_mov_b32_e32 v20, v18
	;; [unrolled: 1-line block ×3, first 2 shown]
	ds_write_b128 v5, v[18:21] offset:12672
                                        ; implicit-def: $vgpr5
.LBB129_59:
	s_andn2_saveexec_b64 s[20:21], s[20:21]
	s_cbranch_execz .LBB129_61
; %bb.60:
	s_mul_i32 s40, s24, 24
	s_ashr_i32 s41, s40, 31
	v_lshl_add_u64 v[18:19], s[40:41], 4, v[10:11]
	global_load_dwordx4 v[18:21], v[18:19], off
	s_movk_i32 s25, 0x3180
	v_add3_u32 v5, v5, v4, s25
	s_waitcnt vmcnt(0)
	ds_write2_b64 v5, v[18:19], v[20:21] offset1:1
.LBB129_61:
	s_or_b64 exec, exec, s[20:21]
	v_mov_b32_e32 v5, 0
	v_lshl_add_u64 v[10:11], v[10:11], 0, v[4:5]
	s_lshl_b64 s[20:21], s[22:23], 4
	v_mov_b32_e32 v5, s21
	v_subrev_co_u32_e64 v10, s[20:21], s20, v10
	s_nop 1
	v_subb_co_u32_e64 v11, s[20:21], v11, v5, s[20:21]
	s_mov_b64 s[20:21], 0x210
	s_nop 0
	v_lshl_add_u64 v[10:11], v[10:11], 0, s[20:21]
	v_cndmask_b32_e32 v9, v11, v9, vcc
	v_cndmask_b32_e32 v8, v10, v8, vcc
.LBB129_62:
	v_add_u32_e32 v14, 0x4700, v14
	v_add_u32_e32 v5, 0x210, v15
	s_waitcnt lgkmcnt(0)
	s_barrier
	s_and_saveexec_b64 s[20:21], s[8:9]
	s_cbranch_execnz .LBB129_71
; %bb.63:
	s_or_b64 exec, exec, s[20:21]
	s_and_saveexec_b64 s[8:9], s[10:11]
	s_cbranch_execnz .LBB129_72
.LBB129_64:
	s_or_b64 exec, exec, s[8:9]
	s_and_saveexec_b64 s[8:9], s[12:13]
	s_cbranch_execnz .LBB129_73
.LBB129_65:
	s_or_b64 exec, exec, s[8:9]
	s_and_saveexec_b64 s[8:9], s[14:15]
	s_cbranch_execz .LBB129_67
.LBB129_66:
	ds_read_b128 v[18:21], v16
	v_lshl_add_u32 v10, v13, 4, v43
	s_waitcnt lgkmcnt(0)
	ds_write_b128 v10, v[18:21] offset:48
.LBB129_67:
	s_or_b64 exec, exec, s[8:9]
	s_waitcnt lgkmcnt(0)
	s_barrier
	ds_read_b128 v[18:21], v14 offset:512
	ds_read_b128 v[22:25], v7
	ds_read_b128 v[26:29], v14 offset:528
	ds_read_b128 v[30:33], v14 offset:544
	;; [unrolled: 1-line block ×3, first 2 shown]
	ds_read_b128 v[50:53], v15
	v_cmp_eq_u32_e64 s[8:9], 1, v12
	s_waitcnt lgkmcnt(4)
	v_mul_f64 v[10:11], v[20:21], v[24:25]
	v_fma_f64 v[10:11], v[18:19], v[22:23], -v[10:11]
	v_mul_f64 v[18:19], v[18:19], v[24:25]
	v_fmac_f64_e32 v[18:19], v[20:21], v[22:23]
	v_add_f64 v[22:23], v[18:19], 0
	s_waitcnt lgkmcnt(0)
	v_mul_f64 v[18:19], v[28:29], v[52:53]
	v_fma_f64 v[24:25], v[26:27], v[50:51], -v[18:19]
	v_mul_f64 v[26:27], v[26:27], v[52:53]
	ds_read_b128 v[18:21], v5
	v_add_f64 v[10:11], v[10:11], 0
	v_fmac_f64_e32 v[26:27], v[28:29], v[50:51]
	v_add_f64 v[10:11], v[10:11], v[24:25]
	v_add_f64 v[26:27], v[22:23], v[26:27]
	ds_read_b128 v[22:25], v16
	s_waitcnt lgkmcnt(1)
	v_mul_f64 v[16:17], v[32:33], v[20:21]
	v_mul_f64 v[20:21], v[30:31], v[20:21]
	v_fma_f64 v[16:17], v[30:31], v[18:19], -v[16:17]
	v_fmac_f64_e32 v[20:21], v[32:33], v[18:19]
	v_add_f64 v[10:11], v[10:11], v[16:17]
	v_add_f64 v[18:19], v[26:27], v[20:21]
	s_waitcnt lgkmcnt(0)
	v_mul_f64 v[16:17], v[48:49], v[24:25]
	v_mul_f64 v[20:21], v[46:47], v[24:25]
	v_fma_f64 v[16:17], v[46:47], v[22:23], -v[16:17]
	v_fmac_f64_e32 v[20:21], v[48:49], v[22:23]
	v_add_f64 v[16:17], v[10:11], v[16:17]
	v_add_f64 v[18:19], v[18:19], v[20:21]
	s_barrier
	ds_write_b128 v44, v[16:19]
	s_waitcnt lgkmcnt(0)
	s_barrier
	s_and_saveexec_b64 s[10:11], s[8:9]
	s_cbranch_execz .LBB129_69
; %bb.68:
	ds_read_b128 v[0:3], v43
	ds_read_b128 v[16:19], v43 offset:16
	ds_read_b128 v[20:23], v43 offset:32
	;; [unrolled: 1-line block ×3, first 2 shown]
	s_waitcnt lgkmcnt(2)
	v_add_f64 v[0:1], v[16:17], v[0:1]
	v_add_f64 v[10:11], v[18:19], v[2:3]
	s_waitcnt lgkmcnt(1)
	v_add_f64 v[16:17], v[0:1], v[20:21]
	ds_read_b128 v[0:3], v43 offset:64
	v_add_f64 v[10:11], v[10:11], v[22:23]
	s_waitcnt lgkmcnt(1)
	v_add_f64 v[20:21], v[16:17], v[24:25]
	ds_read_b128 v[16:19], v43 offset:80
	;; [unrolled: 4-line block ×3, first 2 shown]
	v_add_f64 v[10:11], v[10:11], v[2:3]
	ds_read_b128 v[0:3], v43 offset:112
	s_waitcnt lgkmcnt(2)
	v_add_f64 v[16:17], v[24:25], v[16:17]
	v_add_f64 v[10:11], v[10:11], v[18:19]
	s_waitcnt lgkmcnt(1)
	v_add_f64 v[16:17], v[16:17], v[20:21]
	v_add_f64 v[10:11], v[10:11], v[22:23]
	;; [unrolled: 3-line block ×3, first 2 shown]
.LBB129_69:
	s_or_b64 exec, exec, s[10:11]
	s_lshl_b64 s[10:11], s[34:35], 4
	v_mov_b32_e32 v5, s11
	v_subrev_co_u32_e64 v40, s[10:11], s10, v8
	s_and_b64 vcc, exec, s[16:17]
	s_nop 0
	v_subb_co_u32_e64 v41, s[10:11], v9, v5, s[10:11]
	s_barrier
	s_cbranch_vccnz .LBB129_74
; %bb.70:
	s_lshl_b32 s10, s24, 3
	s_ashr_i32 s11, s10, 31
	s_ashr_i32 s25, s24, 31
	v_lshl_add_u64 v[8:9], s[10:11], 4, v[40:41]
	s_lshl_b64 s[10:11], s[24:25], 7
	global_load_dwordx4 v[16:19], v[40:41], off
	v_lshl_add_u64 v[10:11], v[8:9], 0, s[10:11]
	global_load_dwordx4 v[20:23], v[8:9], off
	global_load_dwordx4 v[24:27], v[10:11], off
	v_lshl_add_u64 v[8:9], v[10:11], 0, s[10:11]
	global_load_dwordx4 v[28:31], v[8:9], off
	s_movk_i32 s10, 0x210
	v_mov_b32_e32 v5, 0x1080
	v_mov_b32_e32 v15, 0x2100
	;; [unrolled: 1-line block ×3, first 2 shown]
	v_mul_u32_u24_e32 v9, 0x210, v12
	v_add_u32_e32 v8, 8, v12
	v_add_u32_e32 v10, 16, v12
	;; [unrolled: 1-line block ×3, first 2 shown]
	v_mad_u32_u24 v33, v12, s10, v4
	v_mad_u32_u24 v7, v12, s10, v5
	;; [unrolled: 1-line block ×4, first 2 shown]
	v_add_u32_e32 v32, v4, v7
	v_add_u32_e32 v34, v4, v5
	;; [unrolled: 1-line block ×3, first 2 shown]
	s_waitcnt vmcnt(3)
	ds_write2_b64 v33, v[16:17], v[18:19] offset1:1
	s_waitcnt vmcnt(2)
	ds_write2_b64 v32, v[20:21], v[22:23] offset1:1
	;; [unrolled: 2-line block ×4, first 2 shown]
	s_cbranch_execz .LBB129_75
	s_branch .LBB129_92
.LBB129_71:
	ds_read_b128 v[18:21], v7
	v_lshl_add_u32 v10, v13, 4, v43
	s_waitcnt lgkmcnt(0)
	ds_write_b128 v10, v[18:21]
	s_or_b64 exec, exec, s[20:21]
	s_and_saveexec_b64 s[8:9], s[10:11]
	s_cbranch_execz .LBB129_64
.LBB129_72:
	ds_read_b128 v[18:21], v15
	v_lshl_add_u32 v10, v13, 4, v43
	s_waitcnt lgkmcnt(0)
	ds_write_b128 v10, v[18:21] offset:16
	s_or_b64 exec, exec, s[8:9]
	s_and_saveexec_b64 s[8:9], s[12:13]
	s_cbranch_execz .LBB129_65
.LBB129_73:
	ds_read_b128 v[18:21], v5
	v_lshl_add_u32 v10, v13, 4, v43
	s_waitcnt lgkmcnt(0)
	ds_write_b128 v10, v[18:21] offset:32
	s_or_b64 exec, exec, s[8:9]
	s_and_saveexec_b64 s[8:9], s[14:15]
	s_cbranch_execnz .LBB129_66
	s_branch .LBB129_67
.LBB129_74:
                                        ; implicit-def: $vgpr9
                                        ; implicit-def: $vgpr8
                                        ; implicit-def: $vgpr7
                                        ; implicit-def: $vgpr10
                                        ; implicit-def: $vgpr5
                                        ; implicit-def: $vgpr11
                                        ; implicit-def: $vgpr15
.LBB129_75:
	v_or_b32_e32 v5, 32, v6
	v_sub_co_u32_e32 v6, vcc, v40, v4
	s_ashr_i32 s23, s22, 31
	s_nop 0
	v_subbrev_co_u32_e32 v7, vcc, 0, v41, vcc
	s_movk_i32 s10, 0xfdf0
	v_lshl_add_u64 v[6:7], s[22:23], 4, v[6:7]
	s_mov_b32 s11, -1
	v_lshl_add_u64 v[6:7], v[6:7], 0, s[10:11]
	v_cmp_gt_i32_e32 vcc, s22, v5
	s_movk_i32 s12, 0x210
	v_cmp_le_i32_e64 s[10:11], s22, v12
	v_cndmask_b32_e32 v7, v7, v41, vcc
	v_cndmask_b32_e32 v6, v6, v40, vcc
	v_mad_u32_u24 v5, v12, s12, v4
	s_and_saveexec_b64 s[12:13], s[10:11]
	s_xor_b64 s[10:11], exec, s[12:13]
; %bb.76:
	v_mov_b32_e32 v8, 0
	v_mov_b32_e32 v9, v8
	;; [unrolled: 1-line block ×4, first 2 shown]
	ds_write_b128 v5, v[8:11]
                                        ; implicit-def: $vgpr5
; %bb.77:
	s_andn2_saveexec_b64 s[10:11], s[10:11]
	s_cbranch_execz .LBB129_79
; %bb.78:
	global_load_dwordx4 v[8:11], v[6:7], off
	s_waitcnt vmcnt(0)
	ds_write2_b64 v5, v[8:9], v[10:11] offset1:1
.LBB129_79:
	s_or_b64 exec, exec, s[10:11]
	v_add_u32_e32 v8, 8, v12
	v_mul_u32_u24_e32 v9, 0x210, v12
	v_cmp_le_i32_e64 s[10:11], s22, v8
	s_and_saveexec_b64 s[12:13], s[10:11]
	s_xor_b64 s[10:11], exec, s[12:13]
	s_cbranch_execz .LBB129_81
; %bb.80:
	v_mov_b32_e32 v16, 0
	v_add_u32_e32 v5, v9, v4
	v_mov_b32_e32 v17, v16
	v_mov_b32_e32 v18, v16
	v_mov_b32_e32 v19, v16
	ds_write_b128 v5, v[16:19] offset:4224
.LBB129_81:
	s_andn2_saveexec_b64 s[10:11], s[10:11]
	s_cbranch_execz .LBB129_83
; %bb.82:
	s_lshl_b32 s12, s24, 3
	s_ashr_i32 s13, s12, 31
	v_lshl_add_u64 v[10:11], s[12:13], 4, v[6:7]
	global_load_dwordx4 v[16:19], v[10:11], off
	s_movk_i32 s12, 0x1080
	v_add3_u32 v5, v9, v4, s12
	s_waitcnt vmcnt(0)
	ds_write2_b64 v5, v[16:17], v[18:19] offset1:1
.LBB129_83:
	s_or_b64 exec, exec, s[10:11]
	v_add_u32_e32 v10, 16, v12
	v_cmp_le_i32_e64 s[10:11], s22, v10
	s_and_saveexec_b64 s[12:13], s[10:11]
	s_xor_b64 s[10:11], exec, s[12:13]
	s_cbranch_execz .LBB129_85
; %bb.84:
	v_mov_b32_e32 v16, 0
	v_add_u32_e32 v5, v9, v4
	v_mov_b32_e32 v17, v16
	v_mov_b32_e32 v18, v16
	;; [unrolled: 1-line block ×3, first 2 shown]
	ds_write_b128 v5, v[16:19] offset:8448
.LBB129_85:
	s_andn2_saveexec_b64 s[10:11], s[10:11]
	s_cbranch_execz .LBB129_87
; %bb.86:
	s_lshl_b32 s12, s24, 4
	s_ashr_i32 s13, s12, 31
	v_lshl_add_u64 v[16:17], s[12:13], 4, v[6:7]
	global_load_dwordx4 v[16:19], v[16:17], off
	s_movk_i32 s12, 0x2100
	v_add3_u32 v5, v9, v4, s12
	s_waitcnt vmcnt(0)
	ds_write2_b64 v5, v[16:17], v[18:19] offset1:1
.LBB129_87:
	s_or_b64 exec, exec, s[10:11]
	v_add_u32_e32 v11, 24, v12
	v_cmp_le_i32_e64 s[10:11], s22, v11
                                        ; implicit-def: $vgpr15
	s_and_saveexec_b64 s[12:13], s[10:11]
	s_xor_b64 s[10:11], exec, s[12:13]
	s_cbranch_execz .LBB129_89
; %bb.88:
	v_add_u32_e32 v15, 0x3180, v9
	v_mov_b32_e32 v16, 0
	v_add_u32_e32 v5, v4, v15
	v_mov_b32_e32 v17, v16
	v_mov_b32_e32 v18, v16
	;; [unrolled: 1-line block ×3, first 2 shown]
	ds_write_b128 v5, v[16:19]
.LBB129_89:
	s_andn2_saveexec_b64 s[10:11], s[10:11]
	s_cbranch_execz .LBB129_91
; %bb.90:
	s_mul_i32 s12, s24, 24
	s_ashr_i32 s13, s12, 31
	v_lshl_add_u64 v[16:17], s[12:13], 4, v[6:7]
	global_load_dwordx4 v[16:19], v[16:17], off
	v_add_u32_e32 v15, 0x3180, v9
	v_add_u32_e32 v5, v4, v15
	s_waitcnt vmcnt(0)
	ds_write2_b64 v5, v[16:17], v[18:19] offset1:1
.LBB129_91:
	s_or_b64 exec, exec, s[10:11]
	v_mov_b32_e32 v5, 0
	v_lshl_add_u64 v[6:7], v[6:7], 0, v[4:5]
	s_lshl_b64 s[10:11], s[22:23], 4
	v_mov_b32_e32 v5, s11
	v_subrev_co_u32_e64 v6, s[10:11], s10, v6
	s_nop 1
	v_subb_co_u32_e64 v7, s[10:11], v7, v5, s[10:11]
	s_mov_b64 s[10:11], 0x210
	s_nop 0
	v_lshl_add_u64 v[6:7], v[6:7], 0, s[10:11]
	v_cndmask_b32_e32 v41, v7, v41, vcc
	v_cndmask_b32_e32 v40, v6, v40, vcc
	v_add_u32_e32 v7, 0x1080, v9
	v_add_u32_e32 v5, 0x2100, v9
.LBB129_92:
	v_add_u32_e32 v6, v4, v9
	v_lshlrev_b32_e32 v9, 4, v12
	s_waitcnt lgkmcnt(0)
	s_barrier
	ds_read_b128 v[20:23], v9 offset:18176
	ds_read_b128 v[24:27], v6
	v_add_u32_e32 v6, v4, v7
	v_lshlrev_b32_e32 v7, 4, v8
	ds_read_b128 v[46:49], v7 offset:18176
	ds_read_b128 v[50:53], v6
	v_lshlrev_b32_e32 v10, 4, v10
	v_add_u32_e32 v5, v4, v5
	ds_read_b128 v[54:57], v10 offset:18176
	ds_read_b128 v[58:61], v5
	v_lshlrev_b32_e32 v5, 4, v11
	s_waitcnt lgkmcnt(4)
	v_mul_f64 v[6:7], v[22:23], v[26:27]
	v_add_u32_e32 v4, v4, v15
	ds_read_b128 v[62:65], v5 offset:18176
	ds_read2_b64 v[66:69], v4 offset1:1
	v_fma_f64 v[6:7], v[20:21], v[24:25], -v[6:7]
	s_waitcnt lgkmcnt(4)
	v_mul_f64 v[8:9], v[48:49], v[52:53]
	v_add_f64 v[6:7], v[6:7], 0
	v_fma_f64 v[8:9], v[46:47], v[50:51], -v[8:9]
	v_add_f64 v[4:5], v[6:7], v[8:9]
	s_waitcnt lgkmcnt(2)
	v_mul_f64 v[6:7], v[56:57], v[60:61]
	v_fma_f64 v[6:7], v[54:55], v[58:59], -v[6:7]
	v_add_f64 v[4:5], v[4:5], v[6:7]
	s_waitcnt lgkmcnt(0)
	v_mul_f64 v[6:7], v[64:65], v[68:69]
	v_fma_f64 v[6:7], v[62:63], v[66:67], -v[6:7]
	v_add_f64 v[70:71], v[4:5], v[6:7]
	v_lshl_add_u32 v4, v13, 4, v43
	v_mul_f64 v[72:73], v[20:21], v[26:27]
	ds_read_b128 v[28:31], v4
	ds_read_b128 v[16:19], v4 offset:16
	ds_read_b128 v[8:11], v4 offset:32
	;; [unrolled: 1-line block ×3, first 2 shown]
	v_fmac_f64_e32 v[72:73], v[22:23], v[24:25]
	v_mul_f64 v[46:47], v[46:47], v[52:53]
	v_fmac_f64_e32 v[46:47], v[48:49], v[50:51]
	v_add_f64 v[48:49], v[72:73], 0
	ds_read_b128 v[32:35], v14 offset:512
	ds_read_b128 v[24:27], v14 offset:528
	;; [unrolled: 1-line block ×4, first 2 shown]
	v_add_f64 v[46:47], v[48:49], v[46:47]
	v_mul_f64 v[48:49], v[54:55], v[60:61]
	v_fmac_f64_e32 v[48:49], v[56:57], v[58:59]
	v_add_f64 v[46:47], v[46:47], v[48:49]
	v_mul_f64 v[48:49], v[62:63], v[68:69]
	v_fmac_f64_e32 v[48:49], v[64:65], v[66:67]
	v_add_f64 v[72:73], v[46:47], v[48:49]
	s_waitcnt lgkmcnt(0)
	s_barrier
	ds_write_b128 v44, v[70:73]
	s_waitcnt lgkmcnt(0)
	s_barrier
	s_and_saveexec_b64 s[10:11], s[8:9]
	s_cbranch_execz .LBB129_94
; %bb.93:
	ds_read_b128 v[46:49], v43
	ds_read_b128 v[50:53], v43 offset:16
	ds_read_b128 v[54:57], v43 offset:32
	;; [unrolled: 1-line block ×3, first 2 shown]
	s_waitcnt lgkmcnt(3)
	v_add_f64 v[0:1], v[0:1], v[46:47]
	v_add_f64 v[2:3], v[2:3], v[48:49]
	s_waitcnt lgkmcnt(2)
	v_add_f64 v[0:1], v[0:1], v[50:51]
	v_add_f64 v[46:47], v[2:3], v[52:53]
	s_waitcnt lgkmcnt(1)
	v_add_f64 v[48:49], v[0:1], v[54:55]
	ds_read_b128 v[0:3], v43 offset:64
	v_add_f64 v[46:47], v[46:47], v[56:57]
	s_waitcnt lgkmcnt(1)
	v_add_f64 v[50:51], v[48:49], v[58:59]
	v_add_f64 v[54:55], v[46:47], v[60:61]
	ds_read_b128 v[46:49], v43 offset:80
	s_waitcnt lgkmcnt(1)
	v_add_f64 v[56:57], v[50:51], v[0:1]
	ds_read_b128 v[50:53], v43 offset:96
	v_add_f64 v[54:55], v[54:55], v[2:3]
	ds_read_b128 v[0:3], v43 offset:112
	s_waitcnt lgkmcnt(2)
	v_add_f64 v[46:47], v[56:57], v[46:47]
	v_add_f64 v[48:49], v[54:55], v[48:49]
	s_waitcnt lgkmcnt(1)
	v_add_f64 v[46:47], v[46:47], v[50:51]
	v_add_f64 v[48:49], v[48:49], v[52:53]
	;; [unrolled: 3-line block ×3, first 2 shown]
.LBB129_94:
	s_or_b64 exec, exec, s[10:11]
	v_mul_f64 v[46:47], v[30:31], v[34:35]
	v_fma_f64 v[46:47], v[28:29], v[32:33], -v[46:47]
	v_mul_f64 v[28:29], v[28:29], v[34:35]
	v_fmac_f64_e32 v[28:29], v[30:31], v[32:33]
	v_mul_f64 v[32:33], v[18:19], v[26:27]
	v_fma_f64 v[32:33], v[16:17], v[24:25], -v[32:33]
	v_mul_f64 v[16:17], v[16:17], v[26:27]
	v_fmac_f64_e32 v[16:17], v[18:19], v[24:25]
	v_mul_f64 v[24:25], v[10:11], v[22:23]
	v_add_f64 v[28:29], v[28:29], 0
	v_fma_f64 v[24:25], v[8:9], v[20:21], -v[24:25]
	v_mul_f64 v[8:9], v[8:9], v[22:23]
	v_add_f64 v[30:31], v[46:47], 0
	v_add_f64 v[16:17], v[28:29], v[16:17]
	v_fmac_f64_e32 v[8:9], v[10:11], v[20:21]
	v_add_f64 v[18:19], v[30:31], v[32:33]
	v_add_f64 v[8:9], v[16:17], v[8:9]
	v_mul_f64 v[16:17], v[6:7], v[14:15]
	v_mul_f64 v[14:15], v[4:5], v[14:15]
	v_add_f64 v[10:11], v[18:19], v[24:25]
	v_fma_f64 v[16:17], v[4:5], v[12:13], -v[16:17]
	v_fmac_f64_e32 v[14:15], v[6:7], v[12:13]
	v_add_f64 v[4:5], v[10:11], v[16:17]
	v_add_f64 v[6:7], v[8:9], v[14:15]
	s_barrier
	ds_write_b128 v44, v[4:7]
	s_waitcnt lgkmcnt(0)
	s_barrier
	s_and_saveexec_b64 s[8:9], s[6:7]
	s_cbranch_execz .LBB129_96
; %bb.95:
	ds_read_b128 v[4:7], v43
	ds_read_b128 v[8:11], v43 offset:16
	ds_read_b128 v[12:15], v43 offset:32
	;; [unrolled: 1-line block ×3, first 2 shown]
	s_waitcnt lgkmcnt(3)
	v_add_f64 v[0:1], v[0:1], v[4:5]
	v_add_f64 v[2:3], v[2:3], v[6:7]
	s_waitcnt lgkmcnt(2)
	v_add_f64 v[0:1], v[0:1], v[8:9]
	v_add_f64 v[4:5], v[2:3], v[10:11]
	s_waitcnt lgkmcnt(1)
	v_add_f64 v[6:7], v[0:1], v[12:13]
	ds_read_b128 v[0:3], v43 offset:64
	v_add_f64 v[4:5], v[4:5], v[14:15]
	s_waitcnt lgkmcnt(1)
	v_add_f64 v[8:9], v[6:7], v[16:17]
	v_add_f64 v[12:13], v[4:5], v[18:19]
	ds_read_b128 v[4:7], v43 offset:80
	s_waitcnt lgkmcnt(1)
	v_add_f64 v[14:15], v[8:9], v[0:1]
	ds_read_b128 v[8:11], v43 offset:96
	v_add_f64 v[12:13], v[12:13], v[2:3]
	ds_read_b128 v[0:3], v43 offset:112
	s_waitcnt lgkmcnt(2)
	v_add_f64 v[4:5], v[14:15], v[4:5]
	v_add_f64 v[6:7], v[12:13], v[6:7]
	s_waitcnt lgkmcnt(1)
	v_add_f64 v[4:5], v[4:5], v[8:9]
	v_add_f64 v[6:7], v[6:7], v[10:11]
	;; [unrolled: 3-line block ×3, first 2 shown]
.LBB129_96:
	s_or_b64 exec, exec, s[8:9]
	s_load_dwordx2 s[0:1], s[0:1], 0x78
	s_mul_hi_u32 s6, s36, s3
	s_mul_i32 s38, s38, s3
	s_add_i32 s6, s6, s38
	s_mul_i32 s3, s36, s3
	s_mul_i32 s6, s6, s37
	s_mul_hi_u32 s7, s3, s37
	s_add_i32 s7, s7, s6
	s_mul_i32 s6, s3, s37
	s_lshl_b64 s[6:7], s[6:7], 4
	s_waitcnt lgkmcnt(0)
	s_add_u32 s3, s0, s6
	s_mul_i32 s0, s36, s2
	s_addc_u32 s7, s1, s7
	s_ashr_i32 s1, s0, 31
	s_lshl_b64 s[0:1], s[0:1], 4
	s_add_u32 s6, s3, s0
	v_cmp_le_i32_e32 vcc, s22, v150
	s_addc_u32 s7, s7, s1
	s_and_b64 vcc, s[30:31], vcc
	s_cmp_lt_i32 s2, 1
	v_lshlrev_b32_e32 v156, 4, v150
	s_barrier
	s_cbranch_scc1 .LBB129_103
; %bb.97:
	s_mul_i32 s0, s33, s26
	s_ashr_i32 s1, s0, 31
	s_lshl_b64 s[0:1], s[0:1], 4
	v_mov_b32_e32 v4, s1
	v_subrev_co_u32_e64 v152, s[0:1], s0, v36
	s_ashr_i32 s23, s22, 31
	s_nop 0
	v_subb_co_u32_e64 v153, s[0:1], v37, v4, s[0:1]
	s_lshl_b64 s[0:1], s[28:29], 4
	s_nop 0
	v_mov_b32_e32 v4, s1
	v_subrev_co_u32_e64 v6, s[0:1], s0, v40
	v_lshrrev_b32_e32 v10, 4, v42
	s_nop 0
	v_subb_co_u32_e64 v7, s[0:1], v41, v4, s[0:1]
	v_lshlrev_b64 v[4:5], 4, v[38:39]
	v_sub_co_u32_e64 v4, s[0:1], v6, v4
	v_mul_lo_u32 v6, v149, s24
	s_nop 0
	v_subb_co_u32_e64 v5, s[0:1], v7, v5, s[0:1]
	v_lshl_add_u32 v6, v6, 2, v150
	v_ashrrev_i32_e32 v7, 31, v6
	s_movk_i32 s0, 0xfe00
	v_lshl_add_u64 v[4:5], v[6:7], 4, v[4:5]
	s_mov_b32 s1, -1
	v_lshl_add_u64 v[6:7], v[4:5], 0, s[0:1]
	v_sub_co_u32_e64 v4, s[0:1], v4, v156
	v_and_b32_e32 v11, 15, v150
	s_nop 0
	v_subbrev_co_u32_e64 v5, s[0:1], 0, v5, s[0:1]
	s_movk_i32 s0, 0xfdf0
	v_lshl_add_u64 v[4:5], s[22:23], 4, v[4:5]
	s_mov_b32 s1, -1
	v_lshl_add_u64 v[4:5], v[4:5], 0, s[0:1]
	v_cndmask_b32_e32 v9, v7, v5, vcc
	v_cndmask_b32_e32 v8, v6, v4, vcc
	v_mov_b32_e32 v4, 0x4300
	v_and_b32_e32 v5, 48, v150
	v_lshl_add_u32 v158, v149, 6, v4
	v_lshlrev_b32_e32 v4, 6, v10
	s_movk_i32 s8, 0x430
	v_lshlrev_b32_e32 v5, 4, v5
	s_movk_i32 s0, 0x10c0
	v_mad_u32_u24 v161, v11, s8, v4
	v_mul_i32_i24_e32 v4, 0xffffffd0, v10
	v_mad_u32_u24 v162, v11, s8, v5
	v_or_b32_e32 v5, 0xf0, v156
	s_ashr_i32 s25, s24, 31
	v_mov_b32_e32 v151, 0
	s_lshl_b32 s3, s33, 6
	v_add_u32_e32 v157, 0x4300, v156
	v_add_u32_e32 v159, 0x4700, v156
	v_mad_u32_u24 v160, v149, s0, v156
	v_cmp_gt_u32_e64 s[0:1], 64, v42
	v_mad_u32_u24 v163, v11, s8, v5
	s_lshl_b64 s[8:9], s[24:25], 4
	s_mul_hi_i32 s11, s24, 0xd0
	s_mul_i32 s10, s24, 0xd0
	s_mov_b32 s12, 0
	v_add_u32_e32 v164, v161, v4
	s_branch .LBB129_99
.LBB129_98:                             ;   in Loop: Header=BB129_99 Depth=1
	s_or_b64 exec, exec, s[14:15]
	v_mul_f64 v[132:133], v[6:7], v[34:35]
	v_fma_f64 v[132:133], v[4:5], v[32:33], -v[132:133]
	v_mul_f64 v[4:5], v[4:5], v[34:35]
	v_mul_f64 v[34:35], v[10:11], v[30:31]
	v_add_f64 v[0:1], v[0:1], v[132:133]
	v_fma_f64 v[34:35], v[8:9], v[28:29], -v[34:35]
	v_mul_f64 v[8:9], v[8:9], v[30:31]
	v_mul_f64 v[30:31], v[14:15], v[26:27]
	v_add_f64 v[0:1], v[0:1], v[34:35]
	v_fma_f64 v[30:31], v[12:13], v[24:25], -v[30:31]
	v_mul_f64 v[12:13], v[12:13], v[26:27]
	v_mul_f64 v[26:27], v[18:19], v[22:23]
	v_fmac_f64_e32 v[4:5], v[6:7], v[32:33]
	v_add_f64 v[0:1], v[0:1], v[30:31]
	v_fma_f64 v[26:27], v[16:17], v[20:21], -v[26:27]
	v_add_f64 v[2:3], v[2:3], v[4:5]
	v_mul_f64 v[4:5], v[38:39], v[70:71]
	v_add_f64 v[0:1], v[0:1], v[26:27]
	v_fma_f64 v[4:5], v[36:37], v[68:69], -v[4:5]
	v_add_f64 v[0:1], v[0:1], v[4:5]
	v_mul_f64 v[4:5], v[42:43], v[66:67]
	v_fma_f64 v[4:5], v[40:41], v[64:65], -v[4:5]
	v_add_f64 v[0:1], v[0:1], v[4:5]
	v_mul_f64 v[4:5], v[46:47], v[58:59]
	;; [unrolled: 3-line block ×4, first 2 shown]
	v_fmac_f64_e32 v[8:9], v[10:11], v[28:29]
	v_fma_f64 v[4:5], v[60:61], v[108:109], -v[4:5]
	v_mul_f64 v[16:17], v[16:17], v[22:23]
	v_add_f64 v[2:3], v[2:3], v[8:9]
	v_fmac_f64_e32 v[12:13], v[14:15], v[24:25]
	v_add_f64 v[0:1], v[0:1], v[4:5]
	v_mul_f64 v[4:5], v[74:75], v[106:107]
	v_add_f64 v[2:3], v[2:3], v[12:13]
	v_fmac_f64_e32 v[16:17], v[18:19], v[20:21]
	v_mul_f64 v[6:7], v[36:37], v[70:71]
	v_fma_f64 v[4:5], v[72:73], v[104:105], -v[4:5]
	v_add_f64 v[2:3], v[2:3], v[16:17]
	v_mul_f64 v[8:9], v[40:41], v[66:67]
	v_fmac_f64_e32 v[6:7], v[38:39], v[68:69]
	v_add_f64 v[0:1], v[0:1], v[4:5]
	v_mul_f64 v[4:5], v[78:79], v[98:99]
	v_mul_f64 v[10:11], v[44:45], v[58:59]
	v_add_f64 v[2:3], v[2:3], v[6:7]
	v_fmac_f64_e32 v[8:9], v[42:43], v[64:65]
	v_fma_f64 v[4:5], v[76:77], v[96:97], -v[4:5]
	v_mul_f64 v[12:13], v[48:49], v[54:55]
	v_add_f64 v[2:3], v[2:3], v[8:9]
	v_fmac_f64_e32 v[10:11], v[46:47], v[56:57]
	v_add_f64 v[0:1], v[0:1], v[4:5]
	v_mul_f64 v[4:5], v[82:83], v[86:87]
	v_add_f64 v[2:3], v[2:3], v[10:11]
	v_fmac_f64_e32 v[12:13], v[50:51], v[52:53]
	v_mul_f64 v[6:7], v[60:61], v[110:111]
	v_fma_f64 v[4:5], v[80:81], v[84:85], -v[4:5]
	v_add_f64 v[2:3], v[2:3], v[12:13]
	v_mul_f64 v[8:9], v[72:73], v[106:107]
	v_add_f64 v[0:1], v[0:1], v[4:5]
	v_fmac_f64_e32 v[6:7], v[62:63], v[108:109]
	v_mul_f64 v[4:5], v[90:91], v[118:119]
	v_mul_f64 v[10:11], v[76:77], v[98:99]
	v_add_f64 v[2:3], v[2:3], v[6:7]
	v_fmac_f64_e32 v[8:9], v[74:75], v[104:105]
	v_fma_f64 v[4:5], v[88:89], v[116:117], -v[4:5]
	v_mul_f64 v[12:13], v[80:81], v[86:87]
	v_add_f64 v[2:3], v[2:3], v[8:9]
	v_fmac_f64_e32 v[10:11], v[78:79], v[96:97]
	v_add_f64 v[0:1], v[0:1], v[4:5]
	v_mul_f64 v[4:5], v[94:95], v[122:123]
	v_add_f64 v[2:3], v[2:3], v[10:11]
	v_fmac_f64_e32 v[12:13], v[82:83], v[84:85]
	v_mul_f64 v[6:7], v[88:89], v[118:119]
	v_fma_f64 v[4:5], v[92:93], v[120:121], -v[4:5]
	v_add_f64 v[2:3], v[2:3], v[12:13]
	v_mul_f64 v[8:9], v[92:93], v[122:123]
	v_add_f64 v[0:1], v[0:1], v[4:5]
	v_mul_f64 v[4:5], v[102:103], v[126:127]
	v_fmac_f64_e32 v[6:7], v[90:91], v[116:117]
	v_fma_f64 v[4:5], v[100:101], v[124:125], -v[4:5]
	v_mul_f64 v[10:11], v[100:101], v[126:127]
	v_fmac_f64_e32 v[8:9], v[94:95], v[120:121]
	v_add_f64 v[2:3], v[2:3], v[6:7]
	v_add_f64 v[0:1], v[0:1], v[4:5]
	v_mul_f64 v[4:5], v[114:115], v[130:131]
	v_mul_f64 v[12:13], v[112:113], v[130:131]
	v_fmac_f64_e32 v[10:11], v[102:103], v[124:125]
	v_add_f64 v[2:3], v[2:3], v[8:9]
	v_fma_f64 v[4:5], v[112:113], v[128:129], -v[4:5]
	v_fmac_f64_e32 v[12:13], v[114:115], v[128:129]
	v_add_f64 v[2:3], v[2:3], v[10:11]
	s_add_i32 s2, s2, -1
	s_add_i32 s12, s12, s3
	v_add_f64 v[0:1], v[0:1], v[4:5]
	v_add_f64 v[2:3], v[2:3], v[12:13]
	v_add_u32_e32 v150, 64, v150
	s_cmp_eq_u32 s2, 0
	v_lshl_add_u64 v[8:9], v[154:155], 0, s[10:11]
	s_barrier
	s_cbranch_scc1 .LBB129_103
.LBB129_99:                             ; =>This Inner Loop Header: Depth=1
	s_and_saveexec_b64 s[14:15], s[18:19]
	s_cbranch_execz .LBB129_101
; %bb.100:                              ;   in Loop: Header=BB129_99 Depth=1
	s_ashr_i32 s13, s12, 31
	v_lshl_add_u64 v[4:5], s[12:13], 4, v[152:153]
	global_load_dwordx4 v[4:7], v[4:5], off
	s_waitcnt vmcnt(0)
	ds_write2_b64 v157, v[4:5], v[6:7] offset1:1
.LBB129_101:                            ;   in Loop: Header=BB129_99 Depth=1
	s_or_b64 exec, exec, s[14:15]
	s_waitcnt lgkmcnt(0)
	s_barrier
	global_load_dwordx4 v[4:7], v[8:9], off
	v_lshl_add_u64 v[12:13], v[8:9], 0, s[8:9]
	global_load_dwordx4 v[8:11], v[12:13], off
	v_lshl_add_u64 v[16:17], v[12:13], 0, s[8:9]
	;; [unrolled: 2-line block ×3, first 2 shown]
	global_load_dwordx4 v[16:19], v[40:41], off
	ds_read_b128 v[36:39], v159
	ds_read_b128 v[32:35], v158
	ds_read_b128 v[28:31], v158 offset:16
	ds_read_b128 v[24:27], v158 offset:32
	;; [unrolled: 1-line block ×3, first 2 shown]
	v_lshl_add_u64 v[48:49], v[40:41], 0, s[10:11]
	s_waitcnt vmcnt(3) lgkmcnt(4)
	v_mul_f64 v[40:41], v[6:7], v[38:39]
	v_mul_f64 v[42:43], v[4:5], v[38:39]
	v_fma_f64 v[40:41], v[4:5], v[36:37], -v[40:41]
	v_fmac_f64_e32 v[42:43], v[6:7], v[36:37]
	s_waitcnt vmcnt(2)
	v_mul_f64 v[46:47], v[10:11], v[38:39]
	v_mul_f64 v[44:45], v[8:9], v[38:39]
	ds_write_b128 v160, v[40:43]
	v_fma_f64 v[42:43], v[8:9], v[36:37], -v[46:47]
	v_fmac_f64_e32 v[44:45], v[10:11], v[36:37]
	s_waitcnt vmcnt(1)
	v_mul_f64 v[40:41], v[14:15], v[38:39]
	v_mul_f64 v[46:47], v[12:13], v[38:39]
	ds_write_b128 v160, v[42:45] offset:1072
	v_fma_f64 v[44:45], v[12:13], v[36:37], -v[40:41]
	v_fmac_f64_e32 v[46:47], v[14:15], v[36:37]
	s_waitcnt vmcnt(0)
	v_mul_f64 v[42:43], v[18:19], v[38:39]
	v_mul_f64 v[40:41], v[16:17], v[38:39]
	ds_write_b128 v160, v[44:47] offset:2144
	v_fma_f64 v[38:39], v[16:17], v[36:37], -v[42:43]
	v_fmac_f64_e32 v[40:41], v[18:19], v[36:37]
	v_lshl_add_u64 v[44:45], v[48:49], 0, s[8:9]
	ds_write_b128 v160, v[38:41] offset:3216
	s_waitcnt lgkmcnt(0)
	s_barrier
	ds_read_b128 v[128:131], v161
	ds_read_b128 v[124:127], v161 offset:16
	ds_read_b128 v[120:123], v161 offset:32
	;; [unrolled: 1-line block ×3, first 2 shown]
	s_waitcnt lgkmcnt(0)
	s_barrier
	global_load_dwordx4 v[36:39], v[48:49], off
	global_load_dwordx4 v[40:43], v[44:45], off
	v_lshl_add_u64 v[48:49], v[44:45], 0, s[8:9]
	v_lshl_add_u64 v[52:53], v[48:49], 0, s[8:9]
	global_load_dwordx4 v[44:47], v[48:49], off
	v_lshl_add_u64 v[88:89], v[52:53], 0, s[10:11]
	global_load_dwordx4 v[48:51], v[52:53], off
	ds_read_b128 v[60:63], v159
	ds_read_b128 v[68:71], v158 offset:256
	ds_read_b128 v[64:67], v158 offset:272
	;; [unrolled: 1-line block ×4, first 2 shown]
	v_add_f64 v[128:129], v[128:129], 0
	v_add_f64 v[130:131], v[130:131], 0
	v_add_f64 v[124:125], v[128:129], v[124:125]
	v_add_f64 v[126:127], v[130:131], v[126:127]
	v_add_f64 v[120:121], v[124:125], v[120:121]
	v_add_f64 v[122:123], v[126:127], v[122:123]
	v_add_f64 v[182:183], v[120:121], v[116:117]
	v_add_f64 v[184:185], v[122:123], v[118:119]
	s_waitcnt vmcnt(3) lgkmcnt(4)
	v_mul_f64 v[72:73], v[38:39], v[62:63]
	v_mul_f64 v[74:75], v[36:37], v[62:63]
	s_waitcnt vmcnt(2)
	v_mul_f64 v[76:77], v[42:43], v[62:63]
	v_mul_f64 v[78:79], v[40:41], v[62:63]
	s_waitcnt vmcnt(1)
	;; [unrolled: 3-line block ×3, first 2 shown]
	v_mul_f64 v[84:85], v[50:51], v[62:63]
	v_mul_f64 v[86:87], v[48:49], v[62:63]
	v_fma_f64 v[72:73], v[36:37], v[60:61], -v[72:73]
	v_fma_f64 v[76:77], v[40:41], v[60:61], -v[76:77]
	v_fmac_f64_e32 v[74:75], v[38:39], v[60:61]
	v_fma_f64 v[80:81], v[44:45], v[60:61], -v[80:81]
	v_fma_f64 v[84:85], v[48:49], v[60:61], -v[84:85]
	v_fmac_f64_e32 v[78:79], v[42:43], v[60:61]
	v_fmac_f64_e32 v[82:83], v[46:47], v[60:61]
	;; [unrolled: 1-line block ×3, first 2 shown]
	ds_write_b128 v160, v[72:75]
	ds_write_b128 v160, v[76:79] offset:1072
	ds_write_b128 v160, v[80:83] offset:2144
	;; [unrolled: 1-line block ×3, first 2 shown]
	v_lshl_add_u64 v[76:77], v[88:89], 0, s[8:9]
	v_lshl_add_u64 v[80:81], v[76:77], 0, s[8:9]
	s_waitcnt lgkmcnt(0)
	s_barrier
	ds_read_b128 v[144:147], v161
	ds_read_b128 v[140:143], v161 offset:16
	ds_read_b128 v[136:139], v161 offset:32
	;; [unrolled: 1-line block ×3, first 2 shown]
	s_waitcnt lgkmcnt(0)
	s_barrier
	global_load_dwordx4 v[60:63], v[88:89], off
	global_load_dwordx4 v[72:75], v[76:77], off
	v_lshl_add_u64 v[84:85], v[80:81], 0, s[8:9]
	global_load_dwordx4 v[76:79], v[80:81], off
	v_lshl_add_u64 v[94:95], v[84:85], 0, s[10:11]
	global_load_dwordx4 v[80:83], v[84:85], off
	ds_read_b128 v[88:91], v159
	ds_read_b128 v[108:111], v158 offset:512
	ds_read_b128 v[104:107], v158 offset:528
	;; [unrolled: 1-line block ×4, first 2 shown]
	v_add_f64 v[116:117], v[144:145], 0
	v_add_f64 v[118:119], v[146:147], 0
	;; [unrolled: 1-line block ×8, first 2 shown]
	s_waitcnt vmcnt(3) lgkmcnt(4)
	v_mul_f64 v[100:101], v[62:63], v[90:91]
	v_mul_f64 v[92:93], v[60:61], v[90:91]
	s_waitcnt vmcnt(2)
	v_mul_f64 v[112:113], v[74:75], v[90:91]
	v_mul_f64 v[102:103], v[72:73], v[90:91]
	s_waitcnt vmcnt(1)
	;; [unrolled: 3-line block ×3, first 2 shown]
	v_mul_f64 v[166:167], v[82:83], v[90:91]
	v_mul_f64 v[168:169], v[80:81], v[90:91]
	v_fma_f64 v[90:91], v[60:61], v[88:89], -v[100:101]
	v_fma_f64 v[100:101], v[72:73], v[88:89], -v[112:113]
	v_fmac_f64_e32 v[92:93], v[62:63], v[88:89]
	v_fma_f64 v[112:113], v[76:77], v[88:89], -v[154:155]
	v_fma_f64 v[166:167], v[80:81], v[88:89], -v[166:167]
	v_fmac_f64_e32 v[102:103], v[74:75], v[88:89]
	v_fmac_f64_e32 v[114:115], v[78:79], v[88:89]
	;; [unrolled: 1-line block ×3, first 2 shown]
	ds_write_b128 v160, v[90:93]
	ds_write_b128 v160, v[100:103] offset:1072
	ds_write_b128 v160, v[112:115] offset:2144
	;; [unrolled: 1-line block ×3, first 2 shown]
	v_lshl_add_u64 v[100:101], v[94:95], 0, s[8:9]
	v_lshl_add_u64 v[112:113], v[100:101], 0, s[8:9]
	s_waitcnt lgkmcnt(0)
	s_barrier
	ds_read_b128 v[166:169], v161
	ds_read_b128 v[170:173], v161 offset:16
	ds_read_b128 v[174:177], v161 offset:32
	;; [unrolled: 1-line block ×3, first 2 shown]
	s_waitcnt lgkmcnt(0)
	s_barrier
	global_load_dwordx4 v[88:91], v[94:95], off
	v_lshl_add_u64 v[154:155], v[112:113], 0, s[8:9]
	global_load_dwordx4 v[92:95], v[100:101], off
	v_add_f64 v[140:141], v[166:167], 0
	global_load_dwordx4 v[100:103], v[112:113], off
	v_add_f64 v[142:143], v[168:169], 0
	global_load_dwordx4 v[112:115], v[154:155], off
	ds_read_b128 v[136:139], v159
	ds_read_b128 v[116:119], v158 offset:768
	ds_read_b128 v[120:123], v158 offset:784
	ds_read_b128 v[124:127], v158 offset:800
	ds_read_b128 v[128:131], v158 offset:816
	v_add_f64 v[140:141], v[140:141], v[170:171]
	v_add_f64 v[142:143], v[142:143], v[172:173]
	;; [unrolled: 1-line block ×6, first 2 shown]
	s_waitcnt vmcnt(3) lgkmcnt(4)
	v_mul_f64 v[144:145], v[90:91], v[138:139]
	v_mul_f64 v[146:147], v[88:89], v[138:139]
	s_waitcnt vmcnt(2)
	v_mul_f64 v[166:167], v[94:95], v[138:139]
	v_mul_f64 v[168:169], v[92:93], v[138:139]
	s_waitcnt vmcnt(1)
	;; [unrolled: 3-line block ×3, first 2 shown]
	v_mul_f64 v[174:175], v[114:115], v[138:139]
	v_mul_f64 v[176:177], v[112:113], v[138:139]
	v_fma_f64 v[144:145], v[88:89], v[136:137], -v[144:145]
	v_fma_f64 v[166:167], v[92:93], v[136:137], -v[166:167]
	;; [unrolled: 1-line block ×3, first 2 shown]
	v_fmac_f64_e32 v[146:147], v[90:91], v[136:137]
	v_fmac_f64_e32 v[168:169], v[94:95], v[136:137]
	;; [unrolled: 1-line block ×3, first 2 shown]
	v_fma_f64 v[174:175], v[112:113], v[136:137], -v[174:175]
	v_fmac_f64_e32 v[176:177], v[114:115], v[136:137]
	ds_write_b128 v160, v[144:147]
	ds_write_b128 v160, v[166:169] offset:1072
	ds_write_b128 v160, v[170:173] offset:2144
	;; [unrolled: 1-line block ×3, first 2 shown]
	s_waitcnt lgkmcnt(0)
	s_barrier
	ds_read_b128 v[136:139], v161
	ds_read_b128 v[144:147], v161 offset:16
	ds_read_b128 v[166:169], v161 offset:32
	;; [unrolled: 1-line block ×3, first 2 shown]
	s_waitcnt lgkmcnt(0)
	s_barrier
	ds_write_b128 v164, v[182:185]
	ds_write_b128 v164, v[132:135] offset:256
	ds_write_b128 v164, v[140:143] offset:512
	v_add_f64 v[132:133], v[136:137], 0
	v_add_f64 v[134:135], v[138:139], 0
	;; [unrolled: 1-line block ×8, first 2 shown]
	ds_write_b128 v164, v[132:135] offset:768
	s_waitcnt lgkmcnt(0)
	s_barrier
	s_and_saveexec_b64 s[14:15], s[0:1]
	s_cbranch_execz .LBB129_98
; %bb.102:                              ;   in Loop: Header=BB129_99 Depth=1
	ds_read_b128 v[132:135], v162
	ds_read_b128 v[136:139], v162 offset:16
	ds_read_b128 v[140:143], v162 offset:32
	;; [unrolled: 1-line block ×3, first 2 shown]
	s_waitcnt lgkmcnt(2)
	v_add_f64 v[132:133], v[136:137], v[132:133]
	v_add_f64 v[136:137], v[138:139], v[134:135]
	s_waitcnt lgkmcnt(1)
	v_add_f64 v[138:139], v[132:133], v[140:141]
	ds_read_b128 v[132:135], v162 offset:64
	v_add_f64 v[140:141], v[136:137], v[142:143]
	s_waitcnt lgkmcnt(1)
	v_add_f64 v[142:143], v[138:139], v[144:145]
	ds_read_b128 v[136:139], v162 offset:80
	;; [unrolled: 4-line block ×9, first 2 shown]
	v_add_f64 v[134:135], v[144:145], v[134:135]
	s_waitcnt lgkmcnt(1)
	v_add_f64 v[136:137], v[132:133], v[136:137]
	v_add_f64 v[144:145], v[134:135], v[138:139]
	ds_read_b128 v[132:135], v162 offset:208
	s_waitcnt lgkmcnt(1)
	v_add_f64 v[146:147], v[136:137], v[140:141]
	ds_read_b128 v[136:139], v162 offset:224
	v_add_f64 v[144:145], v[144:145], v[142:143]
	ds_read_b128 v[140:143], v163
	s_waitcnt lgkmcnt(2)
	v_add_f64 v[132:133], v[146:147], v[132:133]
	v_add_f64 v[134:135], v[144:145], v[134:135]
	s_waitcnt lgkmcnt(1)
	v_add_f64 v[132:133], v[132:133], v[136:137]
	v_add_f64 v[134:135], v[134:135], v[138:139]
	;; [unrolled: 3-line block ×3, first 2 shown]
	v_lshl_add_u64 v[136:137], v[150:151], 4, s[6:7]
	global_store_dwordx4 v[136:137], v[132:135], off
	s_branch .LBB129_98
.LBB129_103:
	s_movk_i32 s0, 0x430
	v_mad_u32_u24 v4, v149, s0, v156
	s_nor_b64 s[0:1], s[4:5], vcc
	ds_write_b128 v4, v[0:3]
	s_waitcnt lgkmcnt(0)
	s_barrier
	s_and_saveexec_b64 s[2:3], s[0:1]
	s_cbranch_execz .LBB129_105
; %bb.104:
	ds_read_b128 v[0:3], v156 offset:1072
	ds_read_b128 v[4:7], v156
	ds_read_b128 v[8:11], v156 offset:2144
	ds_read_b128 v[12:15], v156 offset:3216
	v_ashrrev_i32_e32 v149, 31, v148
	s_waitcnt lgkmcnt(2)
	v_add_f64 v[0:1], v[0:1], v[4:5]
	v_add_f64 v[2:3], v[2:3], v[6:7]
	s_waitcnt lgkmcnt(1)
	v_add_f64 v[0:1], v[0:1], v[8:9]
	v_add_f64 v[2:3], v[2:3], v[10:11]
	;; [unrolled: 3-line block ×3, first 2 shown]
	v_lshl_add_u64 v[4:5], v[148:149], 4, s[6:7]
	global_store_dwordx4 v[4:5], v[0:3], off
.LBB129_105:
	s_endpgm
	.section	.rodata,"a",@progbits
	.p2align	6, 0x0
	.amdhsa_kernel _ZL26rocblas_hemvn_kernel_lowerILb0ELi64ELi4ELi33ELi32ELi16Ei19rocblas_complex_numIdEPKS1_PS1_EviT6_lT7_lT5_lS6_lS7_lS5_lT8_i
		.amdhsa_group_segment_fixed_size 19200
		.amdhsa_private_segment_fixed_size 0
		.amdhsa_kernarg_size 392
		.amdhsa_user_sgpr_count 2
		.amdhsa_user_sgpr_dispatch_ptr 0
		.amdhsa_user_sgpr_queue_ptr 0
		.amdhsa_user_sgpr_kernarg_segment_ptr 1
		.amdhsa_user_sgpr_dispatch_id 0
		.amdhsa_user_sgpr_kernarg_preload_length 0
		.amdhsa_user_sgpr_kernarg_preload_offset 0
		.amdhsa_user_sgpr_private_segment_size 0
		.amdhsa_uses_dynamic_stack 0
		.amdhsa_enable_private_segment 0
		.amdhsa_system_sgpr_workgroup_id_x 1
		.amdhsa_system_sgpr_workgroup_id_y 0
		.amdhsa_system_sgpr_workgroup_id_z 1
		.amdhsa_system_sgpr_workgroup_info 0
		.amdhsa_system_vgpr_workitem_id 1
		.amdhsa_next_free_vgpr 186
		.amdhsa_next_free_sgpr 42
		.amdhsa_accum_offset 188
		.amdhsa_reserve_vcc 1
		.amdhsa_float_round_mode_32 0
		.amdhsa_float_round_mode_16_64 0
		.amdhsa_float_denorm_mode_32 3
		.amdhsa_float_denorm_mode_16_64 3
		.amdhsa_dx10_clamp 1
		.amdhsa_ieee_mode 1
		.amdhsa_fp16_overflow 0
		.amdhsa_tg_split 0
		.amdhsa_exception_fp_ieee_invalid_op 0
		.amdhsa_exception_fp_denorm_src 0
		.amdhsa_exception_fp_ieee_div_zero 0
		.amdhsa_exception_fp_ieee_overflow 0
		.amdhsa_exception_fp_ieee_underflow 0
		.amdhsa_exception_fp_ieee_inexact 0
		.amdhsa_exception_int_div_zero 0
	.end_amdhsa_kernel
	.section	.text._ZL26rocblas_hemvn_kernel_lowerILb0ELi64ELi4ELi33ELi32ELi16Ei19rocblas_complex_numIdEPKS1_PS1_EviT6_lT7_lT5_lS6_lS7_lS5_lT8_i,"axG",@progbits,_ZL26rocblas_hemvn_kernel_lowerILb0ELi64ELi4ELi33ELi32ELi16Ei19rocblas_complex_numIdEPKS1_PS1_EviT6_lT7_lT5_lS6_lS7_lS5_lT8_i,comdat
.Lfunc_end129:
	.size	_ZL26rocblas_hemvn_kernel_lowerILb0ELi64ELi4ELi33ELi32ELi16Ei19rocblas_complex_numIdEPKS1_PS1_EviT6_lT7_lT5_lS6_lS7_lS5_lT8_i, .Lfunc_end129-_ZL26rocblas_hemvn_kernel_lowerILb0ELi64ELi4ELi33ELi32ELi16Ei19rocblas_complex_numIdEPKS1_PS1_EviT6_lT7_lT5_lS6_lS7_lS5_lT8_i
                                        ; -- End function
	.set _ZL26rocblas_hemvn_kernel_lowerILb0ELi64ELi4ELi33ELi32ELi16Ei19rocblas_complex_numIdEPKS1_PS1_EviT6_lT7_lT5_lS6_lS7_lS5_lT8_i.num_vgpr, 186
	.set _ZL26rocblas_hemvn_kernel_lowerILb0ELi64ELi4ELi33ELi32ELi16Ei19rocblas_complex_numIdEPKS1_PS1_EviT6_lT7_lT5_lS6_lS7_lS5_lT8_i.num_agpr, 0
	.set _ZL26rocblas_hemvn_kernel_lowerILb0ELi64ELi4ELi33ELi32ELi16Ei19rocblas_complex_numIdEPKS1_PS1_EviT6_lT7_lT5_lS6_lS7_lS5_lT8_i.numbered_sgpr, 42
	.set _ZL26rocblas_hemvn_kernel_lowerILb0ELi64ELi4ELi33ELi32ELi16Ei19rocblas_complex_numIdEPKS1_PS1_EviT6_lT7_lT5_lS6_lS7_lS5_lT8_i.num_named_barrier, 0
	.set _ZL26rocblas_hemvn_kernel_lowerILb0ELi64ELi4ELi33ELi32ELi16Ei19rocblas_complex_numIdEPKS1_PS1_EviT6_lT7_lT5_lS6_lS7_lS5_lT8_i.private_seg_size, 0
	.set _ZL26rocblas_hemvn_kernel_lowerILb0ELi64ELi4ELi33ELi32ELi16Ei19rocblas_complex_numIdEPKS1_PS1_EviT6_lT7_lT5_lS6_lS7_lS5_lT8_i.uses_vcc, 1
	.set _ZL26rocblas_hemvn_kernel_lowerILb0ELi64ELi4ELi33ELi32ELi16Ei19rocblas_complex_numIdEPKS1_PS1_EviT6_lT7_lT5_lS6_lS7_lS5_lT8_i.uses_flat_scratch, 0
	.set _ZL26rocblas_hemvn_kernel_lowerILb0ELi64ELi4ELi33ELi32ELi16Ei19rocblas_complex_numIdEPKS1_PS1_EviT6_lT7_lT5_lS6_lS7_lS5_lT8_i.has_dyn_sized_stack, 0
	.set _ZL26rocblas_hemvn_kernel_lowerILb0ELi64ELi4ELi33ELi32ELi16Ei19rocblas_complex_numIdEPKS1_PS1_EviT6_lT7_lT5_lS6_lS7_lS5_lT8_i.has_recursion, 0
	.set _ZL26rocblas_hemvn_kernel_lowerILb0ELi64ELi4ELi33ELi32ELi16Ei19rocblas_complex_numIdEPKS1_PS1_EviT6_lT7_lT5_lS6_lS7_lS5_lT8_i.has_indirect_call, 0
	.section	.AMDGPU.csdata,"",@progbits
; Kernel info:
; codeLenInByte = 8964
; TotalNumSgprs: 48
; NumVgprs: 186
; NumAgprs: 0
; TotalNumVgprs: 186
; ScratchSize: 0
; MemoryBound: 0
; FloatMode: 240
; IeeeMode: 1
; LDSByteSize: 19200 bytes/workgroup (compile time only)
; SGPRBlocks: 5
; VGPRBlocks: 23
; NumSGPRsForWavesPerEU: 48
; NumVGPRsForWavesPerEU: 186
; AccumOffset: 188
; Occupancy: 2
; WaveLimiterHint : 1
; COMPUTE_PGM_RSRC2:SCRATCH_EN: 0
; COMPUTE_PGM_RSRC2:USER_SGPR: 2
; COMPUTE_PGM_RSRC2:TRAP_HANDLER: 0
; COMPUTE_PGM_RSRC2:TGID_X_EN: 1
; COMPUTE_PGM_RSRC2:TGID_Y_EN: 0
; COMPUTE_PGM_RSRC2:TGID_Z_EN: 1
; COMPUTE_PGM_RSRC2:TIDIG_COMP_CNT: 1
; COMPUTE_PGM_RSRC3_GFX90A:ACCUM_OFFSET: 46
; COMPUTE_PGM_RSRC3_GFX90A:TG_SPLIT: 0
	.section	.text._ZL50rocblas_symv_kernel_upper_double_buffered_diagonalILi32ELi4E24rocblas_internal_val_ptrIfEPKPKfPKPfEvbiT1_lT2_lllSA_lllS9_lT3_llli,"axG",@progbits,_ZL50rocblas_symv_kernel_upper_double_buffered_diagonalILi32ELi4E24rocblas_internal_val_ptrIfEPKPKfPKPfEvbiT1_lT2_lllSA_lllS9_lT3_llli,comdat
	.globl	_ZL50rocblas_symv_kernel_upper_double_buffered_diagonalILi32ELi4E24rocblas_internal_val_ptrIfEPKPKfPKPfEvbiT1_lT2_lllSA_lllS9_lT3_llli ; -- Begin function _ZL50rocblas_symv_kernel_upper_double_buffered_diagonalILi32ELi4E24rocblas_internal_val_ptrIfEPKPKfPKPfEvbiT1_lT2_lllSA_lllS9_lT3_llli
	.p2align	8
	.type	_ZL50rocblas_symv_kernel_upper_double_buffered_diagonalILi32ELi4E24rocblas_internal_val_ptrIfEPKPKfPKPfEvbiT1_lT2_lllSA_lllS9_lT3_llli,@function
_ZL50rocblas_symv_kernel_upper_double_buffered_diagonalILi32ELi4E24rocblas_internal_val_ptrIfEPKPKfPKPfEvbiT1_lT2_lllSA_lllS9_lT3_llli: ; @_ZL50rocblas_symv_kernel_upper_double_buffered_diagonalILi32ELi4E24rocblas_internal_val_ptrIfEPKPKfPKPfEvbiT1_lT2_lllSA_lllS9_lT3_llli
; %bb.0:
	s_mov_b32 s18, s3
	s_load_dword s3, s[0:1], 0x0
	s_load_dwordx8 s[4:11], s[0:1], 0x8
	s_load_dwordx2 s[16:17], s[0:1], 0x28
	s_mov_b64 s[22:23], -1
                                        ; implicit-def: $sgpr28
	s_waitcnt lgkmcnt(0)
	s_bitcmp1_b32 s3, 0
	s_cselect_b64 s[12:13], -1, 0
	s_xor_b64 s[20:21], s[12:13], -1
	s_and_b64 vcc, exec, s[20:21]
	s_cbranch_vccnz .LBB130_7
; %bb.1:
	s_load_dwordx4 s[12:15], s[0:1], 0x58
	s_andn2_b64 vcc, exec, s[22:23]
	s_cbranch_vccz .LBB130_8
.LBB130_2:
	s_andn2_b64 vcc, exec, s[20:21]
	s_cbranch_vccnz .LBB130_4
.LBB130_3:
	s_waitcnt lgkmcnt(0)
	s_mul_i32 s3, s15, s18
	s_mul_hi_u32 s4, s14, s18
	s_add_i32 s5, s4, s3
	s_mul_i32 s4, s14, s18
	s_lshl_b64 s[4:5], s[4:5], 2
	s_add_u32 s4, s12, s4
	s_addc_u32 s5, s13, s5
	s_load_dword s12, s[4:5], 0x0
.LBB130_4:
	s_waitcnt lgkmcnt(0)
	v_cmp_eq_f32_e64 s[22:23], s28, 0
	v_cmp_eq_f32_e64 s[4:5], s12, 1.0
	s_and_b64 s[4:5], s[22:23], s[4:5]
	s_and_b64 vcc, exec, s[4:5]
	s_cbranch_vccnz .LBB130_42
; %bb.5:
	v_cmp_neq_f32_e64 s[26:27], s28, 0
	s_mov_b32 s19, 0
	s_and_b64 vcc, exec, s[26:27]
	s_cbranch_vccnz .LBB130_9
; %bb.6:
	s_mov_b64 s[4:5], 0
	s_branch .LBB130_10
.LBB130_7:
	s_mul_i32 s3, s7, s18
	s_mul_hi_u32 s7, s6, s18
	s_add_i32 s7, s7, s3
	s_mul_i32 s6, s6, s18
	s_lshl_b64 s[6:7], s[6:7], 2
	s_add_u32 s6, s4, s6
	s_addc_u32 s7, s5, s7
	s_load_dword s28, s[6:7], 0x0
	s_load_dwordx4 s[12:15], s[0:1], 0x58
	s_cbranch_execnz .LBB130_2
.LBB130_8:
	s_waitcnt lgkmcnt(0)
	s_mov_b32 s28, s4
	s_andn2_b64 vcc, exec, s[20:21]
	s_cbranch_vccz .LBB130_3
	s_branch .LBB130_4
.LBB130_9:
	s_mov_b64 s[4:5], -1
.LBB130_10:
	s_load_dwordx2 s[24:25], s[0:1], 0x68
	s_mov_b64 s[20:21], 0
	s_andn2_b64 vcc, exec, s[4:5]
	s_mov_b64 s[14:15], 0
	s_cbranch_vccnz .LBB130_12
; %bb.11:
	s_lshl_b64 s[4:5], s[18:19], 3
	s_add_u32 s4, s8, s4
	s_addc_u32 s5, s9, s5
	s_load_dwordx2 s[4:5], s[4:5], 0x0
	s_lshl_b64 s[6:7], s[10:11], 2
	s_waitcnt lgkmcnt(0)
	s_add_u32 s14, s4, s6
	s_addc_u32 s15, s5, s7
.LBB130_12:
	s_load_dwordx4 s[4:7], s[0:1], 0x38
	s_load_dwordx2 s[8:9], s[0:1], 0x48
	s_andn2_b64 vcc, exec, s[26:27]
	s_cbranch_vccnz .LBB130_14
; %bb.13:
	s_lshl_b64 s[10:11], s[18:19], 3
	s_waitcnt lgkmcnt(0)
	s_add_u32 s4, s4, s10
	s_addc_u32 s5, s5, s11
	s_load_dwordx2 s[4:5], s[4:5], 0x0
	s_lshl_b64 s[6:7], s[6:7], 2
	s_waitcnt lgkmcnt(0)
	s_add_u32 s20, s4, s6
	s_addc_u32 s21, s5, s7
.LBB130_14:
	s_waitcnt lgkmcnt(0)
	s_load_dwordx4 s[4:7], s[0:1], 0x70
	s_lshl_b64 s[0:1], s[18:19], 3
	s_add_u32 s0, s24, s0
	s_addc_u32 s1, s25, s1
	s_load_dwordx2 s[0:1], s[0:1], 0x0
	s_waitcnt lgkmcnt(0)
	s_lshl_b64 s[4:5], s[4:5], 2
	v_bfe_u32 v12, v0, 10, 10
	v_and_b32_e32 v10, 0x3ff, v0
	s_add_u32 s3, s0, s4
	s_addc_u32 s4, s1, s5
	s_lshl_b32 s10, s2, 5
	s_ashr_i32 s11, s10, 31
	s_mul_i32 s0, s6, s11
	s_mul_hi_u32 s1, s6, s10
	s_add_i32 s0, s1, s0
	s_mul_i32 s1, s7, s10
	s_add_i32 s1, s0, s1
	s_mul_i32 s0, s6, s10
	s_lshl_b64 s[0:1], s[0:1], 2
	s_add_u32 s2, s3, s0
	s_addc_u32 s3, s4, s1
	s_mov_b64 s[4:5], -1
	s_andn2_b64 vcc, exec, s[22:23]
	v_cmp_eq_u32_e64 s[0:1], 0, v12
	s_cbranch_vccnz .LBB130_18
; %bb.15:
	s_and_saveexec_b64 s[4:5], s[0:1]
	s_cbranch_execz .LBB130_17
; %bb.16:
	v_mad_u64_u32 v[0:1], s[0:1], s6, v10, 0
	v_mov_b32_e32 v2, v1
	v_mad_u64_u32 v[2:3], s[0:1], s7, v10, v[2:3]
	v_mov_b32_e32 v1, v2
	v_lshl_add_u64 v[0:1], v[0:1], 2, s[2:3]
	flat_load_dword v2, v[0:1]
	s_waitcnt vmcnt(0) lgkmcnt(0)
	v_mul_f32_e32 v2, s12, v2
	flat_store_dword v[0:1], v2
.LBB130_17:
	s_or_b64 exec, exec, s[4:5]
	s_mov_b64 s[4:5], 0
.LBB130_18:
	s_andn2_b64 vcc, exec, s[4:5]
	s_cbranch_vccnz .LBB130_42
; %bb.19:
	v_mov_b32_e32 v11, 0
	v_cmp_eq_u32_e64 s[0:1], 0, v12
	s_and_saveexec_b64 s[4:5], s[0:1]
	s_cbranch_execz .LBB130_23
; %bb.20:
	v_cmp_eq_f32_e64 s[18:19], s12, 0
	v_mov_b32_e32 v11, 0
	s_and_b64 vcc, exec, s[18:19]
	s_cbranch_vccnz .LBB130_22
; %bb.21:
	v_mad_u64_u32 v[0:1], s[18:19], s6, v10, 0
	v_mov_b32_e32 v2, v1
	v_mad_u64_u32 v[2:3], s[18:19], s7, v10, v[2:3]
	v_mov_b32_e32 v1, v2
	v_lshl_add_u64 v[0:1], v[0:1], 2, s[2:3]
	flat_load_dword v0, v[0:1]
	s_waitcnt vmcnt(0) lgkmcnt(0)
	v_mul_f32_e32 v11, s12, v0
.LBB130_22:
	s_mul_i32 s13, s8, s11
	s_mul_hi_u32 s18, s8, s10
	s_add_i32 s13, s18, s13
	s_mul_i32 s18, s9, s10
	s_add_i32 s19, s13, s18
	s_mul_i32 s18, s8, s10
	s_lshl_b64 s[18:19], s[18:19], 2
	s_add_u32 s18, s20, s18
	s_addc_u32 s19, s21, s19
	v_mad_u64_u32 v[0:1], s[20:21], s8, v10, 0
	v_mov_b32_e32 v2, v1
	v_mad_u64_u32 v[2:3], s[8:9], s9, v10, v[2:3]
	v_mov_b32_e32 v1, v2
	v_lshl_add_u64 v[0:1], v[0:1], 2, s[18:19]
	flat_load_dword v0, v[0:1]
	v_lshlrev_b32_e32 v1, 2, v10
	s_waitcnt vmcnt(0) lgkmcnt(0)
	ds_write_b32 v1, v0 offset:5120
.LBB130_23:
	s_or_b64 exec, exec, s[4:5]
	s_add_u32 s4, s16, 1
	s_addc_u32 s5, s17, 0
	s_mul_i32 s8, s4, s11
	s_mul_hi_u32 s9, s4, s10
	s_add_i32 s8, s9, s8
	s_mul_i32 s5, s5, s10
	s_add_i32 s5, s8, s5
	s_mul_i32 s4, s4, s10
	v_mad_u64_u32 v[0:1], s[8:9], s16, v12, 0
	s_lshl_b64 s[4:5], s[4:5], 2
	v_mov_b32_e32 v2, v1
	s_add_u32 s4, s14, s4
	v_mad_u64_u32 v[2:3], s[8:9], s17, v12, v[2:3]
	s_addc_u32 s5, s15, s5
	v_mov_b32_e32 v1, v2
	v_lshl_add_u64 v[2:3], v[0:1], 2, s[4:5]
	v_lshlrev_b32_e32 v0, 2, v10
	v_mov_b32_e32 v1, 0
	v_cmp_lt_u32_e32 vcc, 15, v10
	s_mul_i32 s13, s17, 12
	s_mul_hi_u32 s18, s16, 12
	s_mul_i32 s4, s16, 12
                                        ; implicit-def: $sgpr10_sgpr11
                                        ; implicit-def: $sgpr14_sgpr15
	s_and_saveexec_b64 s[8:9], vcc
	s_xor_b64 s[8:9], exec, s[8:9]
; %bb.24:
	s_lshl_b64 s[10:11], s[16:17], 2
	s_lshl_b64 s[14:15], s[16:17], 3
	s_add_i32 s5, s18, s13
; %bb.25:
	s_or_saveexec_b64 s[8:9], s[8:9]
	v_lshl_add_u64 v[2:3], v[2:3], 0, v[0:1]
	v_mov_b64_e32 v[4:5], s[4:5]
	v_mov_b64_e32 v[6:7], s[14:15]
	;; [unrolled: 1-line block ×3, first 2 shown]
	v_lshlrev_b32_e32 v1, 7, v12
	s_xor_b64 exec, exec, s[8:9]
	s_cbranch_execz .LBB130_27
; %bb.26:
	s_lshl_b64 s[10:11], s[16:17], 4
	v_lshl_add_u64 v[4:5], v[2:3], 0, s[10:11]
	v_lshl_add_u64 v[6:7], v[4:5], 0, s[10:11]
	;; [unrolled: 1-line block ×3, first 2 shown]
	flat_load_dword v13, v[2:3]
	flat_load_dword v14, v[4:5]
	;; [unrolled: 1-line block ×4, first 2 shown]
	v_lshl_add_u32 v8, v10, 2, v1
	s_lshl_b64 s[10:11], s[16:17], 2
	s_lshl_b64 s[14:15], s[16:17], 3
	s_add_i32 s5, s18, s13
	v_mov_b64_e32 v[4:5], s[4:5]
	v_mov_b64_e32 v[6:7], s[14:15]
	s_waitcnt vmcnt(0) lgkmcnt(0)
	ds_write2st64_b32 v8, v13, v14 offset1:2
	ds_write2st64_b32 v8, v15, v16 offset0:4 offset1:6
	v_mov_b64_e32 v[8:9], s[10:11]
.LBB130_27:
	s_or_b64 exec, exec, s[8:9]
	s_lshl_b64 s[4:5], s[16:17], 6
	v_lshl_add_u64 v[2:3], v[2:3], 0, s[4:5]
	v_lshl_add_u64 v[8:9], v[8:9], 2, v[2:3]
	;; [unrolled: 1-line block ×4, first 2 shown]
	flat_load_dword v13, v[2:3]
	flat_load_dword v14, v[8:9]
	;; [unrolled: 1-line block ×4, first 2 shown]
	v_add_u32_e32 v2, 0x800, v1
	v_add_u32_e32 v5, 0xc00, v1
	v_sub_u32_e32 v6, v10, v12
	s_movk_i32 s4, 0x7c
	v_add_u32_e32 v4, v0, v2
	v_add_u32_e32 v2, v0, v5
	v_sub_u32_e32 v5, 0, v6
	v_add_u32_e32 v3, 0xa00, v1
	v_add_u32_e32 v1, 0xe00, v1
	v_mad_u32_u24 v8, v10, s4, v0
	v_max_i32_e32 v7, v6, v5
	v_add_u32_e32 v3, v0, v3
	v_add_u32_e32 v1, v0, v1
	v_cmp_lt_u32_e32 vcc, 16, v7
	v_lshl_add_u32 v6, v12, 2, v8
	s_waitcnt vmcnt(0) lgkmcnt(0)
	ds_write_b32 v4, v13
	ds_write_b32 v3, v14
	;; [unrolled: 1-line block ×4, first 2 shown]
	s_waitcnt lgkmcnt(0)
	s_barrier
	s_and_saveexec_b64 s[4:5], vcc
	s_cbranch_execnz .LBB130_43
; %bb.28:
	s_or_b64 exec, exec, s[4:5]
	v_cmp_lt_u32_e32 vcc, 20, v7
	s_and_saveexec_b64 s[4:5], vcc
	s_cbranch_execnz .LBB130_44
.LBB130_29:
	s_or_b64 exec, exec, s[4:5]
	v_cmp_lt_u32_e32 vcc, 24, v7
	s_and_saveexec_b64 s[4:5], vcc
	s_cbranch_execnz .LBB130_45
.LBB130_30:
	s_or_b64 exec, exec, s[4:5]
	v_cmp_lt_u32_e32 vcc, 28, v7
	s_and_saveexec_b64 s[4:5], vcc
	s_cbranch_execz .LBB130_32
.LBB130_31:
	ds_read_b32 v5, v6 offset:112
	s_waitcnt lgkmcnt(0)
	ds_write_b32 v1, v5
.LBB130_32:
	s_or_b64 exec, exec, s[4:5]
	v_lshlrev_b32_e32 v5, 5, v12
	v_cmp_ge_u32_e32 vcc, v10, v12
	s_and_saveexec_b64 s[4:5], vcc
	s_cbranch_execz .LBB130_34
; %bb.33:
	ds_read_b32 v8, v6
	v_lshl_add_u32 v9, v5, 2, v0
	s_waitcnt lgkmcnt(0)
	ds_write_b32 v9, v8
.LBB130_34:
	s_or_b64 exec, exec, s[4:5]
	v_cmp_lt_u32_e32 vcc, 4, v7
	v_lshl_add_u32 v8, v12, 7, v0
	s_and_saveexec_b64 s[4:5], vcc
	s_cbranch_execz .LBB130_36
; %bb.35:
	ds_read_b32 v9, v6 offset:16
	s_waitcnt lgkmcnt(0)
	ds_write_b32 v8, v9 offset:512
.LBB130_36:
	s_or_b64 exec, exec, s[4:5]
	v_cmp_lt_u32_e32 vcc, 8, v7
	s_and_saveexec_b64 s[4:5], vcc
	s_cbranch_execz .LBB130_38
; %bb.37:
	ds_read_b32 v9, v6 offset:32
	s_waitcnt lgkmcnt(0)
	ds_write_b32 v8, v9 offset:1024
.LBB130_38:
	s_or_b64 exec, exec, s[4:5]
	v_cmp_lt_u32_e32 vcc, 12, v7
	v_mov_b32_e32 v7, 0x600
	v_lshl_add_u32 v7, v12, 7, v7
	v_add_u32_e32 v7, v0, v7
	s_and_saveexec_b64 s[4:5], vcc
	s_cbranch_execz .LBB130_40
; %bb.39:
	ds_read_b32 v6, v6 offset:48
	s_waitcnt lgkmcnt(0)
	ds_write_b32 v7, v6
.LBB130_40:
	s_or_b64 exec, exec, s[4:5]
	v_lshlrev_b32_e32 v6, 2, v12
	s_waitcnt lgkmcnt(0)
	s_barrier
	ds_read2st64_b32 v[14:15], v8 offset1:2
	v_add_u32_e32 v18, 0x1400, v6
	ds_read2_b32 v[12:13], v18 offset1:4
	ds_read2_b32 v[16:17], v18 offset0:8 offset1:12
	s_waitcnt lgkmcnt(1)
	v_pk_mul_f32 v[12:13], v[14:15], v[12:13]
	s_nop 0
	v_add_f32_e32 v6, 0, v12
	v_add_f32_e32 v14, v6, v13
	ds_read2_b32 v[12:13], v18 offset0:16 offset1:20
	ds_read_b32 v6, v8 offset:1024
	ds_read_b32 v7, v7
	ds_read_b32 v8, v4
	;; [unrolled: 1-line block ×5, first 2 shown]
	s_waitcnt lgkmcnt(4)
	v_pk_mul_f32 v[6:7], v[6:7], v[16:17]
	s_nop 0
	v_add_f32_e32 v1, v14, v6
	ds_read2_b32 v[14:15], v18 offset0:24 offset1:28
	v_add_f32_e32 v1, v1, v7
	s_waitcnt lgkmcnt(3)
	v_pk_mul_f32 v[6:7], v[8:9], v[12:13]
	s_waitcnt lgkmcnt(0)
	v_pk_mul_f32 v[2:3], v[2:3], v[14:15]
	v_add_f32_e32 v1, v1, v6
	v_add_f32_e32 v1, v1, v7
	;; [unrolled: 1-line block ×4, first 2 shown]
	v_add_lshl_u32 v2, v5, v10, 2
	ds_write_b32 v2, v1 offset:4096
	s_waitcnt lgkmcnt(0)
	s_barrier
	s_and_saveexec_b64 s[4:5], s[0:1]
	s_cbranch_execz .LBB130_42
; %bb.41:
	v_add_u32_e32 v2, 0x1000, v0
	ds_read2_b32 v[0:1], v2 offset1:32
	ds_read2_b32 v[2:3], v2 offset0:64 offset1:96
	v_cmp_neq_f32_e64 vcc, s12, 0
	s_waitcnt lgkmcnt(1)
	v_add_f32_e32 v0, 0, v0
	v_add_f32_e32 v0, v0, v1
	s_waitcnt lgkmcnt(0)
	v_add_f32_e32 v0, v0, v2
	v_add_f32_e32 v0, v0, v3
	v_mul_f32_e32 v1, s28, v0
	v_fmac_f32_e32 v11, s28, v0
	v_cndmask_b32_e32 v4, v1, v11, vcc
	v_mad_u64_u32 v[0:1], s[0:1], s6, v10, 0
	v_mov_b32_e32 v2, v1
	v_mad_u64_u32 v[2:3], s[0:1], s7, v10, v[2:3]
	v_mov_b32_e32 v1, v2
	v_lshl_add_u64 v[0:1], v[0:1], 2, s[2:3]
	flat_store_dword v[0:1], v4
.LBB130_42:
	s_endpgm
.LBB130_43:
	ds_read_b32 v5, v6 offset:64
	s_waitcnt lgkmcnt(0)
	ds_write_b32 v4, v5
	s_or_b64 exec, exec, s[4:5]
	v_cmp_lt_u32_e32 vcc, 20, v7
	s_and_saveexec_b64 s[4:5], vcc
	s_cbranch_execz .LBB130_29
.LBB130_44:
	ds_read_b32 v5, v6 offset:80
	s_waitcnt lgkmcnt(0)
	ds_write_b32 v3, v5
	s_or_b64 exec, exec, s[4:5]
	v_cmp_lt_u32_e32 vcc, 24, v7
	s_and_saveexec_b64 s[4:5], vcc
	s_cbranch_execz .LBB130_30
.LBB130_45:
	ds_read_b32 v5, v6 offset:96
	s_waitcnt lgkmcnt(0)
	ds_write_b32 v2, v5
	s_or_b64 exec, exec, s[4:5]
	v_cmp_lt_u32_e32 vcc, 28, v7
	s_and_saveexec_b64 s[4:5], vcc
	s_cbranch_execnz .LBB130_31
	s_branch .LBB130_32
	.section	.rodata,"a",@progbits
	.p2align	6, 0x0
	.amdhsa_kernel _ZL50rocblas_symv_kernel_upper_double_buffered_diagonalILi32ELi4E24rocblas_internal_val_ptrIfEPKPKfPKPfEvbiT1_lT2_lllSA_lllS9_lT3_llli
		.amdhsa_group_segment_fixed_size 5248
		.amdhsa_private_segment_fixed_size 0
		.amdhsa_kernarg_size 140
		.amdhsa_user_sgpr_count 2
		.amdhsa_user_sgpr_dispatch_ptr 0
		.amdhsa_user_sgpr_queue_ptr 0
		.amdhsa_user_sgpr_kernarg_segment_ptr 1
		.amdhsa_user_sgpr_dispatch_id 0
		.amdhsa_user_sgpr_kernarg_preload_length 0
		.amdhsa_user_sgpr_kernarg_preload_offset 0
		.amdhsa_user_sgpr_private_segment_size 0
		.amdhsa_uses_dynamic_stack 0
		.amdhsa_enable_private_segment 0
		.amdhsa_system_sgpr_workgroup_id_x 1
		.amdhsa_system_sgpr_workgroup_id_y 0
		.amdhsa_system_sgpr_workgroup_id_z 1
		.amdhsa_system_sgpr_workgroup_info 0
		.amdhsa_system_vgpr_workitem_id 1
		.amdhsa_next_free_vgpr 19
		.amdhsa_next_free_sgpr 29
		.amdhsa_accum_offset 20
		.amdhsa_reserve_vcc 1
		.amdhsa_float_round_mode_32 0
		.amdhsa_float_round_mode_16_64 0
		.amdhsa_float_denorm_mode_32 3
		.amdhsa_float_denorm_mode_16_64 3
		.amdhsa_dx10_clamp 1
		.amdhsa_ieee_mode 1
		.amdhsa_fp16_overflow 0
		.amdhsa_tg_split 0
		.amdhsa_exception_fp_ieee_invalid_op 0
		.amdhsa_exception_fp_denorm_src 0
		.amdhsa_exception_fp_ieee_div_zero 0
		.amdhsa_exception_fp_ieee_overflow 0
		.amdhsa_exception_fp_ieee_underflow 0
		.amdhsa_exception_fp_ieee_inexact 0
		.amdhsa_exception_int_div_zero 0
	.end_amdhsa_kernel
	.section	.text._ZL50rocblas_symv_kernel_upper_double_buffered_diagonalILi32ELi4E24rocblas_internal_val_ptrIfEPKPKfPKPfEvbiT1_lT2_lllSA_lllS9_lT3_llli,"axG",@progbits,_ZL50rocblas_symv_kernel_upper_double_buffered_diagonalILi32ELi4E24rocblas_internal_val_ptrIfEPKPKfPKPfEvbiT1_lT2_lllSA_lllS9_lT3_llli,comdat
.Lfunc_end130:
	.size	_ZL50rocblas_symv_kernel_upper_double_buffered_diagonalILi32ELi4E24rocblas_internal_val_ptrIfEPKPKfPKPfEvbiT1_lT2_lllSA_lllS9_lT3_llli, .Lfunc_end130-_ZL50rocblas_symv_kernel_upper_double_buffered_diagonalILi32ELi4E24rocblas_internal_val_ptrIfEPKPKfPKPfEvbiT1_lT2_lllSA_lllS9_lT3_llli
                                        ; -- End function
	.set _ZL50rocblas_symv_kernel_upper_double_buffered_diagonalILi32ELi4E24rocblas_internal_val_ptrIfEPKPKfPKPfEvbiT1_lT2_lllSA_lllS9_lT3_llli.num_vgpr, 19
	.set _ZL50rocblas_symv_kernel_upper_double_buffered_diagonalILi32ELi4E24rocblas_internal_val_ptrIfEPKPKfPKPfEvbiT1_lT2_lllSA_lllS9_lT3_llli.num_agpr, 0
	.set _ZL50rocblas_symv_kernel_upper_double_buffered_diagonalILi32ELi4E24rocblas_internal_val_ptrIfEPKPKfPKPfEvbiT1_lT2_lllSA_lllS9_lT3_llli.numbered_sgpr, 29
	.set _ZL50rocblas_symv_kernel_upper_double_buffered_diagonalILi32ELi4E24rocblas_internal_val_ptrIfEPKPKfPKPfEvbiT1_lT2_lllSA_lllS9_lT3_llli.num_named_barrier, 0
	.set _ZL50rocblas_symv_kernel_upper_double_buffered_diagonalILi32ELi4E24rocblas_internal_val_ptrIfEPKPKfPKPfEvbiT1_lT2_lllSA_lllS9_lT3_llli.private_seg_size, 0
	.set _ZL50rocblas_symv_kernel_upper_double_buffered_diagonalILi32ELi4E24rocblas_internal_val_ptrIfEPKPKfPKPfEvbiT1_lT2_lllSA_lllS9_lT3_llli.uses_vcc, 1
	.set _ZL50rocblas_symv_kernel_upper_double_buffered_diagonalILi32ELi4E24rocblas_internal_val_ptrIfEPKPKfPKPfEvbiT1_lT2_lllSA_lllS9_lT3_llli.uses_flat_scratch, 0
	.set _ZL50rocblas_symv_kernel_upper_double_buffered_diagonalILi32ELi4E24rocblas_internal_val_ptrIfEPKPKfPKPfEvbiT1_lT2_lllSA_lllS9_lT3_llli.has_dyn_sized_stack, 0
	.set _ZL50rocblas_symv_kernel_upper_double_buffered_diagonalILi32ELi4E24rocblas_internal_val_ptrIfEPKPKfPKPfEvbiT1_lT2_lllSA_lllS9_lT3_llli.has_recursion, 0
	.set _ZL50rocblas_symv_kernel_upper_double_buffered_diagonalILi32ELi4E24rocblas_internal_val_ptrIfEPKPKfPKPfEvbiT1_lT2_lllSA_lllS9_lT3_llli.has_indirect_call, 0
	.section	.AMDGPU.csdata,"",@progbits
; Kernel info:
; codeLenInByte = 1952
; TotalNumSgprs: 35
; NumVgprs: 19
; NumAgprs: 0
; TotalNumVgprs: 19
; ScratchSize: 0
; MemoryBound: 0
; FloatMode: 240
; IeeeMode: 1
; LDSByteSize: 5248 bytes/workgroup (compile time only)
; SGPRBlocks: 4
; VGPRBlocks: 2
; NumSGPRsForWavesPerEU: 35
; NumVGPRsForWavesPerEU: 19
; AccumOffset: 20
; Occupancy: 8
; WaveLimiterHint : 1
; COMPUTE_PGM_RSRC2:SCRATCH_EN: 0
; COMPUTE_PGM_RSRC2:USER_SGPR: 2
; COMPUTE_PGM_RSRC2:TRAP_HANDLER: 0
; COMPUTE_PGM_RSRC2:TGID_X_EN: 1
; COMPUTE_PGM_RSRC2:TGID_Y_EN: 0
; COMPUTE_PGM_RSRC2:TGID_Z_EN: 1
; COMPUTE_PGM_RSRC2:TIDIG_COMP_CNT: 1
; COMPUTE_PGM_RSRC3_GFX90A:ACCUM_OFFSET: 4
; COMPUTE_PGM_RSRC3_GFX90A:TG_SPLIT: 0
	.section	.text._ZL54rocblas_symv_kernel_upper_double_buffered_non_diagonalILi32ELi4ELi4E24rocblas_internal_val_ptrIfEPKPKfPKPfEvbiT2_lT3_lllSA_lllT4_llli,"axG",@progbits,_ZL54rocblas_symv_kernel_upper_double_buffered_non_diagonalILi32ELi4ELi4E24rocblas_internal_val_ptrIfEPKPKfPKPfEvbiT2_lT3_lllSA_lllT4_llli,comdat
	.globl	_ZL54rocblas_symv_kernel_upper_double_buffered_non_diagonalILi32ELi4ELi4E24rocblas_internal_val_ptrIfEPKPKfPKPfEvbiT2_lT3_lllSA_lllT4_llli ; -- Begin function _ZL54rocblas_symv_kernel_upper_double_buffered_non_diagonalILi32ELi4ELi4E24rocblas_internal_val_ptrIfEPKPKfPKPfEvbiT2_lT3_lllSA_lllT4_llli
	.p2align	8
	.type	_ZL54rocblas_symv_kernel_upper_double_buffered_non_diagonalILi32ELi4ELi4E24rocblas_internal_val_ptrIfEPKPKfPKPfEvbiT2_lT3_lllSA_lllT4_llli,@function
_ZL54rocblas_symv_kernel_upper_double_buffered_non_diagonalILi32ELi4ELi4E24rocblas_internal_val_ptrIfEPKPKfPKPfEvbiT2_lT3_lllSA_lllT4_llli: ; @_ZL54rocblas_symv_kernel_upper_double_buffered_non_diagonalILi32ELi4ELi4E24rocblas_internal_val_ptrIfEPKPKfPKPfEvbiT2_lT3_lllSA_lllT4_llli
; %bb.0:
	s_load_dword s5, s[0:1], 0x0
	s_load_dwordx8 s[8:15], s[0:1], 0x8
	s_load_dwordx2 s[16:17], s[0:1], 0x28
	s_waitcnt lgkmcnt(0)
	s_bitcmp0_b32 s5, 0
	s_cbranch_scc0 .LBB131_2
; %bb.1:
	s_mul_i32 s5, s11, s4
	s_mul_hi_u32 s6, s10, s4
	s_add_i32 s7, s6, s5
	s_mul_i32 s6, s10, s4
	s_lshl_b64 s[6:7], s[6:7], 2
	s_add_u32 s6, s8, s6
	s_addc_u32 s7, s9, s7
	s_load_dword s33, s[6:7], 0x0
	s_cbranch_execz .LBB131_3
	s_branch .LBB131_4
.LBB131_2:
                                        ; implicit-def: $sgpr33
.LBB131_3:
	s_waitcnt lgkmcnt(0)
	s_mov_b32 s33, s8
.LBB131_4:
	s_waitcnt lgkmcnt(0)
	v_cmp_eq_f32_e64 s[6:7], s33, 0
	s_and_b64 vcc, exec, s[6:7]
	s_cbranch_vccnz .LBB131_26
; %bb.5:
	s_load_dword s6, s[0:1], 0x84
	s_cmp_eq_u32 s2, 0
	s_waitcnt lgkmcnt(0)
	v_cvt_f32_u32_e32 v1, s6
	v_rcp_iflag_f32_e32 v1, v1
	s_nop 0
	v_mul_f32_e32 v1, 0x4f7ffffe, v1
	v_cvt_u32_f32_e32 v1, v1
	s_nop 0
	v_readfirstlane_b32 s5, v1
	s_cbranch_scc1 .LBB131_26
; %bb.6:
	s_sub_i32 s7, 0, s6
	s_mul_i32 s7, s7, s5
	s_mul_hi_u32 s7, s5, s7
	s_add_i32 s7, s5, s7
	s_load_dwordx4 s[24:27], s[0:1], 0x38
	s_load_dwordx2 s[10:11], s[0:1], 0x48
	s_mov_b32 s5, 0
	s_lshl_b64 s[4:5], s[4:5], 3
	s_add_u32 s20, s12, s4
	s_addc_u32 s21, s13, s5
	s_waitcnt lgkmcnt(0)
	s_add_u32 s8, s24, s4
	s_addc_u32 s9, s25, s5
	s_load_dwordx2 s[18:19], s[8:9], 0x0
	s_load_dwordx2 s[22:23], s[0:1], 0x58
	s_lshl_b64 s[12:13], s[26:27], 2
	v_and_b32_e32 v35, 0x3ff, v0
	v_bfe_u32 v0, v0, 10, 10
	s_waitcnt lgkmcnt(0)
	s_add_u32 s26, s18, s12
	s_addc_u32 s27, s19, s13
	s_add_u32 s22, s22, s4
	s_addc_u32 s23, s23, s5
	s_lshl_b32 s8, s2, 5
	s_mul_hi_u32 s7, s2, s7
	s_ashr_i32 s9, s8, 31
	v_cmp_eq_u32_e32 vcc, 0, v0
	s_and_saveexec_b64 s[4:5], vcc
	s_cbranch_execz .LBB131_8
; %bb.7:
	s_mul_i32 s24, s10, s9
	s_mul_hi_u32 s25, s10, s8
	s_add_i32 s24, s25, s24
	s_mul_i32 s25, s11, s8
	s_add_i32 s25, s24, s25
	s_mul_i32 s24, s10, s8
	v_mad_u64_u32 v[2:3], s[28:29], s10, v35, 0
	s_lshl_b64 s[24:25], s[24:25], 2
	v_mov_b32_e32 v4, v3
	s_add_u32 s24, s26, s24
	v_mad_u64_u32 v[4:5], s[28:29], s11, v35, v[4:5]
	s_addc_u32 s25, s27, s25
	v_mov_b32_e32 v3, v4
	v_lshl_add_u64 v[2:3], v[2:3], 2, s[24:25]
	flat_load_dword v1, v[2:3]
	v_lshlrev_b32_e32 v2, 2, v35
	s_waitcnt vmcnt(0) lgkmcnt(0)
	ds_write_b32 v2, v1 offset:3072
.LBB131_8:
	s_or_b64 exec, exec, s[4:5]
	s_mul_i32 s4, s7, s6
	s_sub_i32 s4, s2, s4
	s_add_i32 s5, s7, 1
	s_sub_i32 s24, s4, s6
	s_cmp_ge_u32 s4, s6
	s_cselect_b32 s5, s5, s7
	s_cselect_b32 s4, s24, s4
	s_add_i32 s7, s5, 1
	s_cmp_ge_u32 s4, s6
	s_cselect_b32 s24, s7, s5
	s_add_i32 s4, s6, -1
	s_cmp_lg_u32 s3, s4
	s_mov_b32 s38, s24
	s_cbranch_scc1 .LBB131_10
; %bb.9:
	s_mul_i32 s4, s24, s6
	s_sub_i32 s2, s2, s4
	s_add_i32 s38, s2, s24
.LBB131_10:
	s_cmp_eq_u32 s38, 0
	s_cbranch_scc1 .LBB131_26
; %bb.11:
	s_load_dwordx4 s[4:7], s[0:1], 0x60
	s_load_dwordx2 s[28:29], s[22:23], 0x0
	v_lshl_add_u32 v2, v0, 5, v35
	v_and_b32_e32 v10, 15, v35
	v_lshrrev_b32_e32 v38, 4, v2
	s_waitcnt lgkmcnt(0)
	s_lshl_b64 s[0:1], s[4:5], 2
	s_add_u32 s34, s28, s0
	s_addc_u32 s35, s29, s1
	s_cmp_lt_i32 s38, 1
	s_barrier
	s_cbranch_scc1 .LBB131_18
; %bb.12:
	s_load_dwordx2 s[20:21], s[20:21], 0x0
	s_mul_i32 s3, s3, s24
	s_lshl_b32 s4, s3, 5
	s_lshl_b64 s[24:25], s[14:15], 2
	s_ashr_i32 s5, s4, 31
	s_waitcnt lgkmcnt(0)
	s_add_u32 s2, s20, s24
	s_mul_i32 s0, s16, s9
	s_mul_hi_u32 s1, s16, s8
	s_addc_u32 s3, s21, s25
	s_add_i32 s0, s1, s0
	s_mul_i32 s1, s17, s8
	s_add_i32 s1, s0, s1
	s_mul_i32 s0, s16, s8
	s_lshl_b64 s[0:1], s[0:1], 2
	s_add_u32 s36, s2, s0
	v_lshlrev_b32_e32 v1, 2, v38
	v_mov_b32_e32 v11, 0
	s_addc_u32 s37, s3, s1
	v_mad_u64_u32 v[14:15], s[0:1], s16, v1, v[10:11]
	s_lshl_b64 s[2:3], s[4:5], 2
	v_mov_b32_e32 v0, v15
	s_add_u32 s22, s36, s2
	v_mad_u64_u32 v[0:1], s[0:1], s17, v1, v[0:1]
	s_addc_u32 s23, s37, s3
	v_mov_b32_e32 v15, v0
	v_lshl_add_u64 v[4:5], v[14:15], 2, s[22:23]
	s_lshl_b64 s[0:1], s[16:17], 2
	v_lshl_add_u64 v[8:9], v[4:5], 0, s[0:1]
	v_lshl_add_u64 v[12:13], v[8:9], 0, s[0:1]
	;; [unrolled: 1-line block ×3, first 2 shown]
	flat_load_dword v0, v[4:5]
	flat_load_dword v1, v[8:9]
	;; [unrolled: 1-line block ×4, first 2 shown]
	v_mad_u64_u32 v[4:5], s[14:15], s10, v10, 0
	v_mov_b32_e32 v6, v5
	v_lshlrev_b32_e32 v41, 7, v38
	s_waitcnt vmcnt(0) lgkmcnt(0)
	v_mad_u64_u32 v[8:9], s[14:15], s11, v10, v[6:7]
	s_mul_i32 s14, s6, s5
	s_mul_hi_u32 s15, s6, s4
	s_add_i32 s14, s15, s14
	s_mul_i32 s15, s7, s4
	s_add_i32 s15, s14, s15
	s_mul_i32 s14, s6, s4
	s_lshl_b64 s[14:15], s[14:15], 2
	s_add_u32 s28, s34, s14
	s_mul_i32 s5, s10, s5
	s_mul_hi_u32 s14, s10, s4
	s_addc_u32 s29, s35, s15
	s_add_i32 s5, s14, s5
	s_mul_i32 s14, s11, s4
	s_add_i32 s5, s5, s14
	s_mul_i32 s4, s10, s4
	s_lshl_b64 s[30:31], s[4:5], 2
	s_add_u32 s26, s26, s30
	v_mov_b32_e32 v5, v8
	s_addc_u32 s27, s27, s31
	v_lshl_add_u64 v[4:5], v[4:5], 2, s[26:27]
	flat_load_dword v6, v[4:5]
	v_mov_b32_e32 v4, 0x800
	v_mad_u64_u32 v[12:13], s[4:5], s6, v35, 0
	v_lshl_or_b32 v40, v10, 2, v4
	v_mov_b32_e32 v5, 0xc00
	v_lshl_add_u32 v39, v35, 2, v4
	v_mov_b32_e32 v4, v13
	v_lshl_add_u32 v42, v38, 4, v5
	v_mad_u64_u32 v[4:5], s[4:5], s7, v35, v[4:5]
	v_mov_b32_e32 v13, v4
	s_cmp_eq_u32 s38, 1
	s_cbranch_scc1 .LBB131_19
; %bb.13:
	v_and_b32_e32 v16, 0xfff0, v2
	v_mov_b32_e32 v17, 0
	v_lshl_add_u64 v[4:5], s[8:9], 2, v[16:17]
	v_mov_b64_e32 v[18:19], s[24:25]
	v_mad_u64_u32 v[8:9], s[22:23], s16, v4, v[18:19]
	v_mul_lo_u32 v2, s16, v5
	v_mul_lo_u32 v11, s17, v4
	v_lshl_add_u64 v[20:21], v[4:5], 0, 8
	v_add3_u32 v9, v11, v9, v2
	v_mad_u64_u32 v[22:23], s[22:23], s16, v20, v[18:19]
	v_mul_lo_u32 v2, s16, v21
	v_mul_lo_u32 v11, s17, v20
	v_lshlrev_b32_e32 v16, 2, v10
	v_add3_u32 v23, v11, v23, v2
	v_lshl_add_u64 v[20:21], v[22:23], 0, v[16:17]
	v_lshl_add_u64 v[22:23], s[20:21], 0, v[20:21]
	;; [unrolled: 1-line block ×3, first 2 shown]
	v_mad_u64_u32 v[24:25], s[22:23], s16, v20, v[18:19]
	v_mul_lo_u32 v2, s16, v21
	v_mul_lo_u32 v11, s17, v20
	v_lshl_add_u64 v[4:5], v[4:5], 0, 4
	v_add3_u32 v25, v11, v25, v2
	v_mad_u64_u32 v[18:19], s[22:23], s16, v4, v[18:19]
	v_mul_lo_u32 v2, s16, v5
	v_mul_lo_u32 v4, s17, v4
	v_add3_u32 v19, v4, v19, v2
	v_lshl_add_u64 v[8:9], v[8:9], 0, v[16:17]
	v_lshl_add_u64 v[20:21], v[24:25], 0, v[16:17]
	;; [unrolled: 1-line block ×3, first 2 shown]
	s_lshl_b64 s[4:5], s[10:11], 7
	s_lshl_b64 s[14:15], s[6:7], 7
	s_add_i32 s38, s38, -1
	v_lshl_add_u64 v[8:9], s[20:21], 0, v[8:9]
	v_lshl_add_u64 v[24:25], s[20:21], 0, v[20:21]
	;; [unrolled: 1-line block ×4, first 2 shown]
	s_mov_b64 s[20:21], 0x80
	s_add_u32 s24, s18, s30
	v_lshl_add_u64 v[18:19], v[4:5], 0, s[20:21]
	v_mov_b64_e32 v[20:21], s[18:19]
	s_addc_u32 s25, s19, s31
	v_mul_lo_u32 v2, s10, v19
	v_mul_lo_u32 v11, s11, v18
	v_mad_u64_u32 v[28:29], s[18:19], s10, v18, v[20:21]
	v_lshl_add_u64 v[4:5], v[4:5], 0, 64
	v_add3_u32 v29, v11, v29, v2
	v_mul_lo_u32 v2, s10, v5
	v_mul_lo_u32 v5, s11, v4
	v_mad_u64_u32 v[30:31], s[18:19], s10, v4, v[20:21]
	v_add3_u32 v31, v5, v31, v2
	v_mov_b64_e32 v[18:19], s[28:29]
	v_mov_b32_e32 v16, v17
	v_mov_b32_e32 v20, v17
	;; [unrolled: 1-line block ×3, first 2 shown]
.LBB131_14:                             ; =>This Inner Loop Header: Depth=1
	v_lshl_add_u64 v[44:45], v[8:9], 0, s[2:3]
	flat_load_dword v36, v[44:45] offset:64
	v_lshl_add_u64 v[46:47], v[26:27], 0, s[2:3]
	flat_load_dword v37, v[46:47] offset:64
	v_lshl_add_u64 v[48:49], v[22:23], 0, s[2:3]
	v_mov_b32_e32 v32, v3
	v_lshl_add_u64 v[2:3], v[30:31], 0, s[12:13]
	flat_load_dword v11, v[48:49] offset:64
	v_lshl_add_u64 v[50:51], v[24:25], 0, s[2:3]
	flat_load_dword v34, v[2:3]
	flat_load_dword v33, v[50:51] offset:64
	flat_load_dword v4, v[44:45] offset:128
	;; [unrolled: 1-line block ×4, first 2 shown]
	s_nop 0
	flat_load_dword v3, v[50:51] offset:128
	v_lshl_add_u64 v[44:45], v[28:29], 0, s[12:13]
	flat_load_dword v2, v[44:45]
	ds_read_b128 v[44:47], v42
	v_add_u32_e32 v48, v40, v41
	s_waitcnt lgkmcnt(0)
	s_barrier
	v_fma_f32 v49, v0, v44, 0
	v_fmac_f32_e32 v49, v1, v45
	v_fmac_f32_e32 v49, v7, v46
	;; [unrolled: 1-line block ×3, first 2 shown]
	s_waitcnt vmcnt(0)
	v_fma_f32 v44, v36, v44, 0
	v_fmac_f32_e32 v44, v37, v45
	v_fmac_f32_e32 v44, v11, v46
	;; [unrolled: 1-line block ×3, first 2 shown]
	ds_write2_b32 v48, v49, v44 offset1:16
	s_waitcnt lgkmcnt(0)
	s_barrier
	s_and_saveexec_b64 s[18:19], vcc
	s_cbranch_execz .LBB131_16
; %bb.15:                               ;   in Loop: Header=BB131_14 Depth=1
	ds_read2_b32 v[44:45], v39 offset1:32
	ds_read2_b32 v[46:47], v39 offset0:64 offset1:96
	ds_read2_b32 v[48:49], v39 offset0:128 offset1:160
	;; [unrolled: 1-line block ×3, first 2 shown]
	s_waitcnt lgkmcnt(3)
	v_add_f32_e32 v44, 0, v44
	v_add_f32_e32 v44, v44, v45
	s_waitcnt lgkmcnt(2)
	v_add_f32_e32 v44, v44, v46
	v_add_f32_e32 v44, v44, v47
	;; [unrolled: 3-line block ×4, first 2 shown]
	v_lshl_add_u64 v[44:45], v[12:13], 2, v[18:19]
	v_mul_f32_e32 v46, s33, v46
	flat_atomic_add_f32 v[44:45], v46
	v_lshl_add_u64 v[18:19], v[18:19], 0, s[14:15]
.LBB131_16:                             ;   in Loop: Header=BB131_14 Depth=1
	s_or_b64 exec, exec, s[18:19]
	s_add_i32 s38, s38, -1
	s_add_u32 s36, s36, 0x80
	s_addc_u32 s37, s37, 0
	s_add_u32 s24, s24, s4
	s_addc_u32 s25, s25, s5
	v_mul_f32_e32 v44, v6, v7
	v_mov_b32_e32 v7, v34
	s_add_u32 s26, s24, s12
	v_pk_mul_f32 v[32:33], v[6:7], v[32:33]
	s_addc_u32 s27, s25, s13
	v_mov_b32_e32 v45, v32
	s_add_u32 s22, s36, s2
	v_mul_f32_e32 v46, v34, v11
	v_mov_b32_e32 v47, v33
	v_pk_fma_f32 v[0:1], v[6:7], v[0:1], v[16:17] op_sel_hi:[0,1,1]
	v_pk_add_f32 v[6:7], v[20:21], v[44:45]
	s_addc_u32 s23, s37, s3
	v_pk_add_f32 v[20:21], v[6:7], v[46:47]
	v_pk_fma_f32 v[16:17], v[34:35], v[36:37], v[0:1] op_sel_hi:[0,1,1]
	v_lshl_add_u64 v[8:9], v[8:9], 0, s[20:21]
	v_lshl_add_u64 v[22:23], v[22:23], 0, s[20:21]
	;; [unrolled: 1-line block ×5, first 2 shown]
	s_cmp_eq_u32 s38, 0
	v_lshl_add_u64 v[30:31], v[30:31], 0, s[4:5]
	s_cbranch_scc1 .LBB131_20
; %bb.17:                               ;   in Loop: Header=BB131_14 Depth=1
	v_mov_b32_e32 v6, v2
	v_mov_b32_e32 v0, v4
	;; [unrolled: 1-line block ×4, first 2 shown]
	s_branch .LBB131_14
.LBB131_18:
	v_mov_b32_e32 v1, 0
	v_mov_b32_e32 v0, v1
	;; [unrolled: 1-line block ×4, first 2 shown]
	s_branch .LBB131_24
.LBB131_19:
	s_waitcnt vmcnt(0) lgkmcnt(0)
	v_mov_b32_e32 v2, v6
	v_mov_b32_e32 v43, v7
	v_mov_b64_e32 v[8:9], v[2:3]
	v_mov_b64_e32 v[18:19], s[28:29]
	v_mov_b32_e32 v5, v1
	v_mov_b32_e32 v4, v0
	;; [unrolled: 1-line block ×6, first 2 shown]
	v_mov_b64_e32 v[6:7], v[0:1]
	s_branch .LBB131_21
.LBB131_20:
	v_mov_b32_e32 v7, v3
	v_mov_b64_e32 v[8:9], v[6:7]
	v_mov_b64_e32 v[6:7], v[4:5]
.LBB131_21:
	v_or_b32_e32 v11, 16, v10
	v_lshl_add_u64 v[14:15], v[14:15], 2, s[22:23]
	v_mad_u64_u32 v[0:1], s[2:3], s10, v11, 0
	v_lshl_add_u64 v[22:23], s[16:17], 2, v[14:15]
	v_mov_b32_e32 v8, v1
	v_lshl_add_u64 v[24:25], v[22:23], 0, s[0:1]
	v_lshl_add_u64 v[26:27], v[24:25], 0, s[0:1]
	flat_load_dword v28, v[14:15] offset:64
	flat_load_dword v29, v[22:23] offset:64
	;; [unrolled: 1-line block ×4, first 2 shown]
	v_mad_u64_u32 v[14:15], s[0:1], s11, v11, v[8:9]
	v_mov_b32_e32 v1, v14
	v_lshl_add_u64 v[0:1], v[0:1], 2, s[26:27]
	flat_load_dword v0, v[0:1]
	ds_read_b128 v[22:25], v42
	v_add_u32_e32 v1, v40, v41
	v_mov_b32_e32 v30, v9
	s_waitcnt lgkmcnt(0)
	s_barrier
	v_fma_f32 v4, v4, v22, 0
	v_fmac_f32_e32 v4, v5, v23
	v_fmac_f32_e32 v4, v43, v24
	;; [unrolled: 1-line block ×3, first 2 shown]
	v_mul_f32_e32 v8, v2, v43
	s_waitcnt vmcnt(0)
	v_fma_f32 v3, v28, v22, 0
	v_fmac_f32_e32 v3, v29, v23
	v_fmac_f32_e32 v3, v32, v24
	;; [unrolled: 1-line block ×3, first 2 shown]
	ds_write2_b32 v1, v4, v3 offset1:16
	s_waitcnt lgkmcnt(0)
	s_barrier
	v_mov_b32_e32 v3, v0
	v_pk_mul_f32 v[14:15], v[2:3], v[30:31]
	v_pk_fma_f32 v[2:3], v[2:3], v[6:7], v[16:17] op_sel_hi:[0,1,1]
	v_mov_b32_e32 v9, v14
	v_mul_f32_e32 v4, v0, v32
	v_mov_b32_e32 v5, v15
	v_pk_fma_f32 v[2:3], v[0:1], v[28:29], v[2:3] op_sel_hi:[0,1,1]
	v_pk_add_f32 v[0:1], v[20:21], v[8:9]
	s_nop 0
	v_pk_add_f32 v[0:1], v[0:1], v[4:5]
	s_and_saveexec_b64 s[0:1], vcc
	s_cbranch_execz .LBB131_23
; %bb.22:
	ds_read2_b32 v[4:5], v39 offset1:32
	ds_read2_b32 v[6:7], v39 offset0:64 offset1:96
	ds_read2_b32 v[8:9], v39 offset0:128 offset1:160
	;; [unrolled: 1-line block ×3, first 2 shown]
	s_waitcnt lgkmcnt(3)
	v_add_f32_e32 v4, 0, v4
	v_add_f32_e32 v4, v4, v5
	s_waitcnt lgkmcnt(2)
	v_add_f32_e32 v4, v4, v6
	v_add_f32_e32 v4, v4, v7
	;; [unrolled: 3-line block ×4, first 2 shown]
	v_lshl_add_u64 v[4:5], v[12:13], 2, v[18:19]
	v_mul_f32_e32 v6, s33, v6
	flat_atomic_add_f32 v[4:5], v6
.LBB131_23:
	s_or_b64 exec, exec, s[0:1]
.LBB131_24:
	v_lshlrev_b32_e32 v4, 8, v38
	v_lshl_or_b32 v4, v10, 2, v4
	ds_write2_b32 v4, v2, v3 offset1:16
	ds_write2_b32 v4, v0, v1 offset0:32 offset1:48
	s_waitcnt lgkmcnt(0)
	s_barrier
	s_and_saveexec_b64 s[0:1], vcc
	s_cbranch_execz .LBB131_26
; %bb.25:
	v_add_u32_e32 v2, 1, v35
	v_add_u32_e32 v3, 2, v35
	;; [unrolled: 1-line block ×7, first 2 shown]
	v_lshlrev_b32_e32 v0, 6, v35
	v_and_b32_e32 v2, 15, v2
	v_and_b32_e32 v3, 15, v3
	;; [unrolled: 1-line block ×7, first 2 shown]
	v_lshl_or_b32 v1, v10, 2, v0
	v_lshl_or_b32 v2, v2, 2, v0
	;; [unrolled: 1-line block ×8, first 2 shown]
	ds_read_b32 v1, v1
	ds_read_b32 v2, v2
	;; [unrolled: 1-line block ×8, first 2 shown]
	s_waitcnt lgkmcnt(0)
	v_add_f32_e32 v1, 0, v1
	v_add_f32_e32 v1, v1, v2
	;; [unrolled: 1-line block ×8, first 2 shown]
	v_add_u32_e32 v3, 9, v35
	v_add_u32_e32 v4, 10, v35
	;; [unrolled: 1-line block ×6, first 2 shown]
	v_add_u32_e32 v9, -1, v35
	v_xor_b32_e32 v2, 8, v10
	v_and_b32_e32 v3, 15, v3
	v_and_b32_e32 v4, 15, v4
	;; [unrolled: 1-line block ×7, first 2 shown]
	v_lshl_or_b32 v2, v2, 2, v0
	v_lshl_or_b32 v3, v3, 2, v0
	;; [unrolled: 1-line block ×8, first 2 shown]
	ds_read_b32 v2, v2
	ds_read_b32 v3, v3
	;; [unrolled: 1-line block ×8, first 2 shown]
	s_waitcnt lgkmcnt(0)
	v_add_f32_e32 v1, v1, v2
	v_add_f32_e32 v1, v1, v3
	;; [unrolled: 1-line block ×5, first 2 shown]
	s_mul_i32 s0, s6, s9
	s_mul_hi_u32 s1, s6, s8
	v_add_f32_e32 v1, v1, v7
	s_add_i32 s0, s1, s0
	s_mul_i32 s1, s7, s8
	v_add_f32_e32 v1, v1, v8
	s_add_i32 s1, s0, s1
	s_mul_i32 s0, s6, s8
	v_add_f32_e32 v4, v1, v0
	v_mad_u64_u32 v[0:1], s[2:3], s6, v35, 0
	s_lshl_b64 s[0:1], s[0:1], 2
	v_mov_b32_e32 v2, v1
	s_add_u32 s0, s34, s0
	v_mad_u64_u32 v[2:3], s[2:3], s7, v35, v[2:3]
	s_addc_u32 s1, s35, s1
	v_mov_b32_e32 v1, v2
	v_lshl_add_u64 v[0:1], v[0:1], 2, s[0:1]
	v_mul_f32_e32 v2, s33, v4
	flat_atomic_add_f32 v[0:1], v2
.LBB131_26:
	s_endpgm
	.section	.rodata,"a",@progbits
	.p2align	6, 0x0
	.amdhsa_kernel _ZL54rocblas_symv_kernel_upper_double_buffered_non_diagonalILi32ELi4ELi4E24rocblas_internal_val_ptrIfEPKPKfPKPfEvbiT2_lT3_lllSA_lllT4_llli
		.amdhsa_group_segment_fixed_size 3200
		.amdhsa_private_segment_fixed_size 0
		.amdhsa_kernarg_size 384
		.amdhsa_user_sgpr_count 2
		.amdhsa_user_sgpr_dispatch_ptr 0
		.amdhsa_user_sgpr_queue_ptr 0
		.amdhsa_user_sgpr_kernarg_segment_ptr 1
		.amdhsa_user_sgpr_dispatch_id 0
		.amdhsa_user_sgpr_kernarg_preload_length 0
		.amdhsa_user_sgpr_kernarg_preload_offset 0
		.amdhsa_user_sgpr_private_segment_size 0
		.amdhsa_uses_dynamic_stack 0
		.amdhsa_enable_private_segment 0
		.amdhsa_system_sgpr_workgroup_id_x 1
		.amdhsa_system_sgpr_workgroup_id_y 1
		.amdhsa_system_sgpr_workgroup_id_z 1
		.amdhsa_system_sgpr_workgroup_info 0
		.amdhsa_system_vgpr_workitem_id 1
		.amdhsa_next_free_vgpr 52
		.amdhsa_next_free_sgpr 39
		.amdhsa_accum_offset 52
		.amdhsa_reserve_vcc 1
		.amdhsa_float_round_mode_32 0
		.amdhsa_float_round_mode_16_64 0
		.amdhsa_float_denorm_mode_32 3
		.amdhsa_float_denorm_mode_16_64 3
		.amdhsa_dx10_clamp 1
		.amdhsa_ieee_mode 1
		.amdhsa_fp16_overflow 0
		.amdhsa_tg_split 0
		.amdhsa_exception_fp_ieee_invalid_op 0
		.amdhsa_exception_fp_denorm_src 0
		.amdhsa_exception_fp_ieee_div_zero 0
		.amdhsa_exception_fp_ieee_overflow 0
		.amdhsa_exception_fp_ieee_underflow 0
		.amdhsa_exception_fp_ieee_inexact 0
		.amdhsa_exception_int_div_zero 0
	.end_amdhsa_kernel
	.section	.text._ZL54rocblas_symv_kernel_upper_double_buffered_non_diagonalILi32ELi4ELi4E24rocblas_internal_val_ptrIfEPKPKfPKPfEvbiT2_lT3_lllSA_lllT4_llli,"axG",@progbits,_ZL54rocblas_symv_kernel_upper_double_buffered_non_diagonalILi32ELi4ELi4E24rocblas_internal_val_ptrIfEPKPKfPKPfEvbiT2_lT3_lllSA_lllT4_llli,comdat
.Lfunc_end131:
	.size	_ZL54rocblas_symv_kernel_upper_double_buffered_non_diagonalILi32ELi4ELi4E24rocblas_internal_val_ptrIfEPKPKfPKPfEvbiT2_lT3_lllSA_lllT4_llli, .Lfunc_end131-_ZL54rocblas_symv_kernel_upper_double_buffered_non_diagonalILi32ELi4ELi4E24rocblas_internal_val_ptrIfEPKPKfPKPfEvbiT2_lT3_lllSA_lllT4_llli
                                        ; -- End function
	.set _ZL54rocblas_symv_kernel_upper_double_buffered_non_diagonalILi32ELi4ELi4E24rocblas_internal_val_ptrIfEPKPKfPKPfEvbiT2_lT3_lllSA_lllT4_llli.num_vgpr, 52
	.set _ZL54rocblas_symv_kernel_upper_double_buffered_non_diagonalILi32ELi4ELi4E24rocblas_internal_val_ptrIfEPKPKfPKPfEvbiT2_lT3_lllSA_lllT4_llli.num_agpr, 0
	.set _ZL54rocblas_symv_kernel_upper_double_buffered_non_diagonalILi32ELi4ELi4E24rocblas_internal_val_ptrIfEPKPKfPKPfEvbiT2_lT3_lllSA_lllT4_llli.numbered_sgpr, 39
	.set _ZL54rocblas_symv_kernel_upper_double_buffered_non_diagonalILi32ELi4ELi4E24rocblas_internal_val_ptrIfEPKPKfPKPfEvbiT2_lT3_lllSA_lllT4_llli.num_named_barrier, 0
	.set _ZL54rocblas_symv_kernel_upper_double_buffered_non_diagonalILi32ELi4ELi4E24rocblas_internal_val_ptrIfEPKPKfPKPfEvbiT2_lT3_lllSA_lllT4_llli.private_seg_size, 0
	.set _ZL54rocblas_symv_kernel_upper_double_buffered_non_diagonalILi32ELi4ELi4E24rocblas_internal_val_ptrIfEPKPKfPKPfEvbiT2_lT3_lllSA_lllT4_llli.uses_vcc, 1
	.set _ZL54rocblas_symv_kernel_upper_double_buffered_non_diagonalILi32ELi4ELi4E24rocblas_internal_val_ptrIfEPKPKfPKPfEvbiT2_lT3_lllSA_lllT4_llli.uses_flat_scratch, 0
	.set _ZL54rocblas_symv_kernel_upper_double_buffered_non_diagonalILi32ELi4ELi4E24rocblas_internal_val_ptrIfEPKPKfPKPfEvbiT2_lT3_lllSA_lllT4_llli.has_dyn_sized_stack, 0
	.set _ZL54rocblas_symv_kernel_upper_double_buffered_non_diagonalILi32ELi4ELi4E24rocblas_internal_val_ptrIfEPKPKfPKPfEvbiT2_lT3_lllSA_lllT4_llli.has_recursion, 0
	.set _ZL54rocblas_symv_kernel_upper_double_buffered_non_diagonalILi32ELi4ELi4E24rocblas_internal_val_ptrIfEPKPKfPKPfEvbiT2_lT3_lllSA_lllT4_llli.has_indirect_call, 0
	.section	.AMDGPU.csdata,"",@progbits
; Kernel info:
; codeLenInByte = 2828
; TotalNumSgprs: 45
; NumVgprs: 52
; NumAgprs: 0
; TotalNumVgprs: 52
; ScratchSize: 0
; MemoryBound: 0
; FloatMode: 240
; IeeeMode: 1
; LDSByteSize: 3200 bytes/workgroup (compile time only)
; SGPRBlocks: 5
; VGPRBlocks: 6
; NumSGPRsForWavesPerEU: 45
; NumVGPRsForWavesPerEU: 52
; AccumOffset: 52
; Occupancy: 8
; WaveLimiterHint : 1
; COMPUTE_PGM_RSRC2:SCRATCH_EN: 0
; COMPUTE_PGM_RSRC2:USER_SGPR: 2
; COMPUTE_PGM_RSRC2:TRAP_HANDLER: 0
; COMPUTE_PGM_RSRC2:TGID_X_EN: 1
; COMPUTE_PGM_RSRC2:TGID_Y_EN: 1
; COMPUTE_PGM_RSRC2:TGID_Z_EN: 1
; COMPUTE_PGM_RSRC2:TIDIG_COMP_CNT: 1
; COMPUTE_PGM_RSRC3_GFX90A:ACCUM_OFFSET: 12
; COMPUTE_PGM_RSRC3_GFX90A:TG_SPLIT: 0
	.section	.text._ZL58rocblas_symv_kernel_upper_double_buffered_diagonal_genericILi32ELi8E24rocblas_internal_val_ptrIfEPKPKfPKPfEvbiT1_lT2_lllSA_lllS9_lT3_lllii,"axG",@progbits,_ZL58rocblas_symv_kernel_upper_double_buffered_diagonal_genericILi32ELi8E24rocblas_internal_val_ptrIfEPKPKfPKPfEvbiT1_lT2_lllSA_lllS9_lT3_lllii,comdat
	.globl	_ZL58rocblas_symv_kernel_upper_double_buffered_diagonal_genericILi32ELi8E24rocblas_internal_val_ptrIfEPKPKfPKPfEvbiT1_lT2_lllSA_lllS9_lT3_lllii ; -- Begin function _ZL58rocblas_symv_kernel_upper_double_buffered_diagonal_genericILi32ELi8E24rocblas_internal_val_ptrIfEPKPKfPKPfEvbiT1_lT2_lllSA_lllS9_lT3_lllii
	.p2align	8
	.type	_ZL58rocblas_symv_kernel_upper_double_buffered_diagonal_genericILi32ELi8E24rocblas_internal_val_ptrIfEPKPKfPKPfEvbiT1_lT2_lllSA_lllS9_lT3_lllii,@function
_ZL58rocblas_symv_kernel_upper_double_buffered_diagonal_genericILi32ELi8E24rocblas_internal_val_ptrIfEPKPKfPKPfEvbiT1_lT2_lllSA_lllS9_lT3_lllii: ; @_ZL58rocblas_symv_kernel_upper_double_buffered_diagonal_genericILi32ELi8E24rocblas_internal_val_ptrIfEPKPKfPKPfEvbiT1_lT2_lllSA_lllS9_lT3_lllii
; %bb.0:
	s_mov_b32 s22, s3
	s_load_dword s3, s[0:1], 0x0
	s_load_dwordx8 s[4:11], s[0:1], 0x8
	s_load_dwordx2 s[16:17], s[0:1], 0x28
	s_mov_b64 s[20:21], -1
	s_waitcnt lgkmcnt(0)
	s_bitcmp1_b32 s3, 0
	s_cselect_b64 s[12:13], -1, 0
	s_xor_b64 s[18:19], s[12:13], -1
	s_and_b64 vcc, exec, s[18:19]
                                        ; implicit-def: $sgpr3
	s_cbranch_vccnz .LBB132_7
; %bb.1:
	s_load_dwordx4 s[12:15], s[0:1], 0x58
	s_andn2_b64 vcc, exec, s[20:21]
	s_cbranch_vccz .LBB132_8
.LBB132_2:
	s_andn2_b64 vcc, exec, s[18:19]
	s_cbranch_vccnz .LBB132_4
.LBB132_3:
	s_waitcnt lgkmcnt(0)
	s_mul_i32 s4, s15, s22
	s_mul_hi_u32 s5, s14, s22
	s_add_i32 s5, s5, s4
	s_mul_i32 s4, s14, s22
	s_lshl_b64 s[4:5], s[4:5], 2
	s_add_u32 s4, s12, s4
	s_addc_u32 s5, s13, s5
	s_load_dword s12, s[4:5], 0x0
.LBB132_4:
	s_waitcnt lgkmcnt(0)
	v_cmp_eq_f32_e64 s[24:25], s3, 0
	v_cmp_eq_f32_e64 s[4:5], s12, 1.0
	s_and_b64 s[4:5], s[24:25], s[4:5]
	s_and_b64 vcc, exec, s[4:5]
	s_cbranch_vccnz .LBB132_56
; %bb.5:
	v_cmp_neq_f32_e64 s[28:29], s3, 0
	s_mov_b32 s23, 0
	s_and_b64 vcc, exec, s[28:29]
	s_cbranch_vccnz .LBB132_9
; %bb.6:
	s_mov_b64 s[4:5], 0
	s_branch .LBB132_10
.LBB132_7:
	s_mul_i32 s3, s7, s22
	s_mul_hi_u32 s7, s6, s22
	s_add_i32 s7, s7, s3
	s_mul_i32 s6, s6, s22
	s_lshl_b64 s[6:7], s[6:7], 2
	s_add_u32 s6, s4, s6
	s_addc_u32 s7, s5, s7
	s_load_dword s3, s[6:7], 0x0
	s_load_dwordx4 s[12:15], s[0:1], 0x58
	s_cbranch_execnz .LBB132_2
.LBB132_8:
	s_waitcnt lgkmcnt(0)
	s_mov_b32 s3, s4
	s_andn2_b64 vcc, exec, s[18:19]
	s_cbranch_vccz .LBB132_3
	s_branch .LBB132_4
.LBB132_9:
	s_mov_b64 s[4:5], -1
.LBB132_10:
	s_load_dwordx2 s[26:27], s[0:1], 0x68
	s_mov_b64 s[18:19], 0
	s_andn2_b64 vcc, exec, s[4:5]
	s_mov_b64 s[14:15], 0
	s_cbranch_vccnz .LBB132_12
; %bb.11:
	s_lshl_b64 s[4:5], s[22:23], 3
	s_add_u32 s4, s8, s4
	s_addc_u32 s5, s9, s5
	s_load_dwordx2 s[4:5], s[4:5], 0x0
	s_lshl_b64 s[6:7], s[10:11], 2
	s_waitcnt lgkmcnt(0)
	s_add_u32 s14, s4, s6
	s_addc_u32 s15, s5, s7
.LBB132_12:
	s_load_dwordx4 s[4:7], s[0:1], 0x38
	s_load_dwordx2 s[20:21], s[0:1], 0x48
	s_andn2_b64 vcc, exec, s[28:29]
	s_cbranch_vccnz .LBB132_14
; %bb.13:
	s_lshl_b64 s[8:9], s[22:23], 3
	s_waitcnt lgkmcnt(0)
	s_add_u32 s4, s4, s8
	s_addc_u32 s5, s5, s9
	s_load_dwordx2 s[4:5], s[4:5], 0x0
	s_lshl_b64 s[6:7], s[6:7], 2
	s_waitcnt lgkmcnt(0)
	s_add_u32 s18, s4, s6
	s_addc_u32 s19, s5, s7
.LBB132_14:
	s_waitcnt lgkmcnt(0)
	s_lshl_b64 s[4:5], s[22:23], 3
	s_load_dwordx4 s[8:11], s[0:1], 0x70
	s_add_u32 s4, s26, s4
	s_addc_u32 s5, s27, s5
	s_load_dwordx2 s[6:7], s[4:5], 0x0
	s_load_dword s13, s[0:1], 0x88
	v_bfe_u32 v7, v0, 10, 10
	s_waitcnt lgkmcnt(0)
	s_lshl_b64 s[4:5], s[8:9], 2
	v_and_b32_e32 v6, 0x3ff, v0
	s_add_u32 s6, s6, s4
	s_addc_u32 s7, s7, s5
	s_lshl_b32 s28, s2, 5
	s_ashr_i32 s29, s28, 31
	s_mul_i32 s4, s10, s29
	s_mul_hi_u32 s5, s10, s28
	s_add_i32 s4, s5, s4
	s_mul_i32 s5, s11, s28
	s_add_i32 s5, s4, s5
	s_mul_i32 s4, s10, s28
	s_lshl_b64 s[4:5], s[4:5], 2
	s_add_u32 s8, s6, s4
	s_addc_u32 s9, s7, s5
	s_mov_b64 s[6:7], -1
	s_andn2_b64 vcc, exec, s[24:25]
	v_cmp_eq_u32_e64 s[4:5], 0, v7
	s_cbranch_vccnz .LBB132_21
; %bb.15:
	s_and_saveexec_b64 s[6:7], s[4:5]
	s_cbranch_execz .LBB132_20
; %bb.16:
	v_cmp_gt_i32_e64 s[4:5], s13, v6
	v_cmp_le_i32_e32 vcc, s13, v6
	s_and_saveexec_b64 s[22:23], vcc
	s_cbranch_execz .LBB132_18
; %bb.17:
	s_load_dword s24, s[0:1], 0x90
	s_waitcnt lgkmcnt(0)
	s_add_i32 s24, s24, -1
	s_cmp_lt_u32 s2, s24
	s_cselect_b64 s[24:25], -1, 0
	s_andn2_b64 s[4:5], s[4:5], exec
	s_and_b64 s[24:25], s[24:25], exec
	s_or_b64 s[4:5], s[4:5], s[24:25]
.LBB132_18:
	s_or_b64 exec, exec, s[22:23]
	s_and_b64 exec, exec, s[4:5]
	s_cbranch_execz .LBB132_20
; %bb.19:
	v_mad_u64_u32 v[0:1], s[4:5], s10, v6, 0
	v_mov_b32_e32 v2, v1
	v_mad_u64_u32 v[2:3], s[4:5], s11, v6, v[2:3]
	v_mov_b32_e32 v1, v2
	v_lshl_add_u64 v[0:1], v[0:1], 2, s[8:9]
	flat_load_dword v2, v[0:1]
	s_waitcnt vmcnt(0) lgkmcnt(0)
	v_mul_f32_e32 v2, s12, v2
	flat_store_dword v[0:1], v2
.LBB132_20:
	s_or_b64 exec, exec, s[6:7]
	s_mov_b64 s[6:7], 0
.LBB132_21:
	s_andn2_b64 vcc, exec, s[6:7]
	s_cbranch_vccnz .LBB132_56
; %bb.22:
	v_mov_b32_e32 v1, 0
	v_cmp_ne_u32_e64 s[4:5], 0, v7
	v_cmp_eq_u32_e64 s[6:7], 0, v7
	v_mov_b32_e32 v8, 0
	s_and_saveexec_b64 s[22:23], s[6:7]
	s_cbranch_execz .LBB132_29
; %bb.23:
	v_cmp_gt_i32_e64 s[26:27], s13, v6
	v_cmp_le_i32_e32 vcc, s13, v6
	s_and_saveexec_b64 s[24:25], vcc
	s_cbranch_execz .LBB132_25
; %bb.24:
	s_load_dword s30, s[0:1], 0x90
	s_waitcnt lgkmcnt(0)
	s_add_i32 s30, s30, -1
	s_cmp_lt_u32 s2, s30
	s_cselect_b64 s[30:31], -1, 0
	s_andn2_b64 s[26:27], s[26:27], exec
	s_and_b64 s[30:31], s[30:31], exec
	s_or_b64 s[26:27], s[26:27], s[30:31]
.LBB132_25:
	s_or_b64 exec, exec, s[24:25]
	v_mov_b32_e32 v8, 0
	s_and_saveexec_b64 s[24:25], s[26:27]
	s_cbranch_execz .LBB132_28
; %bb.26:
	s_mul_i32 s26, s20, s29
	s_mul_hi_u32 s27, s20, s28
	s_add_i32 s26, s27, s26
	s_mul_i32 s27, s21, s28
	s_add_i32 s27, s26, s27
	s_mul_i32 s26, s20, s28
	s_lshl_b64 s[26:27], s[26:27], 2
	s_add_u32 s18, s18, s26
	s_addc_u32 s19, s19, s27
	v_mad_u64_u32 v[2:3], s[26:27], s20, v6, 0
	v_mov_b32_e32 v0, v3
	v_mad_u64_u32 v[4:5], s[20:21], s21, v6, v[0:1]
	v_mov_b32_e32 v3, v4
	v_lshl_add_u64 v[2:3], v[2:3], 2, s[18:19]
	flat_load_dword v0, v[2:3]
	v_cmp_eq_f32_e64 s[18:19], s12, 0
	v_lshlrev_b32_e32 v2, 2, v6
	v_mov_b32_e32 v8, 0
	s_and_b64 vcc, exec, s[18:19]
	s_waitcnt vmcnt(0) lgkmcnt(0)
	ds_write_b32 v2, v0 offset:6144
	s_cbranch_vccnz .LBB132_28
; %bb.27:
	v_mad_u64_u32 v[2:3], s[18:19], s10, v6, 0
	v_mov_b32_e32 v0, v3
	v_mad_u64_u32 v[4:5], s[18:19], s11, v6, v[0:1]
	v_mov_b32_e32 v3, v4
	v_lshl_add_u64 v[2:3], v[2:3], 2, s[8:9]
	flat_load_dword v0, v[2:3]
	s_waitcnt vmcnt(0) lgkmcnt(0)
	v_mul_f32_e32 v8, s12, v0
.LBB132_28:
	s_or_b64 exec, exec, s[24:25]
.LBB132_29:
	s_or_b64 exec, exec, s[22:23]
	s_add_u32 s18, s16, 1
	v_mad_u64_u32 v[2:3], s[22:23], s16, v7, 0
	s_addc_u32 s19, s17, 0
	s_mul_i32 s20, s18, s29
	s_mul_hi_u32 s21, s18, s28
	v_mov_b32_e32 v0, v3
	s_add_i32 s20, s21, s20
	s_mul_i32 s19, s19, s28
	v_mad_u64_u32 v[4:5], s[22:23], s17, v7, v[0:1]
	s_add_i32 s19, s20, s19
	s_mul_i32 s18, s18, s28
	s_load_dword s22, s[0:1], 0x90
	s_lshl_b64 s[18:19], s[18:19], 2
	s_add_u32 s20, s14, s18
	s_addc_u32 s21, s15, s19
	v_mov_b32_e32 v3, v4
	v_lshl_add_u64 v[2:3], v[2:3], 2, s[20:21]
	v_lshlrev_b32_e32 v0, 2, v6
	v_lshl_add_u64 v[2:3], v[2:3], 0, v[0:1]
	s_waitcnt lgkmcnt(0)
	s_add_i32 s22, s22, -1
	v_lshlrev_b32_e32 v1, 7, v7
	v_lshlrev_b32_e32 v11, 5, v7
	s_cmp_eq_u32 s2, s22
	s_mov_b64 s[0:1], -1
	v_add_u32_e32 v10, v0, v1
	s_cbranch_scc1 .LBB132_31
; %bb.30:
	s_lshl_b64 s[0:1], s[16:17], 5
	v_lshl_add_u64 v[4:5], v[2:3], 0, s[0:1]
	v_lshl_add_u64 v[12:13], v[4:5], 0, s[0:1]
	;; [unrolled: 1-line block ×3, first 2 shown]
	flat_load_dword v9, v[2:3]
	flat_load_dword v16, v[4:5]
	;; [unrolled: 1-line block ×4, first 2 shown]
	s_mov_b64 s[0:1], 0
	s_waitcnt vmcnt(0) lgkmcnt(0)
	ds_write2st64_b32 v10, v9, v16 offset1:4
	ds_write2st64_b32 v10, v17, v18 offset0:8 offset1:12
.LBB132_31:
	s_andn2_b64 vcc, exec, s[0:1]
	v_add_u32_e32 v9, v11, v6
	s_cbranch_vccnz .LBB132_47
; %bb.32:
	v_cmp_gt_i32_e32 vcc, s13, v6
	v_mov_b32_e32 v4, 0
	s_nor_b64 s[4:5], s[4:5], vcc
	ds_write2st64_b32 v10, v4, v4 offset1:4
	ds_write2st64_b32 v10, v4, v4 offset0:8 offset1:12
	s_and_saveexec_b64 s[0:1], s[4:5]
; %bb.33:
	ds_write_b32 v0, v4 offset:6144
; %bb.34:
	s_or_b64 exec, exec, s[0:1]
	s_and_saveexec_b64 s[0:1], vcc
	s_cbranch_execz .LBB132_46
; %bb.35:
	s_cmp_lt_u32 s13, 8
	s_mov_b32 s23, 0
	s_cbranch_scc1 .LBB132_44
; %bb.36:
	s_lshr_b32 s23, s13, 3
	s_cmp_lt_u32 s13, 16
	s_cbranch_scc1 .LBB132_40
; %bb.37:
	s_and_b32 s4, s23, 0x1ffffffe
	v_lshl_add_u32 v4, v11, 2, v0
	s_mov_b32 s5, s16
	s_mov_b32 s20, s17
	;; [unrolled: 1-line block ×5, first 2 shown]
.LBB132_38:                             ; =>This Inner Loop Header: Depth=1
	s_lshl_b32 s27, s24, 3
	s_lshl_b32 s26, s21, 3
	s_mul_i32 s29, s20, s26
	s_mul_hi_u32 s30, s5, s26
	s_mul_i32 s31, s17, s27
	s_mul_hi_u32 s33, s16, s27
	s_mul_i32 s28, s16, s27
	s_add_i32 s27, s30, s29
	s_add_i32 s29, s33, s31
	s_mul_i32 s26, s5, s26
	v_lshl_add_u64 v[12:13], s[28:29], 2, v[2:3]
	v_lshl_add_u64 v[14:15], s[26:27], 2, v[2:3]
	flat_load_dword v5, v[12:13]
	flat_load_dword v16, v[14:15]
	v_lshl_add_u32 v12, s24, 10, v4
	v_lshl_add_u32 v13, s21, 10, v4
	s_add_i32 s24, s24, 2
	s_add_i32 s21, s21, 2
	s_add_i32 s25, s25, -2
	s_cmp_lg_u32 s25, 0
	s_waitcnt vmcnt(0) lgkmcnt(0)
	ds_write_b32 v12, v5
	ds_write_b32 v13, v16
	s_cbranch_scc1 .LBB132_38
; %bb.39:
	s_cmp_lg_u32 s23, s4
	s_cselect_b64 s[20:21], -1, 0
	s_branch .LBB132_41
.LBB132_40:
	s_mov_b64 s[20:21], -1
	s_mov_b32 s4, 0
.LBB132_41:
	s_and_b64 vcc, exec, s[20:21]
	s_cbranch_vccz .LBB132_44
; %bb.42:
	s_lshl_b32 s5, s4, 10
	v_add3_u32 v12, s5, v1, v0
	s_mov_b32 s5, 0
	s_sub_i32 s20, s23, s4
	s_lshl_b64 s[4:5], s[4:5], 5
	v_lshlrev_b32_e32 v4, 2, v7
	v_mov_b32_e32 v5, 0
	v_lshl_add_u64 v[14:15], s[4:5], 0, v[4:5]
	v_mov_b64_e32 v[16:17], s[18:19]
	v_mul_lo_u32 v1, s16, v15
	v_mul_lo_u32 v4, s17, v14
	v_mad_u64_u32 v[14:15], s[4:5], s16, v14, v[16:17]
	v_add3_u32 v15, v4, v15, v1
	v_mov_b32_e32 v1, v5
	v_lshl_add_u64 v[4:5], v[14:15], 0, v[0:1]
	v_lshl_add_u64 v[4:5], s[14:15], 0, v[4:5]
	s_lshl_b64 s[4:5], s[16:17], 5
.LBB132_43:                             ; =>This Inner Loop Header: Depth=1
	flat_load_dword v1, v[4:5]
	s_add_i32 s20, s20, -1
	v_lshl_add_u64 v[4:5], v[4:5], 0, s[4:5]
	s_cmp_lg_u32 s20, 0
	s_waitcnt vmcnt(0) lgkmcnt(0)
	ds_write_b32 v12, v1
	v_add_u32_e32 v12, 0x400, v12
	s_cbranch_scc1 .LBB132_43
.LBB132_44:
	s_and_b32 s4, s13, 7
	v_cmp_gt_u32_e32 vcc, s4, v7
	s_and_b64 exec, exec, vcc
	s_cbranch_execz .LBB132_46
; %bb.45:
	s_lshl_b32 s4, s23, 3
	s_mul_i32 s5, s17, s4
	s_mul_hi_u32 s14, s16, s4
	s_add_i32 s5, s14, s5
	s_mul_i32 s4, s16, s4
	v_lshl_add_u64 v[2:3], s[4:5], 2, v[2:3]
	flat_load_dword v1, v[2:3]
	v_lshlrev_b32_e32 v2, 2, v9
	v_lshl_add_u32 v2, s23, 10, v2
	s_waitcnt vmcnt(0) lgkmcnt(0)
	ds_write_b32 v2, v1
.LBB132_46:
	s_or_b64 exec, exec, s[0:1]
.LBB132_47:
	v_sub_u32_e32 v1, v6, v7
	v_sub_u32_e32 v2, 0, v1
	s_movk_i32 s0, 0x7c
	v_max_i32_e32 v2, v1, v2
	v_mad_u32_u24 v1, v6, s0, v0
	v_cmp_lt_u32_e32 vcc, 16, v2
	v_lshl_add_u32 v1, v7, 2, v1
	s_waitcnt lgkmcnt(0)
	s_barrier
	s_and_saveexec_b64 s[0:1], vcc
	s_cbranch_execnz .LBB132_57
; %bb.48:
	s_or_b64 exec, exec, s[0:1]
	v_cmp_lt_u32_e32 vcc, 24, v2
	s_and_saveexec_b64 s[0:1], vcc
	s_cbranch_execnz .LBB132_58
.LBB132_49:
	s_or_b64 exec, exec, s[0:1]
	v_cmp_ge_u32_e32 vcc, v6, v7
	s_and_saveexec_b64 s[0:1], vcc
	s_cbranch_execz .LBB132_51
.LBB132_50:
	ds_read_b32 v3, v1
	v_lshl_add_u32 v4, v11, 2, v0
	s_waitcnt lgkmcnt(0)
	ds_write_b32 v4, v3
.LBB132_51:
	s_or_b64 exec, exec, s[0:1]
	v_cmp_lt_u32_e32 vcc, 8, v2
	v_mov_b32_e32 v2, 0x400
	v_lshl_add_u32 v2, v7, 7, v2
	v_add_u32_e32 v2, v0, v2
	s_and_saveexec_b64 s[0:1], vcc
	s_cbranch_execz .LBB132_53
; %bb.52:
	ds_read_b32 v1, v1 offset:32
	s_waitcnt lgkmcnt(0)
	ds_write_b32 v2, v1
.LBB132_53:
	s_or_b64 exec, exec, s[0:1]
	v_lshlrev_b32_e32 v1, 2, v7
	v_add_u32_e32 v1, 0x1800, v1
	s_waitcnt lgkmcnt(0)
	s_barrier
	ds_read_b32 v4, v10
	ds_read_b32 v5, v2
	ds_read2_b32 v[2:3], v1 offset1:8
	v_lshl_add_u32 v7, v7, 7, v0
	ds_read2st64_b32 v[10:11], v7 offset0:8 offset1:12
	ds_read2_b32 v[12:13], v1 offset0:16 offset1:24
	s_waitcnt lgkmcnt(0)
	v_pk_mul_f32 v[2:3], v[4:5], v[2:3]
	s_nop 0
	v_add_f32_e32 v1, 0, v2
	v_add_f32_e32 v1, v1, v3
	v_pk_mul_f32 v[2:3], v[10:11], v[12:13]
	s_nop 0
	v_add_f32_e32 v1, v1, v2
	v_add_f32_e32 v1, v1, v3
	v_lshlrev_b32_e32 v2, 2, v9
	ds_write_b32 v2, v1 offset:4096
	s_waitcnt lgkmcnt(0)
	s_barrier
	s_and_saveexec_b64 s[0:1], s[6:7]
	s_cbranch_execz .LBB132_56
; %bb.54:
	s_cmp_lt_u32 s2, s22
	v_cmp_gt_i32_e32 vcc, s13, v6
	s_cselect_b64 s[0:1], -1, 0
	s_or_b64 s[0:1], vcc, s[0:1]
	s_and_b64 exec, exec, s[0:1]
	s_cbranch_execz .LBB132_56
; %bb.55:
	v_add_u32_e32 v7, 0x1000, v0
	ds_read2_b32 v[0:1], v7 offset1:32
	ds_read2_b32 v[2:3], v7 offset0:64 offset1:96
	ds_read2_b32 v[4:5], v7 offset0:128 offset1:160
	;; [unrolled: 1-line block ×3, first 2 shown]
	v_cmp_neq_f32_e64 vcc, s12, 0
	s_waitcnt lgkmcnt(0)
	v_add_f32_e32 v0, 0, v0
	v_add_f32_e32 v0, v0, v1
	;; [unrolled: 1-line block ×8, first 2 shown]
	v_mul_f32_e32 v1, s3, v0
	v_fmac_f32_e32 v8, s3, v0
	v_cndmask_b32_e32 v4, v1, v8, vcc
	v_mad_u64_u32 v[0:1], s[0:1], s10, v6, 0
	v_mov_b32_e32 v2, v1
	v_mad_u64_u32 v[2:3], s[0:1], s11, v6, v[2:3]
	v_mov_b32_e32 v1, v2
	v_lshl_add_u64 v[0:1], v[0:1], 2, s[8:9]
	flat_store_dword v[0:1], v4
.LBB132_56:
	s_endpgm
.LBB132_57:
	ds_read_b32 v3, v1 offset:64
	s_waitcnt lgkmcnt(0)
	ds_write_b32 v10, v3 offset:2048
	s_or_b64 exec, exec, s[0:1]
	v_cmp_lt_u32_e32 vcc, 24, v2
	s_and_saveexec_b64 s[0:1], vcc
	s_cbranch_execz .LBB132_49
.LBB132_58:
	ds_read_b32 v3, v1 offset:96
	s_waitcnt lgkmcnt(0)
	ds_write_b32 v10, v3 offset:3072
	s_or_b64 exec, exec, s[0:1]
	v_cmp_ge_u32_e32 vcc, v6, v7
	s_and_saveexec_b64 s[0:1], vcc
	s_cbranch_execnz .LBB132_50
	s_branch .LBB132_51
	.section	.rodata,"a",@progbits
	.p2align	6, 0x0
	.amdhsa_kernel _ZL58rocblas_symv_kernel_upper_double_buffered_diagonal_genericILi32ELi8E24rocblas_internal_val_ptrIfEPKPKfPKPfEvbiT1_lT2_lllSA_lllS9_lT3_lllii
		.amdhsa_group_segment_fixed_size 6272
		.amdhsa_private_segment_fixed_size 0
		.amdhsa_kernarg_size 400
		.amdhsa_user_sgpr_count 2
		.amdhsa_user_sgpr_dispatch_ptr 0
		.amdhsa_user_sgpr_queue_ptr 0
		.amdhsa_user_sgpr_kernarg_segment_ptr 1
		.amdhsa_user_sgpr_dispatch_id 0
		.amdhsa_user_sgpr_kernarg_preload_length 0
		.amdhsa_user_sgpr_kernarg_preload_offset 0
		.amdhsa_user_sgpr_private_segment_size 0
		.amdhsa_uses_dynamic_stack 0
		.amdhsa_enable_private_segment 0
		.amdhsa_system_sgpr_workgroup_id_x 1
		.amdhsa_system_sgpr_workgroup_id_y 0
		.amdhsa_system_sgpr_workgroup_id_z 1
		.amdhsa_system_sgpr_workgroup_info 0
		.amdhsa_system_vgpr_workitem_id 1
		.amdhsa_next_free_vgpr 19
		.amdhsa_next_free_sgpr 34
		.amdhsa_accum_offset 20
		.amdhsa_reserve_vcc 1
		.amdhsa_float_round_mode_32 0
		.amdhsa_float_round_mode_16_64 0
		.amdhsa_float_denorm_mode_32 3
		.amdhsa_float_denorm_mode_16_64 3
		.amdhsa_dx10_clamp 1
		.amdhsa_ieee_mode 1
		.amdhsa_fp16_overflow 0
		.amdhsa_tg_split 0
		.amdhsa_exception_fp_ieee_invalid_op 0
		.amdhsa_exception_fp_denorm_src 0
		.amdhsa_exception_fp_ieee_div_zero 0
		.amdhsa_exception_fp_ieee_overflow 0
		.amdhsa_exception_fp_ieee_underflow 0
		.amdhsa_exception_fp_ieee_inexact 0
		.amdhsa_exception_int_div_zero 0
	.end_amdhsa_kernel
	.section	.text._ZL58rocblas_symv_kernel_upper_double_buffered_diagonal_genericILi32ELi8E24rocblas_internal_val_ptrIfEPKPKfPKPfEvbiT1_lT2_lllSA_lllS9_lT3_lllii,"axG",@progbits,_ZL58rocblas_symv_kernel_upper_double_buffered_diagonal_genericILi32ELi8E24rocblas_internal_val_ptrIfEPKPKfPKPfEvbiT1_lT2_lllSA_lllS9_lT3_lllii,comdat
.Lfunc_end132:
	.size	_ZL58rocblas_symv_kernel_upper_double_buffered_diagonal_genericILi32ELi8E24rocblas_internal_val_ptrIfEPKPKfPKPfEvbiT1_lT2_lllSA_lllS9_lT3_lllii, .Lfunc_end132-_ZL58rocblas_symv_kernel_upper_double_buffered_diagonal_genericILi32ELi8E24rocblas_internal_val_ptrIfEPKPKfPKPfEvbiT1_lT2_lllSA_lllS9_lT3_lllii
                                        ; -- End function
	.set _ZL58rocblas_symv_kernel_upper_double_buffered_diagonal_genericILi32ELi8E24rocblas_internal_val_ptrIfEPKPKfPKPfEvbiT1_lT2_lllSA_lllS9_lT3_lllii.num_vgpr, 19
	.set _ZL58rocblas_symv_kernel_upper_double_buffered_diagonal_genericILi32ELi8E24rocblas_internal_val_ptrIfEPKPKfPKPfEvbiT1_lT2_lllSA_lllS9_lT3_lllii.num_agpr, 0
	.set _ZL58rocblas_symv_kernel_upper_double_buffered_diagonal_genericILi32ELi8E24rocblas_internal_val_ptrIfEPKPKfPKPfEvbiT1_lT2_lllSA_lllS9_lT3_lllii.numbered_sgpr, 34
	.set _ZL58rocblas_symv_kernel_upper_double_buffered_diagonal_genericILi32ELi8E24rocblas_internal_val_ptrIfEPKPKfPKPfEvbiT1_lT2_lllSA_lllS9_lT3_lllii.num_named_barrier, 0
	.set _ZL58rocblas_symv_kernel_upper_double_buffered_diagonal_genericILi32ELi8E24rocblas_internal_val_ptrIfEPKPKfPKPfEvbiT1_lT2_lllSA_lllS9_lT3_lllii.private_seg_size, 0
	.set _ZL58rocblas_symv_kernel_upper_double_buffered_diagonal_genericILi32ELi8E24rocblas_internal_val_ptrIfEPKPKfPKPfEvbiT1_lT2_lllSA_lllS9_lT3_lllii.uses_vcc, 1
	.set _ZL58rocblas_symv_kernel_upper_double_buffered_diagonal_genericILi32ELi8E24rocblas_internal_val_ptrIfEPKPKfPKPfEvbiT1_lT2_lllSA_lllS9_lT3_lllii.uses_flat_scratch, 0
	.set _ZL58rocblas_symv_kernel_upper_double_buffered_diagonal_genericILi32ELi8E24rocblas_internal_val_ptrIfEPKPKfPKPfEvbiT1_lT2_lllSA_lllS9_lT3_lllii.has_dyn_sized_stack, 0
	.set _ZL58rocblas_symv_kernel_upper_double_buffered_diagonal_genericILi32ELi8E24rocblas_internal_val_ptrIfEPKPKfPKPfEvbiT1_lT2_lllSA_lllS9_lT3_lllii.has_recursion, 0
	.set _ZL58rocblas_symv_kernel_upper_double_buffered_diagonal_genericILi32ELi8E24rocblas_internal_val_ptrIfEPKPKfPKPfEvbiT1_lT2_lllSA_lllS9_lT3_lllii.has_indirect_call, 0
	.section	.AMDGPU.csdata,"",@progbits
; Kernel info:
; codeLenInByte = 2204
; TotalNumSgprs: 40
; NumVgprs: 19
; NumAgprs: 0
; TotalNumVgprs: 19
; ScratchSize: 0
; MemoryBound: 0
; FloatMode: 240
; IeeeMode: 1
; LDSByteSize: 6272 bytes/workgroup (compile time only)
; SGPRBlocks: 4
; VGPRBlocks: 2
; NumSGPRsForWavesPerEU: 40
; NumVGPRsForWavesPerEU: 19
; AccumOffset: 20
; Occupancy: 8
; WaveLimiterHint : 1
; COMPUTE_PGM_RSRC2:SCRATCH_EN: 0
; COMPUTE_PGM_RSRC2:USER_SGPR: 2
; COMPUTE_PGM_RSRC2:TRAP_HANDLER: 0
; COMPUTE_PGM_RSRC2:TGID_X_EN: 1
; COMPUTE_PGM_RSRC2:TGID_Y_EN: 0
; COMPUTE_PGM_RSRC2:TGID_Z_EN: 1
; COMPUTE_PGM_RSRC2:TIDIG_COMP_CNT: 1
; COMPUTE_PGM_RSRC3_GFX90A:ACCUM_OFFSET: 4
; COMPUTE_PGM_RSRC3_GFX90A:TG_SPLIT: 0
	.section	.text._ZL62rocblas_symv_kernel_upper_double_buffered_non_diagonal_genericILi32ELi8ELi2ELi0E24rocblas_internal_val_ptrIfEPKPKfPKPfEvbiT3_lT4_lllSA_lllT5_lllii,"axG",@progbits,_ZL62rocblas_symv_kernel_upper_double_buffered_non_diagonal_genericILi32ELi8ELi2ELi0E24rocblas_internal_val_ptrIfEPKPKfPKPfEvbiT3_lT4_lllSA_lllT5_lllii,comdat
	.globl	_ZL62rocblas_symv_kernel_upper_double_buffered_non_diagonal_genericILi32ELi8ELi2ELi0E24rocblas_internal_val_ptrIfEPKPKfPKPfEvbiT3_lT4_lllSA_lllT5_lllii ; -- Begin function _ZL62rocblas_symv_kernel_upper_double_buffered_non_diagonal_genericILi32ELi8ELi2ELi0E24rocblas_internal_val_ptrIfEPKPKfPKPfEvbiT3_lT4_lllSA_lllT5_lllii
	.p2align	8
	.type	_ZL62rocblas_symv_kernel_upper_double_buffered_non_diagonal_genericILi32ELi8ELi2ELi0E24rocblas_internal_val_ptrIfEPKPKfPKPfEvbiT3_lT4_lllSA_lllT5_lllii,@function
_ZL62rocblas_symv_kernel_upper_double_buffered_non_diagonal_genericILi32ELi8ELi2ELi0E24rocblas_internal_val_ptrIfEPKPKfPKPfEvbiT3_lT4_lllSA_lllT5_lllii: ; @_ZL62rocblas_symv_kernel_upper_double_buffered_non_diagonal_genericILi32ELi8ELi2ELi0E24rocblas_internal_val_ptrIfEPKPKfPKPfEvbiT3_lT4_lllSA_lllT5_lllii
; %bb.0:
	s_load_dword s5, s[0:1], 0x0
	s_load_dwordx8 s[8:15], s[0:1], 0x8
	s_load_dwordx2 s[16:17], s[0:1], 0x28
	s_waitcnt lgkmcnt(0)
	s_bitcmp0_b32 s5, 0
	s_cbranch_scc0 .LBB133_2
; %bb.1:
	s_mul_i32 s5, s11, s4
	s_mul_hi_u32 s6, s10, s4
	s_add_i32 s7, s6, s5
	s_mul_i32 s6, s10, s4
	s_lshl_b64 s[6:7], s[6:7], 2
	s_add_u32 s6, s8, s6
	s_addc_u32 s7, s9, s7
	s_load_dword s33, s[6:7], 0x0
	s_cbranch_execz .LBB133_3
	s_branch .LBB133_4
.LBB133_2:
                                        ; implicit-def: $sgpr33
.LBB133_3:
	s_waitcnt lgkmcnt(0)
	s_mov_b32 s33, s8
.LBB133_4:
	s_waitcnt lgkmcnt(0)
	v_cmp_eq_f32_e64 s[6:7], s33, 0
	s_and_b64 vcc, exec, s[6:7]
	s_cbranch_vccnz .LBB133_43
; %bb.5:
	s_load_dword s18, s[0:1], 0x84
	s_add_u32 s20, s0, 0x80
	s_addc_u32 s21, s1, 0
	s_cmp_eq_u32 s2, 0
	s_waitcnt lgkmcnt(0)
	v_cvt_f32_u32_e32 v1, s18
	v_rcp_iflag_f32_e32 v1, v1
	s_nop 0
	v_mul_f32_e32 v1, 0x4f7ffffe, v1
	v_cvt_u32_f32_e32 v1, v1
	s_nop 0
	v_readfirstlane_b32 s5, v1
	s_cbranch_scc1 .LBB133_43
; %bb.6:
	s_sub_i32 s6, 0, s18
	s_mul_i32 s6, s6, s5
	s_mul_hi_u32 s6, s5, s6
	s_add_i32 s5, s5, s6
	s_load_dwordx2 s[22:23], s[0:1], 0x58
	s_load_dwordx4 s[8:11], s[0:1], 0x38
	s_mul_hi_u32 s19, s2, s5
	s_mov_b32 s5, 0
	s_lshl_b64 s[24:25], s[4:5], 3
	s_add_u32 s4, s12, s24
	s_addc_u32 s5, s13, s25
	s_waitcnt lgkmcnt(0)
	s_add_u32 s6, s8, s24
	s_addc_u32 s7, s9, s25
	s_add_u32 s8, s22, s24
	s_mul_i32 s12, s19, s18
	s_addc_u32 s9, s23, s25
	s_sub_i32 s12, s2, s12
	s_add_i32 s13, s19, 1
	s_sub_i32 s22, s12, s18
	s_cmp_ge_u32 s12, s18
	s_cselect_b32 s13, s13, s19
	s_cselect_b32 s12, s22, s12
	s_add_i32 s19, s13, 1
	s_cmp_ge_u32 s12, s18
	s_cselect_b32 s30, s19, s13
	s_add_i32 s12, s18, -1
	s_cmp_lg_u32 s3, s12
	s_mov_b32 s41, s30
	s_cbranch_scc1 .LBB133_8
; %bb.7:
	s_mul_i32 s12, s30, s18
	s_sub_i32 s12, s2, s12
	s_add_i32 s41, s12, s30
.LBB133_8:
	s_cmp_eq_u32 s41, 0
	s_cbranch_scc1 .LBB133_43
; %bb.9:
	s_load_dwordx2 s[18:19], s[6:7], 0x0
	s_load_dwordx2 s[12:13], s[0:1], 0x48
	;; [unrolled: 1-line block ×4, first 2 shown]
	s_lshl_b64 s[4:5], s[10:11], 2
	s_waitcnt lgkmcnt(0)
	s_add_u32 s18, s18, s4
	s_addc_u32 s19, s19, s5
	s_lshl_b32 s6, s2, 5
	s_ashr_i32 s7, s6, 31
	s_mul_i32 s4, s12, s7
	s_mul_hi_u32 s5, s12, s6
	s_load_dword s37, s[20:21], 0x0
	s_add_i32 s4, s5, s4
	s_mul_i32 s5, s13, s6
	s_add_i32 s5, s4, s5
	s_mul_i32 s4, s12, s6
	s_lshl_b64 s[4:5], s[4:5], 2
	s_load_dword s36, s[0:1], 0x78
	s_add_u32 s10, s18, s4
	s_addc_u32 s11, s19, s5
	s_waitcnt lgkmcnt(0)
	s_add_i32 s37, s37, -1
	v_and_b32_e32 v15, 0x3ff, v0
	v_bfe_u32 v1, v0, 10, 10
	s_cmp_lg_u32 s2, s37
	v_lshl_add_u32 v12, v1, 5, v15
	s_cselect_b64 s[8:9], -1, 0
	v_and_b32_e32 v0, 15, v0
	v_lshrrev_b32_e32 v4, 4, v12
	v_cmp_eq_u32_e64 s[4:5], 0, v1
	s_mov_b64 s[20:21], -1
	s_and_b64 vcc, exec, s[8:9]
	s_cbranch_vccnz .LBB133_15
; %bb.10:
	s_and_saveexec_b64 s[20:21], s[4:5]
	s_cbranch_execz .LBB133_14
; %bb.11:
	v_cmp_gt_i32_e32 vcc, s36, v15
	v_mov_b32_e32 v1, 0
	s_and_saveexec_b64 s[26:27], vcc
	s_cbranch_execz .LBB133_13
; %bb.12:
	v_mad_u64_u32 v[2:3], s[28:29], s12, v15, 0
	v_mov_b32_e32 v6, v3
	v_mad_u64_u32 v[6:7], s[28:29], s13, v15, v[6:7]
	v_mov_b32_e32 v3, v6
	v_lshl_add_u64 v[2:3], v[2:3], 2, s[10:11]
	flat_load_dword v1, v[2:3]
.LBB133_13:
	s_or_b64 exec, exec, s[26:27]
	v_lshlrev_b32_e32 v2, 2, v15
	s_waitcnt vmcnt(0) lgkmcnt(0)
	ds_write_b32 v2, v1 offset:4096
.LBB133_14:
	s_or_b64 exec, exec, s[20:21]
	v_lshlrev_b32_e32 v1, 2, v0
	v_lshl_or_b32 v1, v4, 7, v1
	v_mov_b32_e32 v2, 0
	ds_write2_b32 v1, v2, v2 offset1:16
	v_add_u32_e32 v1, 0x800, v1
	s_mov_b64 s[20:21], 0
	ds_write2_b32 v1, v2, v2 offset1:16
.LBB133_15:
	s_and_b64 vcc, exec, s[20:21]
	s_cbranch_vccz .LBB133_19
; %bb.16:
	s_and_saveexec_b64 s[20:21], s[4:5]
	s_cbranch_execz .LBB133_18
; %bb.17:
	v_mad_u64_u32 v[2:3], s[26:27], s12, v15, 0
	v_mov_b32_e32 v6, v3
	v_mad_u64_u32 v[6:7], s[26:27], s13, v15, v[6:7]
	v_mov_b32_e32 v3, v6
	v_lshl_add_u64 v[2:3], v[2:3], 2, s[10:11]
	flat_load_dword v1, v[2:3]
	v_lshlrev_b32_e32 v2, 2, v15
	s_waitcnt vmcnt(0) lgkmcnt(0)
	ds_write_b32 v2, v1 offset:4096
.LBB133_18:
	s_or_b64 exec, exec, s[20:21]
.LBB133_19:
	s_lshr_b32 s10, s36, 31
	s_add_i32 s10, s36, s10
	s_ashr_i32 s34, s10, 1
	s_lshl_b64 s[28:29], s[14:15], 2
	s_add_u32 s14, s22, s28
	s_mul_i32 s10, s16, s7
	s_mul_hi_u32 s11, s16, s6
	s_addc_u32 s15, s23, s29
	s_add_i32 s10, s11, s10
	s_mul_i32 s11, s17, s6
	s_add_i32 s11, s10, s11
	s_mul_i32 s10, s16, s6
	s_lshl_b64 s[10:11], s[10:11], 2
	s_add_u32 s39, s14, s10
	s_mul_i32 s3, s3, s30
	s_addc_u32 s40, s15, s11
	s_lshl_b32 s30, s3, 5
	v_lshlrev_b32_e32 v5, 1, v4
	v_mov_b32_e32 v1, 0
	s_ashr_i32 s31, s30, 31
	v_mad_u64_u32 v[2:3], s[10:11], s16, v5, v[0:1]
	s_lshl_b64 s[20:21], s[30:31], 2
	v_mov_b32_e32 v6, v3
	s_add_u32 s26, s39, s20
	v_mad_u64_u32 v[6:7], s[10:11], s17, v5, v[6:7]
	v_cmp_gt_i32_e32 vcc, s34, v4
	s_addc_u32 s27, s40, s21
	v_mov_b32_e32 v3, v6
	s_or_b64 s[14:15], s[8:9], vcc
	v_mov_b32_e32 v10, v1
	v_mov_b32_e32 v11, v1
	s_waitcnt lgkmcnt(0)
	s_barrier
	s_and_saveexec_b64 s[8:9], s[14:15]
	s_cbranch_execz .LBB133_21
; %bb.20:
	v_lshl_add_u64 v[6:7], v[2:3], 2, s[26:27]
	v_lshl_add_u64 v[8:9], s[16:17], 2, v[6:7]
	flat_load_dword v10, v[6:7]
	flat_load_dword v11, v[8:9]
.LBB133_21:
	s_or_b64 exec, exec, s[8:9]
	s_load_dwordx4 s[8:11], s[0:1], 0x60
	v_lshlrev_b32_e32 v1, 7, v4
	s_waitcnt lgkmcnt(0)
	s_lshl_b64 s[0:1], s[8:9], 2
	s_add_u32 s3, s24, s0
	s_addc_u32 s38, s25, s1
	s_cmp_gt_i32 s41, 0
	s_cbranch_scc1 .LBB133_23
; %bb.22:
	v_lshlrev_b32_e32 v4, 7, v4
	v_mov_b32_e32 v9, 0
	v_mov_b32_e32 v8, 0
	s_cbranch_execz .LBB133_24
	s_branch .LBB133_40
.LBB133_23:
                                        ; implicit-def: $vgpr4
	v_mov_b32_e32 v9, 0
	v_mov_b32_e32 v8, 0
.LBB133_24:
	v_mad_u64_u32 v[6:7], s[0:1], s12, v0, 0
	v_mov_b32_e32 v4, v7
	v_mad_u64_u32 v[8:9], s[0:1], s13, v0, v[4:5]
	s_mul_i32 s0, s12, s31
	s_mul_hi_u32 s1, s12, s30
	s_add_i32 s0, s1, s0
	s_mul_i32 s1, s13, s30
	s_add_i32 s1, s0, s1
	s_mul_i32 s0, s12, s30
	s_lshl_b64 s[0:1], s[0:1], 2
	s_add_u32 s34, s18, s0
	v_mov_b32_e32 v7, v8
	s_addc_u32 s35, s19, s1
	v_lshl_add_u64 v[6:7], v[6:7], 2, s[34:35]
	flat_load_dword v14, v[6:7]
	s_mul_i32 s8, s10, s31
	s_mul_hi_u32 s9, s10, s30
	s_add_i32 s8, s9, s8
	s_mul_i32 s9, s11, s30
	s_add_i32 s9, s8, s9
	s_mul_i32 s8, s10, s30
	s_lshl_b64 s[8:9], s[8:9], 2
	s_add_u32 s30, s3, s8
	v_mov_b32_e32 v4, 0x1000
	s_addc_u32 s31, s38, s9
	v_lshl_add_u32 v35, v5, 2, v4
	v_mad_u64_u32 v[4:5], s[8:9], s10, v15, 0
	v_mov_b32_e32 v6, v5
	v_mad_u64_u32 v[6:7], s[8:9], s11, v15, v[6:7]
	v_lshlrev_b32_e32 v34, 2, v0
	v_lshlrev_b32_e32 v29, 2, v15
	v_mov_b32_e32 v5, v6
	v_mov_b32_e32 v13, 0
	s_cmp_eq_u32 s41, 1
	s_cbranch_scc1 .LBB133_34
; %bb.25:
	v_lshrrev_b32_e32 v6, 1, v12
	v_and_b32_e32 v8, 0x7ff8, v6
	v_mov_b32_e32 v9, 0
	v_lshl_add_u64 v[6:7], s[6:7], 2, v[8:9]
	v_lshl_add_u64 v[12:13], v[6:7], 0, 4
	v_mov_b64_e32 v[18:19], s[28:29]
	v_mad_u64_u32 v[16:17], s[26:27], s16, v12, v[18:19]
	v_mul_lo_u32 v8, s16, v13
	v_mul_lo_u32 v12, s17, v12
	v_add3_u32 v17, v12, v17, v8
	v_lshlrev_b32_e32 v8, 2, v0
	v_lshl_add_u64 v[12:13], v[16:17], 0, v[8:9]
	v_lshl_add_u64 v[16:17], s[22:23], 0, v[12:13]
	v_mad_u64_u32 v[12:13], s[26:27], s16, v6, v[18:19]
	v_mul_lo_u32 v7, s16, v7
	v_mul_lo_u32 v6, s17, v6
	v_add3_u32 v13, v6, v13, v7
	v_lshl_add_u64 v[6:7], v[12:13], 0, v[8:9]
	v_lshl_add_u64 v[20:21], s[22:23], 0, v[6:7]
	;; [unrolled: 1-line block ×3, first 2 shown]
	s_mov_b64 s[22:23], 0x80
	v_lshl_add_u64 v[12:13], v[6:7], 0, s[22:23]
	v_mul_lo_u32 v8, s13, v12
	v_mul_lo_u32 v13, s12, v13
	v_mad_u64_u32 v[22:23], s[26:27], s12, v12, 0
	v_lshl_add_u64 v[6:7], v[6:7], 0, 64
	v_add3_u32 v23, v23, v13, v8
	v_mul_lo_u32 v8, s13, v6
	v_mul_lo_u32 v7, s12, v7
	v_mad_u64_u32 v[24:25], s[26:27], s12, v6, 0
	s_lshl_b64 s[8:9], s[12:13], 7
	s_lshl_b64 s[24:25], s[10:11], 7
	s_add_i32 s41, s41, -1
	v_add3_u32 v25, v25, v7, v8
	v_mov_b64_e32 v[6:7], s[30:31]
	v_mov_b32_e32 v8, v9
	v_mov_b32_e32 v12, v9
	;; [unrolled: 1-line block ×3, first 2 shown]
.LBB133_26:                             ; =>This Inner Loop Header: Depth=1
	v_lshl_add_u64 v[18:19], s[18:19], 0, v[24:25]
	flat_load_dword v28, v[18:19]
	v_lshl_add_u64 v[26:27], v[20:21], 0, s[20:21]
	v_lshl_add_u64 v[30:31], v[16:17], 0, s[20:21]
	s_and_saveexec_b64 s[26:27], s[14:15]
	s_cbranch_execz .LBB133_28
; %bb.27:                               ;   in Loop: Header=BB133_26 Depth=1
	flat_load_dword v12, v[26:27] offset:64
	flat_load_dword v13, v[30:31] offset:64
.LBB133_28:                             ;   in Loop: Header=BB133_26 Depth=1
	s_or_b64 exec, exec, s[26:27]
	ds_read_b64 v[32:33], v35
	s_waitcnt vmcnt(0)
	v_mov_b64_e32 v[18:19], v[10:11]
	s_and_saveexec_b64 s[26:27], s[14:15]
	s_cbranch_execz .LBB133_30
; %bb.29:                               ;   in Loop: Header=BB133_26 Depth=1
	flat_load_dword v18, v[26:27] offset:128
	flat_load_dword v19, v[30:31] offset:128
.LBB133_30:                             ;   in Loop: Header=BB133_26 Depth=1
	s_or_b64 exec, exec, s[26:27]
	v_lshl_add_u64 v[26:27], s[18:19], 0, v[22:23]
	flat_load_dword v26, v[26:27]
	s_waitcnt lgkmcnt(0)
	v_fma_f32 v27, v10, v32, 0
	v_fma_f32 v30, v12, v32, 0
	v_fmac_f32_e32 v27, v11, v33
	v_fmac_f32_e32 v30, v13, v33
	v_add_u32_e32 v31, v34, v1
	s_barrier
	ds_write2_b32 v31, v27, v30 offset1:16
	s_waitcnt lgkmcnt(0)
	s_barrier
	s_and_saveexec_b64 s[26:27], s[4:5]
	s_cbranch_execz .LBB133_32
; %bb.31:                               ;   in Loop: Header=BB133_26 Depth=1
	ds_read2_b32 v[30:31], v29 offset1:32
	ds_read2_b32 v[32:33], v29 offset0:64 offset1:96
	ds_read2_b32 v[36:37], v29 offset0:128 offset1:160
	;; [unrolled: 1-line block ×3, first 2 shown]
	v_add_u32_e32 v27, 0x400, v29
	s_waitcnt lgkmcnt(0)
	v_add_f32_e32 v30, 0, v30
	v_add_f32_e32 v30, v30, v31
	;; [unrolled: 1-line block ×5, first 2 shown]
	ds_read2_b32 v[30:31], v27 offset1:32
	v_add_f32_e32 v32, v32, v37
	v_add_f32_e32 v32, v32, v38
	;; [unrolled: 1-line block ×3, first 2 shown]
	ds_read2_b32 v[32:33], v27 offset0:64 offset1:96
	s_waitcnt lgkmcnt(0)
	v_add_f32_e32 v30, v36, v30
	ds_read2_b32 v[36:37], v27 offset0:128 offset1:160
	v_add_f32_e32 v38, v30, v31
	ds_read2_b32 v[30:31], v27 offset0:192 offset1:224
	v_add_f32_e32 v27, v38, v32
	v_add_f32_e32 v27, v27, v33
	s_waitcnt lgkmcnt(0)
	v_add_f32_e32 v27, v27, v36
	v_add_f32_e32 v27, v27, v37
	;; [unrolled: 1-line block ×4, first 2 shown]
	v_lshl_add_u64 v[30:31], v[4:5], 2, v[6:7]
	v_mul_f32_e32 v27, s33, v27
	flat_atomic_add_f32 v[30:31], v27
	v_lshl_add_u64 v[6:7], v[6:7], 0, s[24:25]
.LBB133_32:                             ;   in Loop: Header=BB133_26 Depth=1
	s_or_b64 exec, exec, s[26:27]
	s_add_i32 s41, s41, -1
	s_add_u32 s39, s39, 0x80
	s_addc_u32 s40, s40, 0
	s_add_u32 s18, s18, s8
	s_addc_u32 s19, s19, s9
	;; [unrolled: 2-line block ×3, first 2 shown]
	s_add_u32 s26, s39, s20
	v_pk_fma_f32 v[8:9], v[14:15], v[10:11], v[8:9] op_sel_hi:[0,1,1]
	s_addc_u32 s27, s40, s21
	v_pk_fma_f32 v[8:9], v[28:29], v[12:13], v[8:9] op_sel_hi:[0,1,1]
	v_lshl_add_u64 v[16:17], v[16:17], 0, s[22:23]
	s_cmp_eq_u32 s41, 0
	v_lshl_add_u64 v[20:21], v[20:21], 0, s[22:23]
	s_cbranch_scc1 .LBB133_35
; %bb.33:                               ;   in Loop: Header=BB133_26 Depth=1
	s_waitcnt vmcnt(0)
	v_mov_b32_e32 v14, v26
	v_mov_b64_e32 v[10:11], v[18:19]
	s_branch .LBB133_26
.LBB133_34:
	v_mov_b64_e32 v[6:7], s[30:31]
	v_mov_b32_e32 v12, v13
	v_mov_b32_e32 v9, v13
	;; [unrolled: 1-line block ×3, first 2 shown]
	s_waitcnt vmcnt(0)
	v_mov_b64_e32 v[18:19], v[10:11]
	s_waitcnt lgkmcnt(0)
	v_mov_b32_e32 v26, v14
.LBB133_35:
	v_or_b32_e32 v16, 16, v0
	v_mad_u64_u32 v[10:11], s[0:1], s12, v16, 0
	v_mov_b32_e32 v14, v11
	v_mad_u64_u32 v[16:17], s[0:1], s13, v16, v[14:15]
	v_mov_b32_e32 v11, v16
	v_lshl_add_u64 v[10:11], v[10:11], 2, s[34:35]
	flat_load_dword v27, v[10:11]
	s_and_saveexec_b64 s[0:1], s[14:15]
	s_cbranch_execz .LBB133_37
; %bb.36:
	v_lshl_add_u64 v[2:3], v[2:3], 2, s[26:27]
	v_lshl_add_u64 v[10:11], s[16:17], 2, v[2:3]
	flat_load_dword v12, v[2:3] offset:64
	flat_load_dword v13, v[10:11] offset:64
.LBB133_37:
	s_or_b64 exec, exec, s[0:1]
	ds_read_b64 v[2:3], v35
	s_waitcnt vmcnt(0)
	v_mul_f32_e32 v10, v26, v18
	s_waitcnt lgkmcnt(0)
	v_mul_f32_e32 v16, v27, v12
	s_barrier
	v_fma_f32 v14, v18, v2, 0
	v_fma_f32 v18, v12, v2, 0
	v_mov_b32_e32 v12, v19
	v_fmac_f32_e32 v14, v19, v3
	v_fmac_f32_e32 v18, v13, v3
	v_pk_mul_f32 v[2:3], v[26:27], v[12:13]
	s_nop 0
	v_mov_b32_e32 v11, v2
	v_pk_add_f32 v[8:9], v[8:9], v[10:11]
	v_mov_b32_e32 v17, v3
	v_pk_add_f32 v[8:9], v[8:9], v[16:17]
	v_add_u32_e32 v2, v34, v1
	ds_write2_b32 v2, v14, v18 offset1:16
	s_waitcnt lgkmcnt(0)
	s_barrier
	s_and_saveexec_b64 s[0:1], s[4:5]
	s_cbranch_execz .LBB133_39
; %bb.38:
	ds_read2_b32 v[2:3], v29 offset1:32
	ds_read2_b32 v[10:11], v29 offset0:64 offset1:96
	ds_read2_b32 v[12:13], v29 offset0:128 offset1:160
	;; [unrolled: 1-line block ×3, first 2 shown]
	v_add_u32_e32 v14, 0x400, v29
	s_waitcnt lgkmcnt(3)
	v_add_f32_e32 v2, 0, v2
	v_add_f32_e32 v2, v2, v3
	s_waitcnt lgkmcnt(2)
	v_add_f32_e32 v2, v2, v10
	v_add_f32_e32 v2, v2, v11
	s_waitcnt lgkmcnt(1)
	v_add_f32_e32 v10, v2, v12
	ds_read2_b32 v[2:3], v14 offset1:32
	v_add_f32_e32 v10, v10, v13
	s_waitcnt lgkmcnt(1)
	v_add_f32_e32 v10, v10, v16
	v_add_f32_e32 v12, v10, v17
	ds_read2_b32 v[10:11], v14 offset0:64 offset1:96
	s_waitcnt lgkmcnt(1)
	v_add_f32_e32 v2, v12, v2
	ds_read2_b32 v[12:13], v14 offset0:128 offset1:160
	v_add_f32_e32 v16, v2, v3
	ds_read2_b32 v[2:3], v14 offset0:192 offset1:224
	s_waitcnt lgkmcnt(2)
	v_add_f32_e32 v10, v16, v10
	v_add_f32_e32 v10, v10, v11
	s_waitcnt lgkmcnt(1)
	v_add_f32_e32 v10, v10, v12
	v_add_f32_e32 v10, v10, v13
	;; [unrolled: 3-line block ×3, first 2 shown]
	v_lshl_add_u64 v[2:3], v[4:5], 2, v[6:7]
	v_mul_f32_e32 v4, s33, v10
	flat_atomic_add_f32 v[2:3], v4
.LBB133_39:
	s_or_b64 exec, exec, s[0:1]
	v_mov_b32_e32 v4, v1
.LBB133_40:
	v_lshl_add_u32 v1, v0, 2, v4
	v_add_u32_e32 v1, 0x800, v1
	ds_write2_b32 v1, v8, v9 offset1:16
	s_waitcnt lgkmcnt(0)
	s_barrier
	s_and_saveexec_b64 s[0:1], s[4:5]
	s_cbranch_execz .LBB133_43
; %bb.41:
	s_cmp_lt_u32 s2, s37
	v_cmp_gt_i32_e32 vcc, s36, v15
	s_cselect_b64 s[0:1], -1, 0
	s_or_b64 s[0:1], vcc, s[0:1]
	s_and_b64 exec, exec, s[0:1]
	s_cbranch_execz .LBB133_43
; %bb.42:
	v_mov_b32_e32 v1, 0x800
	v_add_u32_e32 v3, 1, v15
	v_add_u32_e32 v4, 2, v15
	v_add_u32_e32 v5, 3, v15
	v_add_u32_e32 v6, 4, v15
	v_add_u32_e32 v7, 5, v15
	v_add_u32_e32 v8, 6, v15
	v_add_u32_e32 v9, 7, v15
	v_lshl_add_u32 v1, v15, 6, v1
	v_and_b32_e32 v3, 15, v3
	v_and_b32_e32 v4, 15, v4
	;; [unrolled: 1-line block ×7, first 2 shown]
	v_lshl_or_b32 v2, v0, 2, v1
	v_lshl_or_b32 v3, v3, 2, v1
	v_lshl_or_b32 v4, v4, 2, v1
	v_lshl_or_b32 v5, v5, 2, v1
	v_lshl_or_b32 v6, v6, 2, v1
	v_lshl_or_b32 v7, v7, 2, v1
	v_lshl_or_b32 v8, v8, 2, v1
	v_lshl_or_b32 v9, v9, 2, v1
	ds_read_b32 v2, v2
	ds_read_b32 v3, v3
	;; [unrolled: 1-line block ×8, first 2 shown]
	s_waitcnt lgkmcnt(0)
	v_add_f32_e32 v2, 0, v2
	v_add_f32_e32 v2, v2, v3
	;; [unrolled: 1-line block ×8, first 2 shown]
	v_add_u32_e32 v3, 9, v15
	v_add_u32_e32 v4, 10, v15
	;; [unrolled: 1-line block ×6, first 2 shown]
	v_add_u32_e32 v9, -1, v15
	v_xor_b32_e32 v0, 8, v0
	v_and_b32_e32 v3, 15, v3
	v_and_b32_e32 v4, 15, v4
	;; [unrolled: 1-line block ×7, first 2 shown]
	v_lshl_or_b32 v0, v0, 2, v1
	v_lshl_or_b32 v3, v3, 2, v1
	;; [unrolled: 1-line block ×8, first 2 shown]
	ds_read_b32 v0, v0
	ds_read_b32 v3, v3
	;; [unrolled: 1-line block ×8, first 2 shown]
	s_waitcnt lgkmcnt(0)
	v_add_f32_e32 v0, v2, v0
	v_add_f32_e32 v0, v0, v3
	;; [unrolled: 1-line block ×3, first 2 shown]
	s_mul_i32 s0, s10, s7
	s_mul_hi_u32 s1, s10, s6
	v_add_f32_e32 v0, v0, v5
	s_add_i32 s0, s1, s0
	s_mul_i32 s1, s11, s6
	v_add_f32_e32 v0, v0, v6
	s_add_i32 s1, s0, s1
	s_mul_i32 s0, s10, s6
	v_add_f32_e32 v0, v0, v7
	s_lshl_b64 s[0:1], s[0:1], 2
	v_add_f32_e32 v0, v0, v8
	s_add_u32 s0, s3, s0
	v_add_f32_e32 v4, v0, v1
	v_mad_u64_u32 v[0:1], s[2:3], s10, v15, 0
	v_mov_b32_e32 v2, v1
	v_mad_u64_u32 v[2:3], s[2:3], s11, v15, v[2:3]
	s_addc_u32 s1, s38, s1
	v_mov_b32_e32 v1, v2
	v_lshl_add_u64 v[0:1], v[0:1], 2, s[0:1]
	v_mul_f32_e32 v2, s33, v4
	flat_atomic_add_f32 v[0:1], v2
.LBB133_43:
	s_endpgm
	.section	.rodata,"a",@progbits
	.p2align	6, 0x0
	.amdhsa_kernel _ZL62rocblas_symv_kernel_upper_double_buffered_non_diagonal_genericILi32ELi8ELi2ELi0E24rocblas_internal_val_ptrIfEPKPKfPKPfEvbiT3_lT4_lllSA_lllT5_lllii
		.amdhsa_group_segment_fixed_size 4224
		.amdhsa_private_segment_fixed_size 0
		.amdhsa_kernarg_size 384
		.amdhsa_user_sgpr_count 2
		.amdhsa_user_sgpr_dispatch_ptr 0
		.amdhsa_user_sgpr_queue_ptr 0
		.amdhsa_user_sgpr_kernarg_segment_ptr 1
		.amdhsa_user_sgpr_dispatch_id 0
		.amdhsa_user_sgpr_kernarg_preload_length 0
		.amdhsa_user_sgpr_kernarg_preload_offset 0
		.amdhsa_user_sgpr_private_segment_size 0
		.amdhsa_uses_dynamic_stack 0
		.amdhsa_enable_private_segment 0
		.amdhsa_system_sgpr_workgroup_id_x 1
		.amdhsa_system_sgpr_workgroup_id_y 1
		.amdhsa_system_sgpr_workgroup_id_z 1
		.amdhsa_system_sgpr_workgroup_info 0
		.amdhsa_system_vgpr_workitem_id 1
		.amdhsa_next_free_vgpr 40
		.amdhsa_next_free_sgpr 42
		.amdhsa_accum_offset 40
		.amdhsa_reserve_vcc 1
		.amdhsa_float_round_mode_32 0
		.amdhsa_float_round_mode_16_64 0
		.amdhsa_float_denorm_mode_32 3
		.amdhsa_float_denorm_mode_16_64 3
		.amdhsa_dx10_clamp 1
		.amdhsa_ieee_mode 1
		.amdhsa_fp16_overflow 0
		.amdhsa_tg_split 0
		.amdhsa_exception_fp_ieee_invalid_op 0
		.amdhsa_exception_fp_denorm_src 0
		.amdhsa_exception_fp_ieee_div_zero 0
		.amdhsa_exception_fp_ieee_overflow 0
		.amdhsa_exception_fp_ieee_underflow 0
		.amdhsa_exception_fp_ieee_inexact 0
		.amdhsa_exception_int_div_zero 0
	.end_amdhsa_kernel
	.section	.text._ZL62rocblas_symv_kernel_upper_double_buffered_non_diagonal_genericILi32ELi8ELi2ELi0E24rocblas_internal_val_ptrIfEPKPKfPKPfEvbiT3_lT4_lllSA_lllT5_lllii,"axG",@progbits,_ZL62rocblas_symv_kernel_upper_double_buffered_non_diagonal_genericILi32ELi8ELi2ELi0E24rocblas_internal_val_ptrIfEPKPKfPKPfEvbiT3_lT4_lllSA_lllT5_lllii,comdat
.Lfunc_end133:
	.size	_ZL62rocblas_symv_kernel_upper_double_buffered_non_diagonal_genericILi32ELi8ELi2ELi0E24rocblas_internal_val_ptrIfEPKPKfPKPfEvbiT3_lT4_lllSA_lllT5_lllii, .Lfunc_end133-_ZL62rocblas_symv_kernel_upper_double_buffered_non_diagonal_genericILi32ELi8ELi2ELi0E24rocblas_internal_val_ptrIfEPKPKfPKPfEvbiT3_lT4_lllSA_lllT5_lllii
                                        ; -- End function
	.set _ZL62rocblas_symv_kernel_upper_double_buffered_non_diagonal_genericILi32ELi8ELi2ELi0E24rocblas_internal_val_ptrIfEPKPKfPKPfEvbiT3_lT4_lllSA_lllT5_lllii.num_vgpr, 40
	.set _ZL62rocblas_symv_kernel_upper_double_buffered_non_diagonal_genericILi32ELi8ELi2ELi0E24rocblas_internal_val_ptrIfEPKPKfPKPfEvbiT3_lT4_lllSA_lllT5_lllii.num_agpr, 0
	.set _ZL62rocblas_symv_kernel_upper_double_buffered_non_diagonal_genericILi32ELi8ELi2ELi0E24rocblas_internal_val_ptrIfEPKPKfPKPfEvbiT3_lT4_lllSA_lllT5_lllii.numbered_sgpr, 42
	.set _ZL62rocblas_symv_kernel_upper_double_buffered_non_diagonal_genericILi32ELi8ELi2ELi0E24rocblas_internal_val_ptrIfEPKPKfPKPfEvbiT3_lT4_lllSA_lllT5_lllii.num_named_barrier, 0
	.set _ZL62rocblas_symv_kernel_upper_double_buffered_non_diagonal_genericILi32ELi8ELi2ELi0E24rocblas_internal_val_ptrIfEPKPKfPKPfEvbiT3_lT4_lllSA_lllT5_lllii.private_seg_size, 0
	.set _ZL62rocblas_symv_kernel_upper_double_buffered_non_diagonal_genericILi32ELi8ELi2ELi0E24rocblas_internal_val_ptrIfEPKPKfPKPfEvbiT3_lT4_lllSA_lllT5_lllii.uses_vcc, 1
	.set _ZL62rocblas_symv_kernel_upper_double_buffered_non_diagonal_genericILi32ELi8ELi2ELi0E24rocblas_internal_val_ptrIfEPKPKfPKPfEvbiT3_lT4_lllSA_lllT5_lllii.uses_flat_scratch, 0
	.set _ZL62rocblas_symv_kernel_upper_double_buffered_non_diagonal_genericILi32ELi8ELi2ELi0E24rocblas_internal_val_ptrIfEPKPKfPKPfEvbiT3_lT4_lllSA_lllT5_lllii.has_dyn_sized_stack, 0
	.set _ZL62rocblas_symv_kernel_upper_double_buffered_non_diagonal_genericILi32ELi8ELi2ELi0E24rocblas_internal_val_ptrIfEPKPKfPKPfEvbiT3_lT4_lllSA_lllT5_lllii.has_recursion, 0
	.set _ZL62rocblas_symv_kernel_upper_double_buffered_non_diagonal_genericILi32ELi8ELi2ELi0E24rocblas_internal_val_ptrIfEPKPKfPKPfEvbiT3_lT4_lllSA_lllT5_lllii.has_indirect_call, 0
	.section	.AMDGPU.csdata,"",@progbits
; Kernel info:
; codeLenInByte = 2884
; TotalNumSgprs: 48
; NumVgprs: 40
; NumAgprs: 0
; TotalNumVgprs: 40
; ScratchSize: 0
; MemoryBound: 0
; FloatMode: 240
; IeeeMode: 1
; LDSByteSize: 4224 bytes/workgroup (compile time only)
; SGPRBlocks: 5
; VGPRBlocks: 4
; NumSGPRsForWavesPerEU: 48
; NumVGPRsForWavesPerEU: 40
; AccumOffset: 40
; Occupancy: 8
; WaveLimiterHint : 1
; COMPUTE_PGM_RSRC2:SCRATCH_EN: 0
; COMPUTE_PGM_RSRC2:USER_SGPR: 2
; COMPUTE_PGM_RSRC2:TRAP_HANDLER: 0
; COMPUTE_PGM_RSRC2:TGID_X_EN: 1
; COMPUTE_PGM_RSRC2:TGID_Y_EN: 1
; COMPUTE_PGM_RSRC2:TGID_Z_EN: 1
; COMPUTE_PGM_RSRC2:TIDIG_COMP_CNT: 1
; COMPUTE_PGM_RSRC3_GFX90A:ACCUM_OFFSET: 9
; COMPUTE_PGM_RSRC3_GFX90A:TG_SPLIT: 0
	.section	.text._ZL62rocblas_symv_kernel_upper_double_buffered_non_diagonal_genericILi32ELi8ELi2ELi1E24rocblas_internal_val_ptrIfEPKPKfPKPfEvbiT3_lT4_lllSA_lllT5_lllii,"axG",@progbits,_ZL62rocblas_symv_kernel_upper_double_buffered_non_diagonal_genericILi32ELi8ELi2ELi1E24rocblas_internal_val_ptrIfEPKPKfPKPfEvbiT3_lT4_lllSA_lllT5_lllii,comdat
	.globl	_ZL62rocblas_symv_kernel_upper_double_buffered_non_diagonal_genericILi32ELi8ELi2ELi1E24rocblas_internal_val_ptrIfEPKPKfPKPfEvbiT3_lT4_lllSA_lllT5_lllii ; -- Begin function _ZL62rocblas_symv_kernel_upper_double_buffered_non_diagonal_genericILi32ELi8ELi2ELi1E24rocblas_internal_val_ptrIfEPKPKfPKPfEvbiT3_lT4_lllSA_lllT5_lllii
	.p2align	8
	.type	_ZL62rocblas_symv_kernel_upper_double_buffered_non_diagonal_genericILi32ELi8ELi2ELi1E24rocblas_internal_val_ptrIfEPKPKfPKPfEvbiT3_lT4_lllSA_lllT5_lllii,@function
_ZL62rocblas_symv_kernel_upper_double_buffered_non_diagonal_genericILi32ELi8ELi2ELi1E24rocblas_internal_val_ptrIfEPKPKfPKPfEvbiT3_lT4_lllSA_lllT5_lllii: ; @_ZL62rocblas_symv_kernel_upper_double_buffered_non_diagonal_genericILi32ELi8ELi2ELi1E24rocblas_internal_val_ptrIfEPKPKfPKPfEvbiT3_lT4_lllSA_lllT5_lllii
; %bb.0:
	s_load_dword s5, s[0:1], 0x0
	s_load_dwordx8 s[8:15], s[0:1], 0x8
	s_load_dwordx2 s[18:19], s[0:1], 0x28
	s_waitcnt lgkmcnt(0)
	s_bitcmp0_b32 s5, 0
	s_cbranch_scc0 .LBB134_2
; %bb.1:
	s_mul_i32 s5, s11, s4
	s_mul_hi_u32 s6, s10, s4
	s_add_i32 s7, s6, s5
	s_mul_i32 s6, s10, s4
	s_lshl_b64 s[6:7], s[6:7], 2
	s_add_u32 s6, s8, s6
	s_addc_u32 s7, s9, s7
	s_load_dword s33, s[6:7], 0x0
	s_cbranch_execz .LBB134_3
	s_branch .LBB134_4
.LBB134_2:
                                        ; implicit-def: $sgpr33
.LBB134_3:
	s_waitcnt lgkmcnt(0)
	s_mov_b32 s33, s8
.LBB134_4:
	s_waitcnt lgkmcnt(0)
	v_cmp_eq_f32_e64 s[6:7], s33, 0
	s_and_b64 vcc, exec, s[6:7]
	s_cbranch_vccnz .LBB134_75
; %bb.5:
	s_load_dword s6, s[0:1], 0x84
	s_add_u32 s24, s0, 0x80
	s_addc_u32 s25, s1, 0
	s_cmp_eq_u32 s2, 0
	s_waitcnt lgkmcnt(0)
	v_cvt_f32_u32_e32 v1, s6
	v_rcp_iflag_f32_e32 v1, v1
	s_nop 0
	v_mul_f32_e32 v1, 0x4f7ffffe, v1
	v_cvt_u32_f32_e32 v1, v1
	s_nop 0
	v_readfirstlane_b32 s5, v1
	s_cbranch_scc1 .LBB134_75
; %bb.6:
	s_sub_i32 s7, 0, s6
	s_mul_i32 s7, s7, s5
	s_mul_hi_u32 s7, s5, s7
	s_add_i32 s5, s5, s7
	s_load_dwordx2 s[16:17], s[0:1], 0x58
	s_load_dwordx4 s[8:11], s[0:1], 0x38
	s_mul_hi_u32 s7, s2, s5
	s_mov_b32 s5, 0
	s_lshl_b64 s[20:21], s[4:5], 3
	s_add_u32 s4, s12, s20
	s_addc_u32 s5, s13, s21
	s_waitcnt lgkmcnt(0)
	s_add_u32 s8, s8, s20
	s_addc_u32 s9, s9, s21
	s_add_u32 s12, s16, s20
	s_mul_i32 s16, s7, s6
	s_addc_u32 s13, s17, s21
	s_sub_i32 s16, s2, s16
	s_add_i32 s17, s7, 1
	s_sub_i32 s20, s16, s6
	s_cmp_ge_u32 s16, s6
	s_cselect_b32 s7, s17, s7
	s_cselect_b32 s16, s20, s16
	s_add_i32 s17, s7, 1
	s_cmp_ge_u32 s16, s6
	s_cselect_b32 s28, s17, s7
	s_add_i32 s7, s6, -1
	s_cmp_lg_u32 s3, s7
	s_mov_b32 s45, s28
	s_cbranch_scc1 .LBB134_8
; %bb.7:
	s_mul_i32 s6, s28, s6
	s_sub_i32 s6, s2, s6
	s_add_i32 s45, s6, s28
.LBB134_8:
	s_cmp_eq_u32 s45, 0
	s_cbranch_scc1 .LBB134_75
; %bb.9:
	s_load_dwordx2 s[16:17], s[8:9], 0x0
	s_load_dwordx2 s[20:21], s[0:1], 0x48
	;; [unrolled: 1-line block ×4, first 2 shown]
	s_lshl_b64 s[4:5], s[10:11], 2
	s_waitcnt lgkmcnt(0)
	s_add_u32 s22, s16, s4
	s_addc_u32 s23, s17, s5
	s_lshl_b32 s16, s2, 5
	s_ashr_i32 s17, s16, 31
	s_mul_i32 s4, s20, s17
	s_mul_hi_u32 s5, s20, s16
	s_load_dword s40, s[24:25], 0x0
	s_add_i32 s4, s5, s4
	s_mul_i32 s5, s21, s16
	s_add_i32 s5, s4, s5
	s_mul_i32 s4, s20, s16
	s_lshl_b64 s[4:5], s[4:5], 2
	s_add_u32 s10, s22, s4
	s_addc_u32 s11, s23, s5
	s_waitcnt lgkmcnt(0)
	s_add_i32 s40, s40, -1
	s_cmp_lg_u32 s2, s40
	v_and_b32_e32 v15, 0x3ff, v0
	v_bfe_u32 v1, v0, 10, 10
	s_cselect_b64 s[4:5], -1, 0
	v_lshl_add_u32 v12, v1, 5, v15
	v_cmp_eq_u32_e64 s[8:9], 0, v1
	s_mov_b64 s[12:13], -1
	s_and_b64 vcc, exec, s[4:5]
	s_cbranch_vccz .LBB134_13
; %bb.10:
	s_and_saveexec_b64 s[12:13], s[8:9]
	s_cbranch_execz .LBB134_12
; %bb.11:
	v_mad_u64_u32 v[2:3], s[24:25], s20, v15, 0
	v_mov_b32_e32 v4, v3
	v_mad_u64_u32 v[4:5], s[24:25], s21, v15, v[4:5]
	v_mov_b32_e32 v3, v4
	v_lshl_add_u64 v[2:3], v[2:3], 2, s[10:11]
	flat_load_dword v1, v[2:3]
	v_lshlrev_b32_e32 v2, 2, v15
	s_waitcnt vmcnt(0) lgkmcnt(0)
	ds_write_b32 v2, v1 offset:4096
.LBB134_12:
	s_or_b64 exec, exec, s[12:13]
	s_mov_b64 s[12:13], 0
.LBB134_13:
	s_load_dword s41, s[0:1], 0x78
	v_and_b32_e32 v0, 15, v0
	s_andn2_b64 vcc, exec, s[12:13]
	v_lshrrev_b32_e32 v4, 4, v12
	s_cbranch_vccnz .LBB134_19
; %bb.14:
	s_and_saveexec_b64 s[12:13], s[8:9]
	s_cbranch_execz .LBB134_18
; %bb.15:
	s_waitcnt lgkmcnt(0)
	v_cmp_gt_i32_e32 vcc, s41, v15
	v_mov_b32_e32 v1, 0
	s_and_saveexec_b64 s[24:25], vcc
	s_cbranch_execz .LBB134_17
; %bb.16:
	v_mad_u64_u32 v[2:3], s[30:31], s20, v15, 0
	v_mov_b32_e32 v6, v3
	v_mad_u64_u32 v[6:7], s[30:31], s21, v15, v[6:7]
	v_mov_b32_e32 v3, v6
	v_lshl_add_u64 v[2:3], v[2:3], 2, s[10:11]
	flat_load_dword v1, v[2:3]
.LBB134_17:
	s_or_b64 exec, exec, s[24:25]
	v_lshlrev_b32_e32 v2, 2, v15
	s_waitcnt vmcnt(0) lgkmcnt(0)
	ds_write_b32 v2, v1 offset:4096
.LBB134_18:
	s_or_b64 exec, exec, s[12:13]
	v_lshlrev_b32_e32 v1, 2, v0
	v_lshl_or_b32 v1, v4, 7, v1
	v_mov_b32_e32 v2, 0
	ds_write2_b32 v1, v2, v2 offset1:16
	v_add_u32_e32 v1, 0x800, v1
	ds_write2_b32 v1, v2, v2 offset1:16
.LBB134_19:
	s_waitcnt lgkmcnt(0)
	s_lshr_b32 s10, s41, 31
	s_add_i32 s10, s41, s10
	s_ashr_i32 s46, s10, 1
	s_lshl_b64 s[34:35], s[14:15], 2
	s_add_u32 s12, s26, s34
	s_mul_i32 s10, s18, s17
	s_mul_hi_u32 s11, s18, s16
	s_addc_u32 s13, s27, s35
	s_add_i32 s10, s11, s10
	s_mul_i32 s11, s19, s16
	s_add_i32 s11, s10, s11
	s_mul_i32 s10, s18, s16
	s_lshl_b64 s[10:11], s[10:11], 2
	s_add_u32 s43, s12, s10
	s_mul_i32 s3, s3, s28
	s_addc_u32 s44, s13, s11
	s_lshl_b32 s28, s3, 5
	v_lshlrev_b32_e32 v5, 1, v4
	v_mov_b32_e32 v1, 0
	s_ashr_i32 s29, s28, 31
	v_mad_u64_u32 v[2:3], s[10:11], s18, v5, v[0:1]
	s_lshl_b64 s[24:25], s[28:29], 2
	v_mov_b32_e32 v6, v3
	s_add_u32 s30, s43, s24
	v_mad_u64_u32 v[6:7], s[10:11], s19, v5, v[6:7]
	v_cndmask_b32_e64 v1, 0, 1, s[4:5]
	s_addc_u32 s31, s44, s25
	v_cmp_ne_u32_e64 s[10:11], 1, v1
	s_andn2_b64 vcc, exec, s[4:5]
	v_mov_b32_e32 v3, v6
	s_barrier
	s_cbranch_vccnz .LBB134_21
; %bb.20:
	v_lshl_add_u64 v[6:7], v[2:3], 2, s[30:31]
	v_lshl_add_u64 v[8:9], s[18:19], 2, v[6:7]
	flat_load_dword v10, v[6:7]
	flat_load_dword v11, v[8:9]
	v_cmp_le_i32_e64 s[4:5], s46, v4
	s_cbranch_execz .LBB134_22
	s_branch .LBB134_29
.LBB134_21:
                                        ; implicit-def: $vgpr10_vgpr11
	v_cmp_le_i32_e64 s[4:5], s46, v4
.LBB134_22:
                                        ; implicit-def: $vgpr10_vgpr11
	s_and_saveexec_b64 s[12:13], s[4:5]
	s_xor_b64 s[4:5], exec, s[12:13]
	s_cbranch_execz .LBB134_26
; %bb.23:
	s_waitcnt vmcnt(0) lgkmcnt(0)
	v_mov_b32_e32 v10, 0
	v_cmp_eq_u32_e32 vcc, s46, v4
	v_mov_b32_e32 v11, v10
	s_and_saveexec_b64 s[12:13], vcc
	s_cbranch_execz .LBB134_25
; %bb.24:
	v_lshl_add_u64 v[6:7], v[2:3], 2, s[30:31]
	flat_load_dword v6, v[6:7]
	v_mov_b32_e32 v7, v10
	s_waitcnt vmcnt(0) lgkmcnt(0)
	v_mov_b64_e32 v[10:11], v[6:7]
.LBB134_25:
	s_or_b64 exec, exec, s[12:13]
.LBB134_26:
	s_andn2_saveexec_b64 s[4:5], s[4:5]
	s_cbranch_execz .LBB134_28
; %bb.27:
	v_lshl_add_u64 v[6:7], v[2:3], 2, s[30:31]
	v_lshl_add_u64 v[8:9], s[18:19], 2, v[6:7]
	s_waitcnt vmcnt(0) lgkmcnt(0)
	flat_load_dword v10, v[6:7]
	flat_load_dword v11, v[8:9]
.LBB134_28:
	s_or_b64 exec, exec, s[4:5]
.LBB134_29:
	s_load_dwordx4 s[12:15], s[0:1], 0x60
	v_lshlrev_b32_e32 v29, 7, v4
	s_waitcnt lgkmcnt(0)
	s_lshl_b64 s[0:1], s[12:13], 2
	s_add_u32 s3, s6, s0
	s_addc_u32 s42, s7, s1
	s_cmp_gt_i32 s45, 0
	s_cbranch_scc1 .LBB134_31
; %bb.30:
	v_lshlrev_b32_e32 v1, 7, v4
	v_mov_b32_e32 v9, 0
	v_mov_b32_e32 v8, 0
	s_cbranch_execz .LBB134_32
	s_branch .LBB134_72
.LBB134_31:
                                        ; implicit-def: $vgpr1
	v_mov_b32_e32 v9, 0
	v_mov_b32_e32 v8, 0
.LBB134_32:
	v_mad_u64_u32 v[6:7], s[0:1], s20, v0, 0
	v_mov_b32_e32 v8, v7
	v_mad_u64_u32 v[8:9], s[0:1], s21, v0, v[8:9]
	s_mul_i32 s0, s20, s29
	s_mul_hi_u32 s1, s20, s28
	s_add_i32 s0, s1, s0
	s_mul_i32 s1, s21, s28
	s_add_i32 s1, s0, s1
	s_mul_i32 s0, s20, s28
	s_lshl_b64 s[0:1], s[0:1], 2
	s_add_u32 s36, s22, s0
	v_mov_b32_e32 v7, v8
	s_addc_u32 s37, s23, s1
	v_lshl_add_u64 v[6:7], v[6:7], 2, s[36:37]
	flat_load_dword v14, v[6:7]
	s_mul_i32 s4, s14, s29
	s_mul_hi_u32 s5, s14, s28
	s_add_i32 s4, s5, s4
	s_mul_i32 s5, s15, s28
	s_add_i32 s5, s4, s5
	s_mul_i32 s4, s14, s28
	s_lshl_b64 s[4:5], s[4:5], 2
	s_add_u32 s38, s3, s4
	v_mov_b32_e32 v1, 0x1000
	s_addc_u32 s39, s42, s5
	v_cmp_le_i32_e64 s[6:7], s46, v4
	v_cmp_eq_u32_e64 s[4:5], s46, v4
	v_lshl_add_u32 v36, v5, 2, v1
	v_mad_u64_u32 v[4:5], s[12:13], s14, v15, 0
	v_mov_b32_e32 v6, v5
	v_mad_u64_u32 v[6:7], s[12:13], s15, v15, v[6:7]
	v_lshlrev_b32_e32 v35, 2, v0
	v_lshlrev_b32_e32 v34, 2, v15
	v_mov_b32_e32 v5, v6
	v_mov_b32_e32 v13, 0
	s_cmp_eq_u32 s45, 1
	s_cbranch_scc1 .LBB134_58
; %bb.33:
	v_lshrrev_b32_e32 v1, 1, v12
	v_and_b32_e32 v8, 0x7ff8, v1
	v_mov_b32_e32 v9, 0
	v_lshl_add_u64 v[6:7], s[16:17], 2, v[8:9]
	v_lshl_add_u64 v[12:13], v[6:7], 0, 4
	v_mov_b64_e32 v[18:19], s[34:35]
	v_mad_u64_u32 v[16:17], s[30:31], s18, v12, v[18:19]
	v_mul_lo_u32 v1, s18, v13
	v_mul_lo_u32 v8, s19, v12
	v_add3_u32 v17, v8, v17, v1
	v_lshlrev_b32_e32 v8, 2, v0
	v_lshl_add_u64 v[12:13], v[16:17], 0, v[8:9]
	v_lshl_add_u64 v[16:17], s[26:27], 0, v[12:13]
	v_mad_u64_u32 v[12:13], s[30:31], s18, v6, v[18:19]
	v_mul_lo_u32 v1, s18, v7
	v_mul_lo_u32 v6, s19, v6
	v_add3_u32 v13, v6, v13, v1
	v_lshl_add_u64 v[6:7], v[12:13], 0, v[8:9]
	v_lshl_add_u64 v[20:21], s[26:27], 0, v[6:7]
	;; [unrolled: 1-line block ×3, first 2 shown]
	s_mov_b64 s[26:27], 0x80
	v_lshl_add_u64 v[12:13], v[6:7], 0, s[26:27]
	v_mul_lo_u32 v1, s21, v12
	v_mul_lo_u32 v8, s20, v13
	v_mad_u64_u32 v[22:23], s[30:31], s20, v12, 0
	v_lshl_add_u64 v[6:7], v[6:7], 0, 64
	v_add3_u32 v23, v23, v8, v1
	v_mul_lo_u32 v1, s21, v6
	v_mul_lo_u32 v7, s20, v7
	v_mad_u64_u32 v[24:25], s[30:31], s20, v6, 0
	s_lshl_b64 s[12:13], s[20:21], 7
	s_lshl_b64 s[28:29], s[14:15], 7
	s_add_i32 s45, s45, -1
	v_add3_u32 v25, v25, v7, v1
	v_mov_b64_e32 v[6:7], s[38:39]
	v_mov_b32_e32 v8, v9
	v_mov_b32_e32 v18, v9
	;; [unrolled: 1-line block ×3, first 2 shown]
.LBB134_34:                             ; =>This Inner Loop Header: Depth=1
	v_lshl_add_u64 v[12:13], s[22:23], 0, v[24:25]
	flat_load_dword v28, v[12:13]
	s_and_b64 vcc, exec, s[10:11]
	s_mov_b64 s[30:31], -1
                                        ; implicit-def: $vgpr13
                                        ; implicit-def: $vgpr30_vgpr31
	s_cbranch_vccnz .LBB134_38
; %bb.35:                               ;   in Loop: Header=BB134_34 Depth=1
	v_lshl_add_u64 v[12:13], v[20:21], 0, s[24:25]
	v_lshl_add_u64 v[26:27], v[16:17], 0, s[24:25]
	flat_load_dword v12, v[12:13] offset:64
	s_nop 0
	flat_load_dword v13, v[26:27] offset:64
	s_waitcnt vmcnt(0) lgkmcnt(0)
	v_mov_b64_e32 v[30:31], v[12:13]
	s_cbranch_execz .LBB134_39
.LBB134_36:                             ;   in Loop: Header=BB134_34 Depth=1
	ds_read_b64 v[32:33], v36
	s_and_b64 vcc, exec, s[10:11]
	s_mov_b64 s[30:31], -1
                                        ; implicit-def: $vgpr18_vgpr19
	s_cbranch_vccnz .LBB134_46
.LBB134_37:                             ;   in Loop: Header=BB134_34 Depth=1
	v_lshl_add_u64 v[18:19], v[20:21], 0, s[24:25]
	v_lshl_add_u64 v[26:27], v[16:17], 0, s[24:25]
	flat_load_dword v18, v[18:19] offset:128
	s_nop 0
	flat_load_dword v19, v[26:27] offset:128
	s_cbranch_execnz .LBB134_54
	s_branch .LBB134_47
.LBB134_38:                             ;   in Loop: Header=BB134_34 Depth=1
	s_andn2_b64 vcc, exec, s[30:31]
	s_cbranch_vccnz .LBB134_36
.LBB134_39:                             ;   in Loop: Header=BB134_34 Depth=1
                                        ; implicit-def: $vgpr30_vgpr31
	s_and_saveexec_b64 s[30:31], s[6:7]
	s_xor_b64 s[30:31], exec, s[30:31]
	s_cbranch_execz .LBB134_43
; %bb.40:                               ;   in Loop: Header=BB134_34 Depth=1
	v_mov_b64_e32 v[30:31], v[18:19]
	s_and_saveexec_b64 s[34:35], s[4:5]
	s_cbranch_execz .LBB134_42
; %bb.41:                               ;   in Loop: Header=BB134_34 Depth=1
	v_lshl_add_u64 v[12:13], v[20:21], 0, s[24:25]
	flat_load_dword v18, v[12:13] offset:64
	s_waitcnt vmcnt(0) lgkmcnt(0)
	v_mov_b64_e32 v[30:31], v[18:19]
.LBB134_42:                             ;   in Loop: Header=BB134_34 Depth=1
	s_or_b64 exec, exec, s[34:35]
.LBB134_43:                             ;   in Loop: Header=BB134_34 Depth=1
	s_andn2_saveexec_b64 s[30:31], s[30:31]
	s_cbranch_execz .LBB134_45
; %bb.44:                               ;   in Loop: Header=BB134_34 Depth=1
	v_lshl_add_u64 v[12:13], v[20:21], 0, s[24:25]
	flat_load_dword v18, v[12:13] offset:64
	v_lshl_add_u64 v[12:13], v[16:17], 0, s[24:25]
	flat_load_dword v19, v[12:13] offset:64
	s_waitcnt vmcnt(0) lgkmcnt(0)
	v_mov_b64_e32 v[30:31], v[18:19]
.LBB134_45:                             ;   in Loop: Header=BB134_34 Depth=1
	s_or_b64 exec, exec, s[30:31]
	v_mov_b32_e32 v12, v18
	v_mov_b32_e32 v13, v19
	ds_read_b64 v[32:33], v36
	s_and_b64 vcc, exec, s[10:11]
	s_mov_b64 s[30:31], -1
                                        ; implicit-def: $vgpr18_vgpr19
	s_cbranch_vccz .LBB134_37
.LBB134_46:                             ;   in Loop: Header=BB134_34 Depth=1
	s_andn2_b64 vcc, exec, s[30:31]
	s_cbranch_vccnz .LBB134_54
.LBB134_47:                             ;   in Loop: Header=BB134_34 Depth=1
                                        ; implicit-def: $vgpr18_vgpr19
	s_and_saveexec_b64 s[30:31], s[6:7]
	s_xor_b64 s[30:31], exec, s[30:31]
	s_cbranch_execz .LBB134_51
; %bb.48:                               ;   in Loop: Header=BB134_34 Depth=1
	s_waitcnt vmcnt(0) lgkmcnt(0)
	v_mov_b64_e32 v[18:19], v[10:11]
	s_and_saveexec_b64 s[34:35], s[4:5]
	s_cbranch_execz .LBB134_50
; %bb.49:                               ;   in Loop: Header=BB134_34 Depth=1
	v_lshl_add_u64 v[18:19], v[20:21], 0, s[24:25]
	flat_load_dword v18, v[18:19] offset:128
	v_mov_b32_e32 v19, v11
.LBB134_50:                             ;   in Loop: Header=BB134_34 Depth=1
	s_or_b64 exec, exec, s[34:35]
.LBB134_51:                             ;   in Loop: Header=BB134_34 Depth=1
	s_andn2_saveexec_b64 s[30:31], s[30:31]
	s_cbranch_execz .LBB134_53
; %bb.52:                               ;   in Loop: Header=BB134_34 Depth=1
	s_waitcnt vmcnt(0) lgkmcnt(0)
	v_lshl_add_u64 v[18:19], v[20:21], 0, s[24:25]
	v_lshl_add_u64 v[26:27], v[16:17], 0, s[24:25]
	flat_load_dword v18, v[18:19] offset:128
	s_nop 0
	flat_load_dword v19, v[26:27] offset:128
.LBB134_53:                             ;   in Loop: Header=BB134_34 Depth=1
	s_or_b64 exec, exec, s[30:31]
.LBB134_54:                             ;   in Loop: Header=BB134_34 Depth=1
	v_lshl_add_u64 v[26:27], s[22:23], 0, v[22:23]
	flat_load_dword v26, v[26:27]
	s_waitcnt vmcnt(0) lgkmcnt(0)
	v_fma_f32 v1, v10, v32, 0
	v_fma_f32 v27, v12, v32, 0
	v_fmac_f32_e32 v1, v11, v33
	v_fmac_f32_e32 v27, v13, v33
	v_add_u32_e32 v32, v35, v29
	s_barrier
	ds_write2_b32 v32, v1, v27 offset1:16
	s_waitcnt lgkmcnt(0)
	s_barrier
	s_and_saveexec_b64 s[30:31], s[8:9]
	s_cbranch_execz .LBB134_56
; %bb.55:                               ;   in Loop: Header=BB134_34 Depth=1
	ds_read2_b32 v[32:33], v34 offset1:32
	ds_read2_b32 v[38:39], v34 offset0:64 offset1:96
	ds_read2_b32 v[40:41], v34 offset0:128 offset1:160
	ds_read2_b32 v[42:43], v34 offset0:192 offset1:224
	v_add_u32_e32 v1, 0x400, v34
	s_waitcnt lgkmcnt(3)
	v_add_f32_e32 v27, 0, v32
	v_add_f32_e32 v27, v27, v33
	s_waitcnt lgkmcnt(2)
	v_add_f32_e32 v27, v27, v38
	v_add_f32_e32 v27, v27, v39
	ds_read2_b32 v[32:33], v1 offset1:32
	s_waitcnt lgkmcnt(2)
	v_add_f32_e32 v27, v27, v40
	v_add_f32_e32 v27, v27, v41
	ds_read2_b32 v[38:39], v1 offset0:64 offset1:96
	s_waitcnt lgkmcnt(2)
	v_add_f32_e32 v27, v27, v42
	v_add_f32_e32 v27, v27, v43
	ds_read2_b32 v[40:41], v1 offset0:128 offset1:160
	;; [unrolled: 4-line block ×3, first 2 shown]
	s_waitcnt lgkmcnt(2)
	v_add_f32_e32 v1, v27, v38
	v_add_f32_e32 v1, v1, v39
	s_waitcnt lgkmcnt(1)
	v_add_f32_e32 v1, v1, v40
	v_add_f32_e32 v1, v1, v41
	;; [unrolled: 3-line block ×3, first 2 shown]
	v_lshl_add_u64 v[32:33], v[4:5], 2, v[6:7]
	v_mul_f32_e32 v1, s33, v1
	flat_atomic_add_f32 v[32:33], v1
	v_lshl_add_u64 v[6:7], v[6:7], 0, s[28:29]
.LBB134_56:                             ;   in Loop: Header=BB134_34 Depth=1
	s_or_b64 exec, exec, s[30:31]
	s_add_i32 s45, s45, -1
	s_add_u32 s43, s43, 0x80
	s_addc_u32 s44, s44, 0
	s_add_u32 s22, s22, s12
	s_addc_u32 s23, s23, s13
	;; [unrolled: 2-line block ×3, first 2 shown]
	s_add_u32 s30, s43, s24
	v_pk_fma_f32 v[8:9], v[14:15], v[10:11], v[8:9] op_sel_hi:[0,1,1]
	s_addc_u32 s31, s44, s25
	v_pk_fma_f32 v[8:9], v[28:29], v[30:31], v[8:9] op_sel_hi:[0,1,1]
	v_lshl_add_u64 v[16:17], v[16:17], 0, s[26:27]
	s_cmp_eq_u32 s45, 0
	v_lshl_add_u64 v[20:21], v[20:21], 0, s[26:27]
	s_cbranch_scc1 .LBB134_59
; %bb.57:                               ;   in Loop: Header=BB134_34 Depth=1
	v_mov_b32_e32 v14, v26
	v_mov_b64_e32 v[10:11], v[18:19]
	v_mov_b32_e32 v18, v12
	v_mov_b32_e32 v19, v13
	s_branch .LBB134_34
.LBB134_58:
	v_mov_b64_e32 v[6:7], s[38:39]
	v_mov_b32_e32 v12, v13
	v_mov_b32_e32 v9, v13
	v_mov_b32_e32 v8, v13
	s_waitcnt vmcnt(0)
	v_mov_b64_e32 v[18:19], v[10:11]
	s_waitcnt lgkmcnt(0)
	v_mov_b32_e32 v26, v14
.LBB134_59:
	v_or_b32_e32 v1, 16, v0
	v_mad_u64_u32 v[10:11], s[0:1], s20, v1, 0
	v_mov_b32_e32 v14, v11
	v_mad_u64_u32 v[16:17], s[0:1], s21, v1, v[14:15]
	v_mov_b32_e32 v11, v16
	v_lshl_add_u64 v[10:11], v[10:11], 2, s[36:37]
	flat_load_dword v27, v[10:11]
	s_and_b64 vcc, exec, s[10:11]
	s_cbranch_vccnz .LBB134_61
; %bb.60:
	v_lshl_add_u64 v[10:11], v[2:3], 2, s[30:31]
	v_lshl_add_u64 v[16:17], s[18:19], 2, v[10:11]
	flat_load_dword v1, v[16:17] offset:64
	flat_load_dword v14, v[10:11] offset:64
	s_waitcnt vmcnt(0) lgkmcnt(0)
	v_mov_b64_e32 v[10:11], v[0:1]
	s_cbranch_execz .LBB134_62
	s_branch .LBB134_69
.LBB134_61:
                                        ; implicit-def: $vgpr1
                                        ; implicit-def: $vgpr14
                                        ; implicit-def: $vgpr10_vgpr11
.LBB134_62:
                                        ; implicit-def: $vgpr10_vgpr11
	s_and_saveexec_b64 s[0:1], s[6:7]
	s_xor_b64 s[0:1], exec, s[0:1]
	s_cbranch_execz .LBB134_66
; %bb.63:
	v_mov_b64_e32 v[10:11], v[12:13]
	s_and_saveexec_b64 s[6:7], s[4:5]
	s_cbranch_execz .LBB134_65
; %bb.64:
	v_lshl_add_u64 v[2:3], v[2:3], 2, s[30:31]
	flat_load_dword v12, v[2:3] offset:64
	s_waitcnt vmcnt(0) lgkmcnt(0)
	v_mov_b64_e32 v[10:11], v[12:13]
.LBB134_65:
	s_or_b64 exec, exec, s[6:7]
                                        ; implicit-def: $vgpr2_vgpr3
.LBB134_66:
	s_andn2_saveexec_b64 s[0:1], s[0:1]
	s_cbranch_execz .LBB134_68
; %bb.67:
	v_lshl_add_u64 v[2:3], v[2:3], 2, s[30:31]
	v_lshl_add_u64 v[10:11], s[18:19], 2, v[2:3]
	flat_load_dword v12, v[2:3] offset:64
	flat_load_dword v13, v[10:11] offset:64
	s_waitcnt vmcnt(0) lgkmcnt(0)
	v_mov_b64_e32 v[10:11], v[12:13]
.LBB134_68:
	s_or_b64 exec, exec, s[0:1]
	v_mov_b32_e32 v14, v12
	v_mov_b32_e32 v1, v13
.LBB134_69:
	ds_read_b64 v[2:3], v36
	v_mul_f32_e32 v12, v26, v18
	s_waitcnt vmcnt(0) lgkmcnt(0)
	v_mul_f32_e32 v16, v27, v14
	v_mov_b32_e32 v10, v19
	v_fma_f32 v18, v18, v2, 0
	v_fma_f32 v14, v14, v2, 0
	v_fmac_f32_e32 v18, v19, v3
	v_fmac_f32_e32 v14, v1, v3
	v_pk_mul_f32 v[2:3], v[26:27], v[10:11]
	v_add_u32_e32 v1, v35, v29
	v_mov_b32_e32 v13, v2
	v_pk_add_f32 v[8:9], v[8:9], v[12:13]
	v_mov_b32_e32 v17, v3
	v_pk_add_f32 v[8:9], v[8:9], v[16:17]
	s_barrier
	ds_write2_b32 v1, v18, v14 offset1:16
	s_waitcnt lgkmcnt(0)
	s_barrier
	s_and_saveexec_b64 s[0:1], s[8:9]
	s_cbranch_execz .LBB134_71
; %bb.70:
	ds_read2_b32 v[2:3], v34 offset1:32
	ds_read2_b32 v[10:11], v34 offset0:64 offset1:96
	ds_read2_b32 v[12:13], v34 offset0:128 offset1:160
	;; [unrolled: 1-line block ×3, first 2 shown]
	v_add_u32_e32 v1, 0x400, v34
	s_waitcnt lgkmcnt(3)
	v_add_f32_e32 v2, 0, v2
	v_add_f32_e32 v2, v2, v3
	s_waitcnt lgkmcnt(2)
	v_add_f32_e32 v2, v2, v10
	v_add_f32_e32 v2, v2, v11
	s_waitcnt lgkmcnt(1)
	v_add_f32_e32 v10, v2, v12
	ds_read2_b32 v[2:3], v1 offset1:32
	v_add_f32_e32 v10, v10, v13
	s_waitcnt lgkmcnt(1)
	v_add_f32_e32 v10, v10, v16
	v_add_f32_e32 v12, v10, v17
	ds_read2_b32 v[10:11], v1 offset0:64 offset1:96
	s_waitcnt lgkmcnt(1)
	v_add_f32_e32 v2, v12, v2
	ds_read2_b32 v[12:13], v1 offset0:128 offset1:160
	v_add_f32_e32 v14, v2, v3
	ds_read2_b32 v[2:3], v1 offset0:192 offset1:224
	s_waitcnt lgkmcnt(2)
	v_add_f32_e32 v1, v14, v10
	v_add_f32_e32 v1, v1, v11
	s_waitcnt lgkmcnt(1)
	v_add_f32_e32 v1, v1, v12
	v_add_f32_e32 v1, v1, v13
	;; [unrolled: 3-line block ×3, first 2 shown]
	v_lshl_add_u64 v[2:3], v[4:5], 2, v[6:7]
	v_mul_f32_e32 v1, s33, v1
	flat_atomic_add_f32 v[2:3], v1
.LBB134_71:
	s_or_b64 exec, exec, s[0:1]
	v_mov_b32_e32 v1, v29
.LBB134_72:
	v_lshl_add_u32 v1, v0, 2, v1
	v_add_u32_e32 v1, 0x800, v1
	ds_write2_b32 v1, v8, v9 offset1:16
	s_waitcnt lgkmcnt(0)
	s_barrier
	s_and_saveexec_b64 s[0:1], s[8:9]
	s_cbranch_execz .LBB134_75
; %bb.73:
	s_cmp_lt_u32 s2, s40
	v_cmp_gt_i32_e32 vcc, s41, v15
	s_cselect_b64 s[0:1], -1, 0
	s_or_b64 s[0:1], vcc, s[0:1]
	s_and_b64 exec, exec, s[0:1]
	s_cbranch_execz .LBB134_75
; %bb.74:
	v_mov_b32_e32 v1, 0x800
	v_add_u32_e32 v3, 1, v15
	v_add_u32_e32 v4, 2, v15
	;; [unrolled: 1-line block ×7, first 2 shown]
	v_lshl_add_u32 v1, v15, 6, v1
	v_and_b32_e32 v3, 15, v3
	v_and_b32_e32 v4, 15, v4
	;; [unrolled: 1-line block ×7, first 2 shown]
	v_lshl_or_b32 v2, v0, 2, v1
	v_lshl_or_b32 v3, v3, 2, v1
	;; [unrolled: 1-line block ×8, first 2 shown]
	ds_read_b32 v2, v2
	ds_read_b32 v3, v3
	;; [unrolled: 1-line block ×8, first 2 shown]
	s_waitcnt lgkmcnt(0)
	v_add_f32_e32 v2, 0, v2
	v_add_f32_e32 v2, v2, v3
	;; [unrolled: 1-line block ×8, first 2 shown]
	v_add_u32_e32 v3, 9, v15
	v_add_u32_e32 v4, 10, v15
	;; [unrolled: 1-line block ×6, first 2 shown]
	v_add_u32_e32 v9, -1, v15
	v_xor_b32_e32 v0, 8, v0
	v_and_b32_e32 v3, 15, v3
	v_and_b32_e32 v4, 15, v4
	;; [unrolled: 1-line block ×7, first 2 shown]
	v_lshl_or_b32 v0, v0, 2, v1
	v_lshl_or_b32 v3, v3, 2, v1
	;; [unrolled: 1-line block ×8, first 2 shown]
	ds_read_b32 v0, v0
	ds_read_b32 v3, v3
	ds_read_b32 v4, v4
	ds_read_b32 v5, v5
	ds_read_b32 v6, v6
	ds_read_b32 v7, v7
	ds_read_b32 v8, v8
	ds_read_b32 v1, v1
	s_waitcnt lgkmcnt(0)
	v_add_f32_e32 v0, v2, v0
	v_add_f32_e32 v0, v0, v3
	;; [unrolled: 1-line block ×3, first 2 shown]
	s_mul_i32 s0, s14, s17
	s_mul_hi_u32 s1, s14, s16
	v_add_f32_e32 v0, v0, v5
	s_add_i32 s0, s1, s0
	s_mul_i32 s1, s15, s16
	v_add_f32_e32 v0, v0, v6
	s_add_i32 s1, s0, s1
	s_mul_i32 s0, s14, s16
	v_add_f32_e32 v0, v0, v7
	s_lshl_b64 s[0:1], s[0:1], 2
	v_add_f32_e32 v0, v0, v8
	s_add_u32 s0, s3, s0
	v_add_f32_e32 v4, v0, v1
	v_mad_u64_u32 v[0:1], s[2:3], s14, v15, 0
	v_mov_b32_e32 v2, v1
	v_mad_u64_u32 v[2:3], s[2:3], s15, v15, v[2:3]
	s_addc_u32 s1, s42, s1
	v_mov_b32_e32 v1, v2
	v_lshl_add_u64 v[0:1], v[0:1], 2, s[0:1]
	v_mul_f32_e32 v2, s33, v4
	flat_atomic_add_f32 v[0:1], v2
.LBB134_75:
	s_endpgm
	.section	.rodata,"a",@progbits
	.p2align	6, 0x0
	.amdhsa_kernel _ZL62rocblas_symv_kernel_upper_double_buffered_non_diagonal_genericILi32ELi8ELi2ELi1E24rocblas_internal_val_ptrIfEPKPKfPKPfEvbiT3_lT4_lllSA_lllT5_lllii
		.amdhsa_group_segment_fixed_size 4224
		.amdhsa_private_segment_fixed_size 0
		.amdhsa_kernarg_size 384
		.amdhsa_user_sgpr_count 2
		.amdhsa_user_sgpr_dispatch_ptr 0
		.amdhsa_user_sgpr_queue_ptr 0
		.amdhsa_user_sgpr_kernarg_segment_ptr 1
		.amdhsa_user_sgpr_dispatch_id 0
		.amdhsa_user_sgpr_kernarg_preload_length 0
		.amdhsa_user_sgpr_kernarg_preload_offset 0
		.amdhsa_user_sgpr_private_segment_size 0
		.amdhsa_uses_dynamic_stack 0
		.amdhsa_enable_private_segment 0
		.amdhsa_system_sgpr_workgroup_id_x 1
		.amdhsa_system_sgpr_workgroup_id_y 1
		.amdhsa_system_sgpr_workgroup_id_z 1
		.amdhsa_system_sgpr_workgroup_info 0
		.amdhsa_system_vgpr_workitem_id 1
		.amdhsa_next_free_vgpr 44
		.amdhsa_next_free_sgpr 47
		.amdhsa_accum_offset 44
		.amdhsa_reserve_vcc 1
		.amdhsa_float_round_mode_32 0
		.amdhsa_float_round_mode_16_64 0
		.amdhsa_float_denorm_mode_32 3
		.amdhsa_float_denorm_mode_16_64 3
		.amdhsa_dx10_clamp 1
		.amdhsa_ieee_mode 1
		.amdhsa_fp16_overflow 0
		.amdhsa_tg_split 0
		.amdhsa_exception_fp_ieee_invalid_op 0
		.amdhsa_exception_fp_denorm_src 0
		.amdhsa_exception_fp_ieee_div_zero 0
		.amdhsa_exception_fp_ieee_overflow 0
		.amdhsa_exception_fp_ieee_underflow 0
		.amdhsa_exception_fp_ieee_inexact 0
		.amdhsa_exception_int_div_zero 0
	.end_amdhsa_kernel
	.section	.text._ZL62rocblas_symv_kernel_upper_double_buffered_non_diagonal_genericILi32ELi8ELi2ELi1E24rocblas_internal_val_ptrIfEPKPKfPKPfEvbiT3_lT4_lllSA_lllT5_lllii,"axG",@progbits,_ZL62rocblas_symv_kernel_upper_double_buffered_non_diagonal_genericILi32ELi8ELi2ELi1E24rocblas_internal_val_ptrIfEPKPKfPKPfEvbiT3_lT4_lllSA_lllT5_lllii,comdat
.Lfunc_end134:
	.size	_ZL62rocblas_symv_kernel_upper_double_buffered_non_diagonal_genericILi32ELi8ELi2ELi1E24rocblas_internal_val_ptrIfEPKPKfPKPfEvbiT3_lT4_lllSA_lllT5_lllii, .Lfunc_end134-_ZL62rocblas_symv_kernel_upper_double_buffered_non_diagonal_genericILi32ELi8ELi2ELi1E24rocblas_internal_val_ptrIfEPKPKfPKPfEvbiT3_lT4_lllSA_lllT5_lllii
                                        ; -- End function
	.set _ZL62rocblas_symv_kernel_upper_double_buffered_non_diagonal_genericILi32ELi8ELi2ELi1E24rocblas_internal_val_ptrIfEPKPKfPKPfEvbiT3_lT4_lllSA_lllT5_lllii.num_vgpr, 44
	.set _ZL62rocblas_symv_kernel_upper_double_buffered_non_diagonal_genericILi32ELi8ELi2ELi1E24rocblas_internal_val_ptrIfEPKPKfPKPfEvbiT3_lT4_lllSA_lllT5_lllii.num_agpr, 0
	.set _ZL62rocblas_symv_kernel_upper_double_buffered_non_diagonal_genericILi32ELi8ELi2ELi1E24rocblas_internal_val_ptrIfEPKPKfPKPfEvbiT3_lT4_lllSA_lllT5_lllii.numbered_sgpr, 47
	.set _ZL62rocblas_symv_kernel_upper_double_buffered_non_diagonal_genericILi32ELi8ELi2ELi1E24rocblas_internal_val_ptrIfEPKPKfPKPfEvbiT3_lT4_lllSA_lllT5_lllii.num_named_barrier, 0
	.set _ZL62rocblas_symv_kernel_upper_double_buffered_non_diagonal_genericILi32ELi8ELi2ELi1E24rocblas_internal_val_ptrIfEPKPKfPKPfEvbiT3_lT4_lllSA_lllT5_lllii.private_seg_size, 0
	.set _ZL62rocblas_symv_kernel_upper_double_buffered_non_diagonal_genericILi32ELi8ELi2ELi1E24rocblas_internal_val_ptrIfEPKPKfPKPfEvbiT3_lT4_lllSA_lllT5_lllii.uses_vcc, 1
	.set _ZL62rocblas_symv_kernel_upper_double_buffered_non_diagonal_genericILi32ELi8ELi2ELi1E24rocblas_internal_val_ptrIfEPKPKfPKPfEvbiT3_lT4_lllSA_lllT5_lllii.uses_flat_scratch, 0
	.set _ZL62rocblas_symv_kernel_upper_double_buffered_non_diagonal_genericILi32ELi8ELi2ELi1E24rocblas_internal_val_ptrIfEPKPKfPKPfEvbiT3_lT4_lllSA_lllT5_lllii.has_dyn_sized_stack, 0
	.set _ZL62rocblas_symv_kernel_upper_double_buffered_non_diagonal_genericILi32ELi8ELi2ELi1E24rocblas_internal_val_ptrIfEPKPKfPKPfEvbiT3_lT4_lllSA_lllT5_lllii.has_recursion, 0
	.set _ZL62rocblas_symv_kernel_upper_double_buffered_non_diagonal_genericILi32ELi8ELi2ELi1E24rocblas_internal_val_ptrIfEPKPKfPKPfEvbiT3_lT4_lllSA_lllT5_lllii.has_indirect_call, 0
	.section	.AMDGPU.csdata,"",@progbits
; Kernel info:
; codeLenInByte = 3468
; TotalNumSgprs: 53
; NumVgprs: 44
; NumAgprs: 0
; TotalNumVgprs: 44
; ScratchSize: 0
; MemoryBound: 0
; FloatMode: 240
; IeeeMode: 1
; LDSByteSize: 4224 bytes/workgroup (compile time only)
; SGPRBlocks: 6
; VGPRBlocks: 5
; NumSGPRsForWavesPerEU: 53
; NumVGPRsForWavesPerEU: 44
; AccumOffset: 44
; Occupancy: 8
; WaveLimiterHint : 1
; COMPUTE_PGM_RSRC2:SCRATCH_EN: 0
; COMPUTE_PGM_RSRC2:USER_SGPR: 2
; COMPUTE_PGM_RSRC2:TRAP_HANDLER: 0
; COMPUTE_PGM_RSRC2:TGID_X_EN: 1
; COMPUTE_PGM_RSRC2:TGID_Y_EN: 1
; COMPUTE_PGM_RSRC2:TGID_Z_EN: 1
; COMPUTE_PGM_RSRC2:TIDIG_COMP_CNT: 1
; COMPUTE_PGM_RSRC3_GFX90A:ACCUM_OFFSET: 10
; COMPUTE_PGM_RSRC3_GFX90A:TG_SPLIT: 0
	.section	.text._ZL26rocblas_hemvn_kernel_upperILb0ELi64ELi4ELi33ELi32ELi16ElPKfPKS1_PfEviT6_lT7_lT5_lS6_lS7_lS5_lT8_i,"axG",@progbits,_ZL26rocblas_hemvn_kernel_upperILb0ELi64ELi4ELi33ELi32ELi16ElPKfPKS1_PfEviT6_lT7_lT5_lS6_lS7_lS5_lT8_i,comdat
	.globl	_ZL26rocblas_hemvn_kernel_upperILb0ELi64ELi4ELi33ELi32ELi16ElPKfPKS1_PfEviT6_lT7_lT5_lS6_lS7_lS5_lT8_i ; -- Begin function _ZL26rocblas_hemvn_kernel_upperILb0ELi64ELi4ELi33ELi32ELi16ElPKfPKS1_PfEviT6_lT7_lT5_lS6_lS7_lS5_lT8_i
	.p2align	8
	.type	_ZL26rocblas_hemvn_kernel_upperILb0ELi64ELi4ELi33ELi32ELi16ElPKfPKS1_PfEviT6_lT7_lT5_lS6_lS7_lS5_lT8_i,@function
_ZL26rocblas_hemvn_kernel_upperILb0ELi64ELi4ELi33ELi32ELi16ElPKfPKS1_PfEviT6_lT7_lT5_lS6_lS7_lS5_lT8_i: ; @_ZL26rocblas_hemvn_kernel_upperILb0ELi64ELi4ELi33ELi32ELi16ElPKfPKS1_PfEviT6_lT7_lT5_lS6_lS7_lS5_lT8_i
; %bb.0:
	s_load_dwordx2 s[4:5], s[0:1], 0x84
	s_add_u32 s12, s0, 0x78
	s_mov_b32 s26, s3
	s_addc_u32 s13, s1, 0
	s_waitcnt lgkmcnt(0)
	s_and_b32 s3, s5, 0xffff
	s_lshr_b32 s5, s4, 16
	s_and_b32 s4, s4, 0xffff
	s_mul_i32 s4, s5, s4
	s_mul_i32 s4, s4, s3
	s_cmpk_lg_i32 s4, 0x100
	s_cbranch_scc1 .LBB135_4
; %bb.1:
	s_load_dwordx8 s[4:11], s[0:1], 0x8
	s_load_dwordx4 s[16:19], s[0:1], 0x58
	s_waitcnt lgkmcnt(0)
	s_mul_i32 s3, s7, s26
	s_mul_hi_u32 s7, s6, s26
	s_mul_i32 s6, s6, s26
	s_add_i32 s7, s7, s3
	s_lshl_b64 s[6:7], s[6:7], 2
	s_add_u32 s4, s4, s6
	s_addc_u32 s5, s5, s7
	s_mul_i32 s14, s19, s26
	s_load_dword s3, s[4:5], 0x0
	s_mul_hi_u32 s4, s18, s26
	s_add_i32 s5, s4, s14
	s_mul_i32 s4, s18, s26
	s_lshl_b64 s[4:5], s[4:5], 2
	s_add_u32 s4, s16, s4
	s_addc_u32 s5, s17, s5
	s_load_dword s6, s[4:5], 0x0
	s_waitcnt lgkmcnt(0)
	v_cmp_eq_f32_e64 s[4:5], s3, 0
	v_cmp_eq_f32_e64 s[6:7], s6, 1.0
	s_and_b64 s[6:7], s[4:5], s[6:7]
	s_and_b64 vcc, exec, s[6:7]
	s_cbranch_vccnz .LBB135_4
; %bb.2:
	s_and_b64 vcc, exec, s[4:5]
	s_cbranch_vccz .LBB135_5
; %bb.3:
	s_cbranch_execz .LBB135_6
.LBB135_4:
	s_endpgm
.LBB135_5:
.LBB135_6:
	s_mov_b32 s27, 0
	s_load_dword s3, s[12:13], 0x0
	s_load_dwordx4 s[4:7], s[0:1], 0x38
	s_load_dwordx2 s[16:17], s[0:1], 0x48
	s_lshl_b64 s[12:13], s[26:27], 3
	s_add_u32 s8, s8, s12
	s_addc_u32 s9, s9, s13
	s_waitcnt lgkmcnt(0)
	s_add_u32 s12, s4, s12
	s_addc_u32 s13, s5, s13
	s_load_dwordx2 s[14:15], s[12:13], 0x0
	s_load_dwordx2 s[22:23], s[0:1], 0x28
	s_load_dword s33, s[0:1], 0x0
	s_load_dwordx2 s[4:5], s[8:9], 0x0
	s_load_dwordx2 s[28:29], s[0:1], 0x68
	s_lshl_b64 s[0:1], s[6:7], 2
	s_waitcnt lgkmcnt(0)
	s_add_u32 s0, s14, s0
	s_addc_u32 s1, s15, s1
	s_ashr_i32 s38, s33, 31
	s_lshr_b32 s7, s38, 26
	v_and_b32_e32 v64, 0x3ff, v0
	s_lshl_b32 s24, s2, 6
	s_add_i32 s7, s33, s7
	s_andn2_b32 s7, s7, 63
	v_add_u32_e32 v16, s24, v64
	s_add_i32 s6, s3, -1
	s_sub_i32 s27, s33, s7
	v_ashrrev_i32_e32 v17, 31, v16
	v_bfe_u32 v65, v0, 10, 10
	s_cmp_eq_u32 s2, s6
	v_mul_lo_u32 v2, s16, v17
	v_mul_lo_u32 v3, s17, v16
	v_mad_u64_u32 v[0:1], s[6:7], s16, v16, 0
	v_add3_u32 v1, v1, v2, v3
	s_cselect_b32 s18, s27, 0
	v_lshl_add_u64 v[4:5], v[0:1], 2, s[0:1]
	v_cmp_eq_u32_e64 s[0:1], 0, v65
	s_and_saveexec_b64 s[6:7], s[0:1]
	s_cbranch_execz .LBB135_10
; %bb.7:
	s_cmp_eq_u32 s18, 0
	s_cselect_b64 s[8:9], -1, 0
	v_cmp_gt_i32_e32 vcc, s18, v64
	s_or_b64 s[12:13], s[8:9], vcc
	v_mov_b32_e32 v0, 0
	s_and_saveexec_b64 s[8:9], s[12:13]
	s_cbranch_execz .LBB135_9
; %bb.8:
	flat_load_dword v0, v[4:5]
.LBB135_9:
	s_or_b64 exec, exec, s[8:9]
	v_lshlrev_b32_e32 v1, 2, v64
	s_waitcnt vmcnt(0) lgkmcnt(0)
	ds_write_b32 v1, v0 offset:4544
.LBB135_10:
	s_or_b64 exec, exec, s[6:7]
	s_lshl_b64 s[6:7], s[10:11], 2
	s_add_u32 s6, s4, s6
	s_addc_u32 s7, s5, s7
	s_ashr_i32 s25, s24, 31
	v_lshl_add_u32 v14, v65, 6, v64
	s_lshl_b64 s[4:5], s[24:25], 2
	v_and_b32_e32 v2, 31, v64
	v_lshrrev_b32_e32 v15, 5, v14
	s_add_u32 s4, s6, s4
	v_mov_b32_e32 v3, 0
	s_addc_u32 s5, s7, s5
	v_mad_u64_u32 v[6:7], s[6:7], s22, v15, v[2:3]
	v_mov_b32_e32 v0, v7
	v_mad_u64_u32 v[0:1], s[6:7], s23, v15, v[0:1]
	v_mov_b32_e32 v7, v0
	v_lshl_add_u64 v[0:1], v[6:7], 2, s[4:5]
	s_mul_hi_u32 s4, s22, s24
	s_mul_i32 s5, s22, s25
	s_add_i32 s4, s4, s5
	s_mul_i32 s5, s23, s24
	s_add_i32 s5, s4, s5
	s_cmp_eq_u32 s18, 0
	s_cselect_b64 s[20:21], -1, 0
	s_cmp_lg_u32 s18, 0
	s_mul_i32 s4, s22, s24
	s_cselect_b64 s[34:35], -1, 0
	v_lshl_add_u64 v[10:11], s[4:5], 2, v[0:1]
	s_and_b64 vcc, exec, s[34:35]
	v_cmp_gt_i32_e64 s[4:5], s18, v2
	v_lshlrev_b32_e32 v0, 2, v2
	s_cbranch_vccz .LBB135_20
; %bb.11:
	v_sub_co_u32_e32 v8, vcc, v10, v0
	s_ashr_i32 s19, s18, 31
	s_nop 0
	v_subbrev_co_u32_e32 v9, vcc, 0, v11, vcc
	v_lshl_add_u64 v[8:9], s[18:19], 2, v[8:9]
	v_lshl_add_u64 v[8:9], v[8:9], 0, -4
	v_cndmask_b32_e64 v9, v9, v11, s[4:5]
	v_cndmask_b32_e64 v8, v8, v10, s[4:5]
	v_cmp_gt_i32_e32 vcc, s18, v15
	s_and_saveexec_b64 s[6:7], vcc
	s_cbranch_execz .LBB135_13
; %bb.12:
	flat_load_dword v3, v[8:9]
.LBB135_13:
	s_or_b64 exec, exec, s[6:7]
	v_lshlrev_b32_e32 v1, 2, v2
	s_movk_i32 s6, 0x84
	v_mad_u32_u24 v13, v15, s6, v1
	s_waitcnt vmcnt(0) lgkmcnt(0)
	ds_write_b32 v13, v3
	v_add_u32_e32 v3, 8, v15
	v_mul_u32_u24_e32 v12, 0x84, v15
	v_cmp_gt_i32_e32 vcc, s18, v3
	v_mov_b32_e32 v13, 0
	v_mov_b32_e32 v18, 0
	s_and_saveexec_b64 s[6:7], vcc
	s_cbranch_execz .LBB135_15
; %bb.14:
	s_lshl_b64 s[8:9], s[22:23], 5
	v_lshl_add_u64 v[18:19], v[8:9], 0, s[8:9]
	flat_load_dword v18, v[18:19]
.LBB135_15:
	s_or_b64 exec, exec, s[6:7]
	v_add_u32_e32 v3, v12, v1
	v_add_u32_e32 v1, 16, v15
	v_cmp_gt_i32_e32 vcc, s18, v1
	s_waitcnt vmcnt(0) lgkmcnt(0)
	ds_write_b32 v3, v18 offset:1056
	s_and_saveexec_b64 s[6:7], vcc
	s_cbranch_execz .LBB135_17
; %bb.16:
	s_lshl_b64 s[8:9], s[22:23], 6
	v_lshl_add_u64 v[12:13], v[8:9], 0, s[8:9]
	flat_load_dword v13, v[12:13]
.LBB135_17:
	s_or_b64 exec, exec, s[6:7]
	v_add_u32_e32 v1, 24, v15
	v_cmp_gt_i32_e32 vcc, s18, v1
	v_mov_b32_e32 v1, 0
	v_mov_b32_e32 v12, 0
	s_waitcnt vmcnt(0) lgkmcnt(0)
	ds_write_b32 v3, v13 offset:2112
	s_and_saveexec_b64 s[6:7], vcc
	s_cbranch_execz .LBB135_19
; %bb.18:
	v_mov_b32_e32 v12, 0x60
	v_mad_u64_u32 v[12:13], s[8:9], s22, v12, v[8:9]
	s_mul_i32 s8, s23, 0x60
	s_nop 0
	v_add_u32_e32 v13, s8, v13
	flat_load_dword v12, v[12:13]
.LBB135_19:
	s_or_b64 exec, exec, s[6:7]
	v_lshl_add_u64 v[8:9], v[8:9], 0, v[0:1]
	s_lshl_b64 s[6:7], s[18:19], 2
	v_mov_b32_e32 v1, s7
	v_subrev_co_u32_e32 v8, vcc, s6, v8
	s_waitcnt vmcnt(0) lgkmcnt(0)
	ds_write_b32 v3, v12 offset:3168
	v_subb_co_u32_e32 v9, vcc, v9, v1, vcc
	v_lshl_add_u64 v[8:9], v[8:9], 0, 4
	v_cndmask_b32_e64 v9, v9, v11, s[4:5]
	v_cndmask_b32_e64 v8, v8, v10, s[4:5]
	s_branch .LBB135_22
.LBB135_20:
                                        ; implicit-def: $vgpr8_vgpr9
	s_cbranch_execz .LBB135_22
; %bb.21:
	s_lshl_b64 s[4:5], s[22:23], 5
	v_lshl_add_u64 v[8:9], v[10:11], 0, s[4:5]
	v_lshl_add_u64 v[12:13], v[8:9], 0, s[4:5]
	;; [unrolled: 1-line block ×3, first 2 shown]
	flat_load_dword v1, v[10:11]
	flat_load_dword v3, v[8:9]
	;; [unrolled: 1-line block ×4, first 2 shown]
	v_mul_u32_u24_e32 v8, 0x84, v15
	v_lshl_add_u32 v8, v2, 2, v8
	s_waitcnt vmcnt(0) lgkmcnt(0)
	ds_write_b32 v8, v1
	ds_write_b32 v8, v3 offset:1056
	ds_write_b32 v8, v20 offset:2112
	;; [unrolled: 1-line block ×3, first 2 shown]
	v_mov_b64_e32 v[8:9], v[10:11]
.LBB135_22:
	v_lshlrev_b32_e32 v20, 2, v2
	v_lshlrev_b32_e32 v18, 2, v15
	v_lshl_or_b32 v1, v2, 7, v20
	v_cmp_gt_u32_e64 s[4:5], v18, v2
	v_lshl_add_u32 v10, v18, 2, v1
	s_waitcnt lgkmcnt(0)
	s_barrier
	s_and_saveexec_b64 s[6:7], s[4:5]
	s_cbranch_execz .LBB135_24
; %bb.23:
	s_movk_i32 s8, 0x210
	v_mad_u32_u24 v3, v15, s8, v20
	ds_read_b32 v3, v3
	s_waitcnt lgkmcnt(0)
	ds_write_b32 v10, v3
.LBB135_24:
	s_or_b64 exec, exec, s[6:7]
	v_or_b32_e32 v3, 1, v18
	v_cmp_ge_u32_e64 s[6:7], v18, v2
	s_and_saveexec_b64 s[8:9], s[6:7]
	s_cbranch_execz .LBB135_26
; %bb.25:
	s_movk_i32 s10, 0x84
	v_mad_u32_u24 v11, v3, s10, v20
	ds_read_b32 v11, v11
	s_waitcnt lgkmcnt(0)
	ds_write_b32 v10, v11 offset:4
.LBB135_26:
	s_or_b64 exec, exec, s[8:9]
	v_or_b32_e32 v11, 2, v18
	v_cmp_gt_u32_e64 s[8:9], v11, v2
	s_and_saveexec_b64 s[10:11], s[8:9]
	s_cbranch_execz .LBB135_28
; %bb.27:
	s_movk_i32 s12, 0x84
	v_mad_u32_u24 v11, v11, s12, v20
	ds_read_b32 v11, v11
	s_waitcnt lgkmcnt(0)
	ds_write_b32 v10, v11 offset:8
.LBB135_28:
	s_or_b64 exec, exec, s[10:11]
	v_or_b32_e32 v12, 3, v18
	v_cmp_gt_u32_e64 s[10:11], v12, v2
	v_cmp_le_u32_e32 vcc, v12, v2
                                        ; implicit-def: $vgpr11
	s_and_saveexec_b64 s[12:13], vcc
	s_xor_b64 s[12:13], exec, s[12:13]
; %bb.29:
	v_mul_u32_u24_e32 v11, 0x84, v12
                                        ; implicit-def: $vgpr12
                                        ; implicit-def: $vgpr10
; %bb.30:
	s_andn2_saveexec_b64 s[12:13], s[12:13]
	s_cbranch_execz .LBB135_32
; %bb.31:
	s_movk_i32 s14, 0x84
	v_mad_u32_u24 v11, v12, s14, v20
	ds_read_b32 v13, v11
	v_mul_u32_u24_e32 v11, 0x84, v12
	s_waitcnt lgkmcnt(0)
	ds_write_b32 v10, v13 offset:12
.LBB135_32:
	s_or_b64 exec, exec, s[12:13]
	s_movk_i32 s12, 0x210
	v_mad_u32_u24 v10, v15, s12, v20
	s_movk_i32 s12, 0x84
	v_mad_u32_u24 v12, v3, s12, v20
	s_waitcnt lgkmcnt(0)
	s_barrier
	ds_read2_b32 v[22:23], v12 offset1:33
	v_lshlrev_b32_e32 v25, 2, v18
	ds_read_b32 v12, v10
	ds_read_b128 v[26:29], v25 offset:4544
	v_mov_b32_e32 v66, 0
	v_cmp_gt_u32_e64 s[12:13], 32, v14
	s_waitcnt lgkmcnt(2)
	v_mov_b32_e32 v13, v22
	v_add_u32_e32 v22, v20, v11
	ds_read_b32 v11, v22
	s_waitcnt lgkmcnt(1)
	v_pk_mul_f32 v[12:13], v[12:13], v[26:27]
	s_waitcnt lgkmcnt(0)
	v_add_f32_e32 v10, 0, v12
	v_add_f32_e32 v12, v10, v13
	v_mov_b32_e32 v10, v23
	v_pk_mul_f32 v[10:11], v[10:11], v[28:29]
	s_barrier
	v_add_f32_e32 v10, v12, v10
	v_add_f32_e32 v10, v10, v11
	v_mul_u32_u24_e32 v11, 33, v2
	v_lshlrev_b32_e32 v19, 2, v11
	v_lshl_add_u32 v21, v15, 2, v19
	ds_write_b32 v21, v10
	s_waitcnt lgkmcnt(0)
	s_barrier
	s_and_saveexec_b64 s[14:15], s[12:13]
	s_cbranch_execz .LBB135_34
; %bb.33:
	ds_read2_b32 v[10:11], v1 offset1:1
	ds_read2_b32 v[12:13], v1 offset0:2 offset1:3
	ds_read2_b32 v[26:27], v1 offset0:4 offset1:5
	;; [unrolled: 1-line block ×3, first 2 shown]
	s_waitcnt lgkmcnt(3)
	v_add_f32_e32 v1, v10, v11
	s_waitcnt lgkmcnt(2)
	v_add_f32_e32 v1, v1, v12
	v_add_f32_e32 v1, v1, v13
	s_waitcnt lgkmcnt(1)
	v_add_f32_e32 v1, v1, v26
	;; [unrolled: 3-line block ×3, first 2 shown]
	v_add_f32_e32 v66, v1, v29
.LBB135_34:
	s_or_b64 exec, exec, s[14:15]
	s_lshl_b64 s[14:15], s[22:23], 7
	v_lshl_add_u64 v[10:11], v[8:9], 0, s[14:15]
	s_mov_b64 s[14:15], 0x80
	s_lshl_b64 s[30:31], s[22:23], 5
	v_lshl_add_u64 v[8:9], v[10:11], 0, s[14:15]
	s_and_b64 vcc, exec, s[34:35]
	s_barrier
	s_cbranch_vccz .LBB135_44
; %bb.35:
	v_sub_co_u32_e32 v12, vcc, v10, v0
	s_ashr_i32 s19, s18, 31
	s_nop 0
	v_subbrev_co_u32_e32 v13, vcc, 0, v11, vcc
	v_or_b32_e32 v1, 32, v2
	v_lshl_add_u64 v[12:13], s[18:19], 2, v[12:13]
	v_lshl_add_u64 v[12:13], v[12:13], 0, -4
	v_cmp_gt_i32_e32 vcc, s18, v1
	s_sub_i32 s39, s18, 32
	v_mov_b32_e32 v23, 0
	v_cndmask_b32_e32 v13, v13, v9, vcc
	v_cndmask_b32_e32 v12, v12, v8, vcc
	v_cmp_gt_i32_e64 s[14:15], s39, v15
	v_mov_b32_e32 v24, 0
	s_and_saveexec_b64 s[36:37], s[14:15]
	s_cbranch_execz .LBB135_37
; %bb.36:
	flat_load_dword v24, v[12:13]
.LBB135_37:
	s_or_b64 exec, exec, s[36:37]
	s_movk_i32 s14, 0x84
	v_mad_u32_u24 v26, v15, s14, v20
	s_waitcnt vmcnt(0) lgkmcnt(0)
	ds_write_b32 v26, v24
	v_add_u32_e32 v24, 8, v15
	v_mul_u32_u24_e32 v1, 0x84, v15
	v_cmp_gt_i32_e64 s[14:15], s39, v24
	s_and_saveexec_b64 s[36:37], s[14:15]
	s_cbranch_execz .LBB135_39
; %bb.38:
	v_lshl_add_u64 v[26:27], v[12:13], 0, s[30:31]
	flat_load_dword v23, v[26:27]
.LBB135_39:
	s_or_b64 exec, exec, s[36:37]
	v_add_u32_e32 v1, v1, v20
	s_waitcnt vmcnt(0) lgkmcnt(0)
	ds_write_b32 v1, v23 offset:1056
	v_add_u32_e32 v23, 16, v15
	v_cmp_gt_i32_e64 s[14:15], s39, v23
	v_mov_b32_e32 v23, 0
	v_mov_b32_e32 v24, 0
	s_and_saveexec_b64 s[36:37], s[14:15]
	s_cbranch_execz .LBB135_41
; %bb.40:
	s_lshl_b64 s[14:15], s[22:23], 6
	v_lshl_add_u64 v[26:27], v[12:13], 0, s[14:15]
	flat_load_dword v24, v[26:27]
.LBB135_41:
	s_or_b64 exec, exec, s[36:37]
	s_waitcnt vmcnt(0) lgkmcnt(0)
	ds_write_b32 v1, v24 offset:2112
	v_add_u32_e32 v24, 24, v15
	v_cmp_gt_i32_e64 s[14:15], s39, v24
	s_and_saveexec_b64 s[36:37], s[14:15]
	s_cbranch_execz .LBB135_43
; %bb.42:
	v_mov_b32_e32 v23, 0x60
	v_mad_u64_u32 v[26:27], s[14:15], s22, v23, v[12:13]
	s_mul_i32 s14, s23, 0x60
	s_nop 0
	v_add_u32_e32 v27, s14, v27
	flat_load_dword v23, v[26:27]
.LBB135_43:
	s_or_b64 exec, exec, s[36:37]
	s_waitcnt vmcnt(0) lgkmcnt(0)
	ds_write_b32 v1, v23 offset:3168
	v_mov_b32_e32 v1, 0
	v_lshl_add_u64 v[12:13], v[12:13], 0, v[0:1]
	s_lshl_b64 s[14:15], s[18:19], 2
	v_mov_b32_e32 v1, s15
	v_subrev_co_u32_e64 v12, s[14:15], s14, v12
	s_nop 1
	v_subb_co_u32_e64 v13, s[14:15], v13, v1, s[14:15]
	s_mov_b64 s[14:15], 0x84
	s_nop 0
	v_lshl_add_u64 v[12:13], v[12:13], 0, s[14:15]
	v_cndmask_b32_e32 v13, v13, v9, vcc
	v_cndmask_b32_e32 v12, v12, v8, vcc
	v_mul_u32_u24_e32 v1, 0x210, v15
	s_branch .LBB135_46
.LBB135_44:
                                        ; implicit-def: $vgpr12_vgpr13
	v_mul_u32_u24_e32 v1, 0x210, v15
	s_cbranch_execz .LBB135_46
; %bb.45:
	v_lshl_add_u64 v[12:13], v[10:11], 0, s[30:31]
	v_lshl_add_u64 v[26:27], v[12:13], 0, s[30:31]
	;; [unrolled: 1-line block ×3, first 2 shown]
	flat_load_dword v23, v[10:11] offset:128
	flat_load_dword v24, v[12:13] offset:128
	;; [unrolled: 1-line block ×4, first 2 shown]
	s_movk_i32 s14, 0x84
	v_mad_u32_u24 v10, v15, s14, v20
	v_mov_b64_e32 v[12:13], v[8:9]
	s_waitcnt vmcnt(0) lgkmcnt(0)
	ds_write_b32 v10, v23
	ds_write_b32 v10, v24 offset:1056
	ds_write_b32 v10, v30 offset:2112
	;; [unrolled: 1-line block ×3, first 2 shown]
.LBB135_46:
	v_mul_u32_u24_e32 v3, 0x84, v3
	v_add_u32_e32 v23, v20, v1
	v_lshl_add_u32 v1, v18, 2, v19
	s_waitcnt lgkmcnt(0)
	s_barrier
	s_and_saveexec_b64 s[14:15], s[4:5]
	s_cbranch_execz .LBB135_50
; %bb.47:
	ds_read_b32 v8, v23
	s_waitcnt lgkmcnt(0)
	ds_write_b32 v1, v8
	s_or_b64 exec, exec, s[14:15]
	v_add_u32_e32 v24, v20, v3
	s_and_saveexec_b64 s[4:5], s[6:7]
	s_cbranch_execnz .LBB135_51
.LBB135_48:
	s_or_b64 exec, exec, s[4:5]
	s_and_saveexec_b64 s[4:5], s[8:9]
	s_cbranch_execz .LBB135_52
.LBB135_49:
	ds_read_b32 v3, v24 offset:132
	s_waitcnt lgkmcnt(0)
	ds_write_b32 v1, v3 offset:8
	s_or_b64 exec, exec, s[4:5]
	v_add_u32_e32 v25, 0x11c0, v25
	s_and_saveexec_b64 s[4:5], s[10:11]
	s_cbranch_execnz .LBB135_53
	s_branch .LBB135_54
.LBB135_50:
	s_or_b64 exec, exec, s[14:15]
	v_add_u32_e32 v24, v20, v3
	s_and_saveexec_b64 s[4:5], s[6:7]
	s_cbranch_execz .LBB135_48
.LBB135_51:
	ds_read_b32 v3, v24
	s_waitcnt lgkmcnt(0)
	ds_write_b32 v1, v3 offset:4
	s_or_b64 exec, exec, s[4:5]
	s_and_saveexec_b64 s[4:5], s[8:9]
	s_cbranch_execnz .LBB135_49
.LBB135_52:
	s_or_b64 exec, exec, s[4:5]
	v_add_u32_e32 v25, 0x11c0, v25
	s_and_saveexec_b64 s[4:5], s[10:11]
	s_cbranch_execz .LBB135_54
.LBB135_53:
	ds_read_b32 v3, v22
	s_waitcnt lgkmcnt(0)
	ds_write_b32 v1, v3 offset:12
.LBB135_54:
	s_or_b64 exec, exec, s[4:5]
	s_waitcnt lgkmcnt(0)
	s_barrier
	ds_read2_b32 v[30:31], v24 offset1:33
	ds_read_b32 v26, v23
	ds_read_b128 v[8:11], v25 offset:128
	ds_read_b32 v29, v22
	v_cmp_eq_u32_e64 s[4:5], 1, v15
	s_waitcnt lgkmcnt(3)
	v_mov_b32_e32 v27, v30
	v_mov_b32_e32 v28, v31
	s_waitcnt lgkmcnt(1)
	v_pk_mul_f32 v[8:9], v[26:27], v[8:9]
	s_waitcnt lgkmcnt(0)
	v_add_f32_e32 v1, 0, v8
	v_add_f32_e32 v1, v1, v9
	v_pk_mul_f32 v[8:9], v[28:29], v[10:11]
	s_barrier
	v_add_f32_e32 v1, v1, v8
	v_add_f32_e32 v1, v1, v9
	ds_write_b32 v21, v1
	s_waitcnt lgkmcnt(0)
	s_barrier
	s_and_saveexec_b64 s[6:7], s[4:5]
	s_cbranch_execz .LBB135_56
; %bb.55:
	ds_read2_b32 v[8:9], v19 offset1:1
	ds_read2_b32 v[10:11], v19 offset0:2 offset1:3
	ds_read2_b32 v[26:27], v19 offset0:4 offset1:5
	ds_read2_b32 v[28:29], v19 offset0:6 offset1:7
	s_waitcnt lgkmcnt(3)
	v_add_f32_e32 v1, v8, v9
	s_waitcnt lgkmcnt(2)
	v_add_f32_e32 v1, v1, v10
	v_add_f32_e32 v1, v1, v11
	s_waitcnt lgkmcnt(1)
	v_add_f32_e32 v1, v1, v26
	;; [unrolled: 3-line block ×3, first 2 shown]
	v_add_f32_e32 v66, v1, v29
.LBB135_56:
	s_or_b64 exec, exec, s[6:7]
	s_movk_i32 s6, 0xff80
	s_mov_b32 s7, -1
	v_lshl_add_u64 v[10:11], v[12:13], 0, s[6:7]
	s_and_b64 vcc, exec, s[34:35]
	s_barrier
	s_cbranch_vccz .LBB135_66
; %bb.57:
	v_sub_co_u32_e32 v12, vcc, v10, v0
	s_ashr_i32 s19, s18, 31
	s_nop 0
	v_subbrev_co_u32_e32 v13, vcc, 0, v11, vcc
	v_lshl_add_u64 v[12:13], s[18:19], 2, v[12:13]
	v_lshl_add_u64 v[12:13], v[12:13], 0, -4
	v_cmp_gt_i32_e32 vcc, s18, v2
	s_sub_i32 s10, s18, 32
	v_mov_b32_e32 v8, 0
	v_cndmask_b32_e32 v3, v13, v11, vcc
	v_cndmask_b32_e32 v2, v12, v10, vcc
	v_cmp_gt_i32_e64 s[6:7], s10, v15
	v_mov_b32_e32 v9, 0
	s_and_saveexec_b64 s[8:9], s[6:7]
	s_cbranch_execz .LBB135_59
; %bb.58:
	flat_load_dword v9, v[2:3]
.LBB135_59:
	s_or_b64 exec, exec, s[8:9]
	s_movk_i32 s6, 0x84
	v_mad_u32_u24 v12, v15, s6, v20
	s_waitcnt vmcnt(0) lgkmcnt(0)
	ds_write_b32 v12, v9
	v_add_u32_e32 v12, 8, v15
	v_mul_u32_u24_e32 v1, 0x84, v15
	v_cmp_gt_i32_e64 s[6:7], s10, v12
	s_and_saveexec_b64 s[8:9], s[6:7]
	s_cbranch_execz .LBB135_61
; %bb.60:
	v_lshl_add_u64 v[8:9], v[2:3], 0, s[30:31]
	flat_load_dword v8, v[8:9]
.LBB135_61:
	s_or_b64 exec, exec, s[8:9]
	v_add_u32_e32 v1, v1, v20
	v_add_u32_e32 v13, 16, v15
	s_waitcnt vmcnt(0) lgkmcnt(0)
	ds_write_b32 v1, v8 offset:1056
	v_cmp_gt_i32_e64 s[6:7], s10, v13
	v_mov_b32_e32 v8, 0
	v_mov_b32_e32 v9, 0
	s_and_saveexec_b64 s[8:9], s[6:7]
	s_cbranch_execz .LBB135_63
; %bb.62:
	s_lshl_b64 s[6:7], s[22:23], 6
	v_lshl_add_u64 v[26:27], v[2:3], 0, s[6:7]
	flat_load_dword v9, v[26:27]
.LBB135_63:
	s_or_b64 exec, exec, s[8:9]
	v_add_u32_e32 v26, 24, v15
	v_cmp_gt_i32_e64 s[6:7], s10, v26
	s_waitcnt vmcnt(0) lgkmcnt(0)
	ds_write_b32 v1, v9 offset:2112
	s_and_saveexec_b64 s[8:9], s[6:7]
	s_cbranch_execz .LBB135_65
; %bb.64:
	v_mov_b32_e32 v8, 0x60
	v_mad_u64_u32 v[8:9], s[6:7], s22, v8, v[2:3]
	s_mul_i32 s6, s23, 0x60
	s_nop 0
	v_add_u32_e32 v9, s6, v9
	flat_load_dword v8, v[8:9]
.LBB135_65:
	s_or_b64 exec, exec, s[8:9]
	s_waitcnt vmcnt(0) lgkmcnt(0)
	ds_write_b32 v1, v8 offset:3168
	v_mov_b32_e32 v1, 0
	v_lshl_add_u64 v[0:1], v[2:3], 0, v[0:1]
	s_lshl_b64 s[6:7], s[18:19], 2
	v_mov_b32_e32 v2, s7
	v_subrev_co_u32_e64 v0, s[6:7], s6, v0
	s_nop 1
	v_subb_co_u32_e64 v1, s[6:7], v1, v2, s[6:7]
	v_lshl_add_u64 v[0:1], v[0:1], 0, 4
	v_cndmask_b32_e32 v9, v1, v11, vcc
	v_cndmask_b32_e32 v8, v0, v10, vcc
	s_branch .LBB135_68
.LBB135_66:
                                        ; implicit-def: $vgpr8_vgpr9
                                        ; implicit-def: $vgpr12
                                        ; implicit-def: $vgpr13
                                        ; implicit-def: $vgpr26
	s_cbranch_execz .LBB135_68
; %bb.67:
	v_lshl_add_u64 v[0:1], v[10:11], 0, s[30:31]
	v_lshl_add_u64 v[2:3], v[0:1], 0, s[30:31]
	;; [unrolled: 1-line block ×3, first 2 shown]
	flat_load_dword v27, v[10:11]
	flat_load_dword v28, v[0:1]
	;; [unrolled: 1-line block ×4, first 2 shown]
	s_movk_i32 s6, 0x84
	v_add_u32_e32 v12, 8, v15
	v_add_u32_e32 v13, 16, v15
	;; [unrolled: 1-line block ×3, first 2 shown]
	v_mad_u32_u24 v0, v15, s6, v20
	v_mov_b64_e32 v[8:9], v[10:11]
	s_waitcnt vmcnt(0) lgkmcnt(0)
	ds_write_b32 v0, v27
	ds_write_b32 v0, v28 offset:1056
	ds_write_b32 v0, v29 offset:2112
	ds_write_b32 v0, v30 offset:3168
.LBB135_68:
	v_add_u32_e32 v0, v19, v18
	s_waitcnt lgkmcnt(0)
	s_barrier
	ds_read_b32 v10, v0
	ds_read_b32 v28, v18 offset:4544
	v_lshlrev_b32_e32 v0, 2, v12
	v_lshlrev_b32_e32 v2, 2, v13
	v_add_u32_e32 v1, v19, v0
	v_add_u32_e32 v3, v19, v2
	v_lshlrev_b32_e32 v13, 2, v26
	v_add_u32_e32 v15, v19, v13
	ds_read_b32 v11, v1
	ds_read_b32 v26, v3
	;; [unrolled: 1-line block ×3, first 2 shown]
	ds_read_b32 v31, v13 offset:4544
	ds_read_b32 v30, v2 offset:4544
	;; [unrolled: 1-line block ×3, first 2 shown]
	ds_read_b32 v27, v15
	ds_read_b128 v[0:3], v25 offset:128
	ds_read_b32 v13, v22
	s_waitcnt lgkmcnt(3)
	v_pk_mul_f32 v[22:23], v[10:11], v[28:29]
	ds_read2_b32 v[10:11], v24 offset1:33
	v_add_f32_e32 v15, 0, v22
	s_waitcnt lgkmcnt(3)
	v_pk_mul_f32 v[26:27], v[26:27], v[30:31]
	v_add_f32_e32 v15, v15, v23
	v_add_f32_e32 v15, v15, v26
	;; [unrolled: 1-line block ×3, first 2 shown]
	s_waitcnt lgkmcnt(0)
	s_barrier
	ds_write_b32 v21, v15
	s_waitcnt lgkmcnt(0)
	s_barrier
	s_and_saveexec_b64 s[6:7], s[4:5]
	s_cbranch_execz .LBB135_70
; %bb.69:
	ds_read2_b32 v[22:23], v19 offset1:1
	ds_read2_b32 v[24:25], v19 offset0:2 offset1:3
	ds_read2_b32 v[26:27], v19 offset0:4 offset1:5
	;; [unrolled: 1-line block ×3, first 2 shown]
	s_waitcnt lgkmcnt(3)
	v_add_f32_e32 v15, v66, v22
	v_add_f32_e32 v15, v15, v23
	s_waitcnt lgkmcnt(2)
	v_add_f32_e32 v15, v15, v24
	v_add_f32_e32 v15, v15, v25
	;; [unrolled: 3-line block ×4, first 2 shown]
.LBB135_70:
	s_or_b64 exec, exec, s[6:7]
	v_fma_f32 v0, v12, v0, 0
	v_fmac_f32_e32 v0, v10, v1
	v_fmac_f32_e32 v0, v11, v2
	;; [unrolled: 1-line block ×3, first 2 shown]
	s_barrier
	ds_write_b32 v21, v0
	s_waitcnt lgkmcnt(0)
	s_barrier
	s_and_saveexec_b64 s[4:5], s[12:13]
	s_cbranch_execz .LBB135_72
; %bb.71:
	ds_read2_b32 v[0:1], v19 offset1:1
	ds_read2_b32 v[2:3], v19 offset0:2 offset1:3
	ds_read2_b32 v[10:11], v19 offset0:4 offset1:5
	;; [unrolled: 1-line block ×3, first 2 shown]
	s_waitcnt lgkmcnt(3)
	v_add_f32_e32 v0, v66, v0
	v_add_f32_e32 v0, v0, v1
	s_waitcnt lgkmcnt(2)
	v_add_f32_e32 v0, v0, v2
	v_add_f32_e32 v0, v0, v3
	;; [unrolled: 3-line block ×4, first 2 shown]
.LBB135_72:
	s_or_b64 exec, exec, s[4:5]
	s_mul_hi_u32 s4, s33, s26
	s_mul_i32 s38, s38, s26
	s_add_i32 s4, s4, s38
	s_mul_i32 s6, s33, s26
	s_mul_i32 s4, s4, s3
	s_mul_hi_u32 s5, s6, s3
	s_add_i32 s5, s5, s4
	s_mul_i32 s4, s6, s3
	s_lshl_b64 s[4:5], s[4:5], 2
	s_add_u32 s6, s28, s4
	s_addc_u32 s7, s29, s5
	s_mul_hi_i32 s5, s33, s2
	s_mul_i32 s4, s33, s2
	s_lshl_b64 s[4:5], s[4:5], 2
	s_add_u32 s8, s6, s4
	s_addc_u32 s9, s7, s5
	s_add_i32 s4, s2, 1
	s_cmp_ge_u32 s4, s3
	v_lshlrev_b32_e32 v18, 2, v64
	s_barrier
	s_cbranch_scc1 .LBB135_129
; %bb.73:
	s_mul_i32 s4, s16, s25
	s_mul_hi_u32 s5, s16, s24
	s_add_i32 s4, s5, s4
	s_mul_i32 s5, s17, s24
	s_add_i32 s5, s4, s5
	s_mul_i32 s4, s16, s24
	s_lshl_b64 s[4:5], s[4:5], 2
	v_lshlrev_b32_e32 v67, 2, v65
	v_mov_b32_e32 v0, s5
	v_subrev_co_u32_e32 v20, vcc, s4, v4
	v_lshlrev_b64 v[2:3], 2, v[6:7]
	s_nop 0
	v_subb_co_u32_e32 v21, vcc, v5, v0, vcc
	v_mad_u64_u32 v[4:5], s[4:5], s22, v67, 0
	v_lshl_add_u64 v[0:1], s[30:31], 2, v[8:9]
	v_mov_b32_e32 v6, v5
	v_sub_co_u32_e32 v0, vcc, v0, v2
	v_mad_u64_u32 v[6:7], s[4:5], s23, v67, v[6:7]
	s_nop 0
	v_subb_co_u32_e32 v1, vcc, v1, v3, vcc
	v_mov_b32_e32 v5, v6
	v_lshl_add_u64 v[22:23], v[4:5], 2, v[0:1]
	s_movk_i32 s4, 0x430
	v_lshrrev_b32_e32 v0, 2, v14
	v_and_b32_e32 v10, 15, v64
	v_mad_u32_u24 v71, v65, s4, v18
	s_movk_i32 s4, 0x10c
	v_and_b32_e32 v0, 0x7ffc, v0
	v_mad_u32_u24 v72, v10, s4, v0
	v_and_b32_e32 v0, 48, v64
	v_lshlrev_b32_e32 v19, 4, v65
	v_lshlrev_b32_e32 v0, 2, v0
	v_mad_u32_u24 v73, v10, s4, v0
	v_or_b32_e32 v0, 60, v18
	v_add_u32_e32 v5, 0x88, v19
	v_mad_u32_u24 v74, v10, s4, v0
	v_mad_u64_u32 v[0:1], s[4:5], s22, v5, 0
	v_mov_b32_e32 v4, v1
	v_mad_u64_u32 v[4:5], s[4:5], s23, v5, v[4:5]
	v_sub_co_u32_e32 v0, vcc, v0, v2
	v_add_u32_e32 v7, 0x8c, v19
	s_nop 0
	v_subb_co_u32_e32 v1, vcc, v4, v3, vcc
	v_mad_u64_u32 v[4:5], s[4:5], s22, v7, 0
	v_mov_b32_e32 v6, v5
	v_mad_u64_u32 v[6:7], s[4:5], s23, v7, v[6:7]
	v_sub_co_u32_e32 v4, vcc, v4, v2
	v_add_u32_e32 v11, 0x84, v19
	s_nop 0
	v_subb_co_u32_e32 v5, vcc, v6, v3, vcc
	v_mad_u64_u32 v[6:7], s[4:5], s22, v11, 0
	v_mul_u32_u24_e32 v54, 0x10c, v10
	v_mov_b32_e32 v10, v7
	v_mad_u64_u32 v[10:11], s[4:5], s23, v11, v[10:11]
	v_sub_co_u32_e32 v6, vcc, v6, v2
	v_add_u32_e32 v13, 0xc8, v19
	s_nop 0
	v_subb_co_u32_e32 v7, vcc, v10, v3, vcc
	v_mad_u64_u32 v[10:11], s[4:5], s22, v13, 0
	v_mov_b32_e32 v12, v11
	v_mad_u64_u32 v[12:13], s[4:5], s23, v13, v[12:13]
	v_sub_co_u32_e32 v10, vcc, v10, v2
	v_add_u32_e32 v15, 0xcc, v19
	s_nop 0
	v_subb_co_u32_e32 v11, vcc, v12, v3, vcc
	v_mad_u64_u32 v[12:13], s[4:5], s22, v15, 0
	v_and_b32_e32 v55, 0x1fff0, v14
	v_cmp_gt_u32_e64 s[6:7], 64, v14
	v_mov_b32_e32 v14, v13
	v_mad_u64_u32 v[14:15], s[4:5], s23, v15, v[14:15]
	v_sub_co_u32_e32 v12, vcc, v12, v2
	v_add_u32_e32 v25, 0xc4, v19
	s_nop 0
	v_subb_co_u32_e32 v13, vcc, v14, v3, vcc
	v_mad_u64_u32 v[14:15], s[4:5], s22, v25, 0
	v_mov_b32_e32 v24, v15
	v_mad_u64_u32 v[24:25], s[4:5], s23, v25, v[24:25]
	v_sub_co_u32_e32 v14, vcc, v14, v2
	v_add_u32_e32 v27, 0xc0, v19
	s_nop 0
	v_subb_co_u32_e32 v15, vcc, v24, v3, vcc
	v_mad_u64_u32 v[24:25], s[4:5], s22, v27, 0
	v_mov_b32_e32 v26, v25
	v_mad_u64_u32 v[26:27], s[4:5], s23, v27, v[26:27]
	v_add_u32_e32 v27, 0x108, v19
	v_sub_co_u32_e32 v36, vcc, v24, v2
	v_mad_u64_u32 v[24:25], s[4:5], s22, v27, 0
	s_nop 0
	v_subb_co_u32_e32 v37, vcc, v26, v3, vcc
	v_mov_b32_e32 v26, v25
	v_mad_u64_u32 v[26:27], s[4:5], s23, v27, v[26:27]
	v_add_u32_e32 v27, 0x10c, v19
	v_sub_co_u32_e32 v38, vcc, v24, v2
	v_mad_u64_u32 v[24:25], s[4:5], s22, v27, 0
	s_nop 0
	v_subb_co_u32_e32 v39, vcc, v26, v3, vcc
	;; [unrolled: 7-line block ×6, first 2 shown]
	v_mov_b32_e32 v26, v25
	v_mad_u64_u32 v[26:27], s[4:5], s23, v27, v[26:27]
	v_add_u32_e32 v27, 0x144, v19
	v_sub_co_u32_e32 v48, vcc, v24, v2
	v_mad_u64_u32 v[24:25], s[4:5], s22, v27, 0
	v_add_u32_e32 v69, 0x10c0, v19
	v_subb_co_u32_e32 v49, vcc, v26, v3, vcc
	v_mov_b32_e32 v26, v25
	v_add_u32_e32 v19, 0x140, v19
	v_mad_u64_u32 v[26:27], s[4:5], s23, v27, v[26:27]
	v_sub_co_u32_e32 v50, vcc, v24, v2
	v_mad_u64_u32 v[24:25], s[4:5], s22, v19, 0
	s_nop 0
	v_subb_co_u32_e32 v51, vcc, v26, v3, vcc
	v_mov_b32_e32 v26, v25
	v_mad_u64_u32 v[26:27], s[4:5], s23, v19, v[26:27]
	v_sub_co_u32_e32 v2, vcc, v24, v2
	s_add_i32 s19, s3, -2
	s_nop 0
	v_subb_co_u32_e32 v3, vcc, v26, v3, vcc
	v_add_u32_e32 v68, 0x10c0, v18
	v_add_u32_e32 v70, 0x11c0, v18
	v_lshl_add_u64 v[24:25], v[8:9], 0, v[0:1]
	v_lshl_add_u64 v[26:27], v[8:9], 0, v[4:5]
	;; [unrolled: 1-line block ×15, first 2 shown]
	v_add_u32_e32 v75, v54, v55
	s_add_i32 s24, s24, 64
	v_mov_b32_e32 v19, 0
	s_lshl_b64 s[10:11], s[22:23], 8
	v_add_u32_e32 v76, 50, v67
	v_add_u32_e32 v77, 51, v67
	s_cmp_eq_u32 s19, s2
	s_cselect_b32 s22, s27, 0
	s_and_saveexec_b64 s[4:5], s[0:1]
	s_cbranch_execz .LBB135_78
	s_branch .LBB135_75
.LBB135_74:                             ;   in Loop: Header=BB135_78 Depth=1
	s_mov_b32 s2, s4
	s_cmp_eq_u32 s19, s2
	s_cselect_b32 s22, s27, 0
	s_and_saveexec_b64 s[4:5], s[0:1]
	s_cbranch_execz .LBB135_78
.LBB135_75:
	s_cmp_eq_u32 s22, 0
	s_cselect_b64 s[12:13], -1, 0
	v_cmp_gt_i32_e32 vcc, s22, v64
	s_or_b64 s[14:15], s[12:13], vcc
	v_mov_b32_e32 v0, 0
	s_and_saveexec_b64 s[12:13], s[14:15]
	s_cbranch_execz .LBB135_77
; %bb.76:
	s_ashr_i32 s14, s24, 31
	s_mul_hi_u32 s15, s16, s24
	s_mul_i32 s14, s16, s14
	s_add_i32 s14, s15, s14
	s_mul_i32 s15, s17, s24
	s_add_i32 s15, s14, s15
	s_mul_i32 s14, s16, s24
	v_lshl_add_u64 v[0:1], s[14:15], 2, v[20:21]
	flat_load_dword v0, v[0:1]
.LBB135_77:
	s_or_b64 exec, exec, s[12:13]
	s_waitcnt vmcnt(0) lgkmcnt(0)
	ds_write_b32 v68, v0
.LBB135_78:                             ; =>This Inner Loop Header: Depth=1
	s_or_b64 exec, exec, s[4:5]
	s_cmp_eq_u32 s22, 0
	s_cselect_b64 s[12:13], -1, 0
	s_cmp_lg_u32 s22, 0
	s_cselect_b64 s[14:15], -1, 0
	v_lshl_add_u64 v[0:1], v[22:23], 0, v[18:19]
	s_mov_b64 s[4:5], -1
	s_and_b64 vcc, exec, s[14:15]
	s_waitcnt lgkmcnt(0)
	s_barrier
                                        ; implicit-def: $vgpr80
                                        ; implicit-def: $vgpr81
                                        ; implicit-def: $vgpr78
                                        ; implicit-def: $vgpr79
	s_cbranch_vccz .LBB135_88
; %bb.79:                               ;   in Loop: Header=BB135_78 Depth=1
	v_cmp_gt_i32_e32 vcc, s22, v67
	v_mov_b32_e32 v78, 0
	v_mov_b32_e32 v79, 0
	s_and_saveexec_b64 s[4:5], vcc
	s_cbranch_execz .LBB135_81
; %bb.80:                               ;   in Loop: Header=BB135_78 Depth=1
	flat_load_dword v79, v[0:1]
.LBB135_81:                             ;   in Loop: Header=BB135_78 Depth=1
	s_or_b64 exec, exec, s[4:5]
	v_or_b32_e32 v2, 1, v67
	v_cmp_gt_i32_e32 vcc, s22, v2
	s_and_saveexec_b64 s[4:5], vcc
	s_cbranch_execz .LBB135_83
; %bb.82:                               ;   in Loop: Header=BB135_78 Depth=1
	v_lshl_add_u64 v[2:3], v[28:29], 0, v[18:19]
	flat_load_dword v78, v[2:3]
.LBB135_83:                             ;   in Loop: Header=BB135_78 Depth=1
	s_or_b64 exec, exec, s[4:5]
	v_or_b32_e32 v2, 2, v67
	v_cmp_gt_i32_e32 vcc, s22, v2
	v_mov_b32_e32 v80, 0
	v_mov_b32_e32 v81, 0
	s_and_saveexec_b64 s[4:5], vcc
	s_cbranch_execz .LBB135_85
; %bb.84:                               ;   in Loop: Header=BB135_78 Depth=1
	v_lshl_add_u64 v[2:3], v[24:25], 0, v[18:19]
	flat_load_dword v81, v[2:3]
.LBB135_85:                             ;   in Loop: Header=BB135_78 Depth=1
	s_or_b64 exec, exec, s[4:5]
	v_or_b32_e32 v2, 3, v67
	v_cmp_gt_i32_e32 vcc, s22, v2
	s_and_saveexec_b64 s[4:5], vcc
	s_cbranch_execz .LBB135_87
; %bb.86:                               ;   in Loop: Header=BB135_78 Depth=1
	v_lshl_add_u64 v[2:3], v[26:27], 0, v[18:19]
	flat_load_dword v80, v[2:3]
.LBB135_87:                             ;   in Loop: Header=BB135_78 Depth=1
	s_or_b64 exec, exec, s[4:5]
	s_mov_b64 s[4:5], 0
.LBB135_88:                             ;   in Loop: Header=BB135_78 Depth=1
	s_and_b64 vcc, exec, s[4:5]
	s_cbranch_vccz .LBB135_90
; %bb.89:                               ;   in Loop: Header=BB135_78 Depth=1
	s_waitcnt vmcnt(0) lgkmcnt(0)
	flat_load_dword v79, v[0:1]
	v_lshl_add_u64 v[0:1], v[28:29], 0, v[18:19]
	flat_load_dword v78, v[0:1]
	v_lshl_add_u64 v[0:1], v[24:25], 0, v[18:19]
	;; [unrolled: 2-line block ×3, first 2 shown]
	flat_load_dword v80, v[0:1]
.LBB135_90:                             ;   in Loop: Header=BB135_78 Depth=1
	ds_read_b32 v4, v70
	ds_read_b128 v[0:3], v69
	s_andn2_b64 vcc, exec, s[14:15]
                                        ; implicit-def: $vgpr84
                                        ; implicit-def: $vgpr85
                                        ; implicit-def: $vgpr82
                                        ; implicit-def: $vgpr83
	s_waitcnt vmcnt(0) lgkmcnt(0)
	v_mul_f32_e32 v5, v79, v4
	v_mul_f32_e32 v6, v78, v4
	v_mul_f32_e32 v7, v81, v4
	v_mul_f32_e32 v4, v80, v4
	ds_write2_b32 v71, v5, v6 offset1:67
	ds_write2_b32 v71, v7, v4 offset0:134 offset1:201
	s_waitcnt lgkmcnt(0)
	s_barrier
	ds_read2_b32 v[56:57], v75 offset1:1
	ds_read2_b32 v[54:55], v75 offset0:2 offset1:3
	v_cndmask_b32_e64 v6, 0, 1, s[14:15]
	v_lshl_add_u64 v[4:5], v[36:37], 0, v[18:19]
	v_cmp_ne_u32_e64 s[4:5], 1, v6
	s_mov_b64 s[14:15], -1
	s_waitcnt lgkmcnt(0)
	s_barrier
	s_cbranch_vccnz .LBB135_100
; %bb.91:                               ;   in Loop: Header=BB135_78 Depth=1
	v_add_u32_e32 v6, 16, v67
	v_cmp_gt_i32_e32 vcc, s22, v6
	v_mov_b32_e32 v82, 0
	v_mov_b32_e32 v83, 0
	s_and_saveexec_b64 s[14:15], vcc
	s_cbranch_execz .LBB135_93
; %bb.92:                               ;   in Loop: Header=BB135_78 Depth=1
	flat_load_dword v83, v[4:5]
.LBB135_93:                             ;   in Loop: Header=BB135_78 Depth=1
	s_or_b64 exec, exec, s[14:15]
	v_add_u32_e32 v6, 17, v67
	v_cmp_gt_i32_e32 vcc, s22, v6
	s_and_saveexec_b64 s[14:15], vcc
	s_cbranch_execz .LBB135_95
; %bb.94:                               ;   in Loop: Header=BB135_78 Depth=1
	v_lshl_add_u64 v[6:7], v[34:35], 0, v[18:19]
	flat_load_dword v82, v[6:7]
.LBB135_95:                             ;   in Loop: Header=BB135_78 Depth=1
	s_or_b64 exec, exec, s[14:15]
	v_add_u32_e32 v6, 18, v67
	v_cmp_gt_i32_e32 vcc, s22, v6
	v_mov_b32_e32 v84, 0
	v_mov_b32_e32 v85, 0
	s_and_saveexec_b64 s[14:15], vcc
	s_cbranch_execz .LBB135_97
; %bb.96:                               ;   in Loop: Header=BB135_78 Depth=1
	v_lshl_add_u64 v[6:7], v[30:31], 0, v[18:19]
	flat_load_dword v85, v[6:7]
.LBB135_97:                             ;   in Loop: Header=BB135_78 Depth=1
	s_or_b64 exec, exec, s[14:15]
	v_add_u32_e32 v6, 19, v67
	v_cmp_gt_i32_e32 vcc, s22, v6
	s_and_saveexec_b64 s[14:15], vcc
	s_cbranch_execz .LBB135_99
; %bb.98:                               ;   in Loop: Header=BB135_78 Depth=1
	v_lshl_add_u64 v[6:7], v[32:33], 0, v[18:19]
	flat_load_dword v84, v[6:7]
.LBB135_99:                             ;   in Loop: Header=BB135_78 Depth=1
	s_or_b64 exec, exec, s[14:15]
	s_mov_b64 s[14:15], 0
.LBB135_100:                            ;   in Loop: Header=BB135_78 Depth=1
	s_and_b64 vcc, exec, s[14:15]
	s_cbranch_vccz .LBB135_102
; %bb.101:                              ;   in Loop: Header=BB135_78 Depth=1
	s_waitcnt vmcnt(0) lgkmcnt(0)
	flat_load_dword v83, v[4:5]
	v_lshl_add_u64 v[4:5], v[34:35], 0, v[18:19]
	flat_load_dword v82, v[4:5]
	v_lshl_add_u64 v[4:5], v[30:31], 0, v[18:19]
	;; [unrolled: 2-line block ×3, first 2 shown]
	flat_load_dword v84, v[4:5]
.LBB135_102:                            ;   in Loop: Header=BB135_78 Depth=1
	ds_read_b32 v8, v70
	ds_read_b128 v[4:7], v69 offset:64
	s_and_b64 vcc, exec, s[4:5]
	s_mov_b64 s[14:15], -1
                                        ; implicit-def: $vgpr88
                                        ; implicit-def: $vgpr89
                                        ; implicit-def: $vgpr86
                                        ; implicit-def: $vgpr87
	s_waitcnt vmcnt(0) lgkmcnt(0)
	v_mul_f32_e32 v9, v83, v8
	v_mul_f32_e32 v10, v82, v8
	v_mul_f32_e32 v11, v85, v8
	v_mul_f32_e32 v8, v84, v8
	ds_write2_b32 v71, v9, v10 offset1:67
	ds_write2_b32 v71, v11, v8 offset0:134 offset1:201
	s_waitcnt lgkmcnt(0)
	s_barrier
	ds_read2_b32 v[14:15], v75 offset1:1
	ds_read2_b32 v[12:13], v75 offset0:2 offset1:3
	v_lshl_add_u64 v[8:9], v[44:45], 0, v[18:19]
	s_waitcnt lgkmcnt(0)
	s_barrier
	s_cbranch_vccnz .LBB135_112
; %bb.103:                              ;   in Loop: Header=BB135_78 Depth=1
	v_add_u32_e32 v10, 32, v67
	v_cmp_gt_i32_e32 vcc, s22, v10
	v_mov_b32_e32 v86, 0
	v_mov_b32_e32 v87, 0
	s_and_saveexec_b64 s[14:15], vcc
	s_cbranch_execz .LBB135_105
; %bb.104:                              ;   in Loop: Header=BB135_78 Depth=1
	flat_load_dword v87, v[8:9]
.LBB135_105:                            ;   in Loop: Header=BB135_78 Depth=1
	s_or_b64 exec, exec, s[14:15]
	v_add_u32_e32 v10, 33, v67
	v_cmp_gt_i32_e32 vcc, s22, v10
	s_and_saveexec_b64 s[14:15], vcc
	s_cbranch_execz .LBB135_107
; %bb.106:                              ;   in Loop: Header=BB135_78 Depth=1
	v_lshl_add_u64 v[10:11], v[42:43], 0, v[18:19]
	flat_load_dword v86, v[10:11]
.LBB135_107:                            ;   in Loop: Header=BB135_78 Depth=1
	s_or_b64 exec, exec, s[14:15]
	v_add_u32_e32 v10, 34, v67
	v_cmp_gt_i32_e32 vcc, s22, v10
	v_mov_b32_e32 v88, 0
	v_mov_b32_e32 v89, 0
	s_and_saveexec_b64 s[14:15], vcc
	s_cbranch_execz .LBB135_109
; %bb.108:                              ;   in Loop: Header=BB135_78 Depth=1
	v_lshl_add_u64 v[10:11], v[38:39], 0, v[18:19]
	flat_load_dword v89, v[10:11]
.LBB135_109:                            ;   in Loop: Header=BB135_78 Depth=1
	s_or_b64 exec, exec, s[14:15]
	v_add_u32_e32 v10, 35, v67
	v_cmp_gt_i32_e32 vcc, s22, v10
	s_and_saveexec_b64 s[14:15], vcc
	s_cbranch_execz .LBB135_111
; %bb.110:                              ;   in Loop: Header=BB135_78 Depth=1
	v_lshl_add_u64 v[10:11], v[40:41], 0, v[18:19]
	flat_load_dword v88, v[10:11]
.LBB135_111:                            ;   in Loop: Header=BB135_78 Depth=1
	s_or_b64 exec, exec, s[14:15]
	s_mov_b64 s[14:15], 0
.LBB135_112:                            ;   in Loop: Header=BB135_78 Depth=1
	s_and_b64 vcc, exec, s[14:15]
	s_cbranch_vccz .LBB135_114
; %bb.113:                              ;   in Loop: Header=BB135_78 Depth=1
	s_waitcnt vmcnt(0) lgkmcnt(0)
	flat_load_dword v87, v[8:9]
	v_lshl_add_u64 v[8:9], v[42:43], 0, v[18:19]
	flat_load_dword v86, v[8:9]
	v_lshl_add_u64 v[8:9], v[38:39], 0, v[18:19]
	;; [unrolled: 2-line block ×3, first 2 shown]
	flat_load_dword v88, v[8:9]
.LBB135_114:                            ;   in Loop: Header=BB135_78 Depth=1
	ds_read_b32 v58, v70
	ds_read_b128 v[8:11], v69 offset:128
	v_lshl_add_u64 v[62:63], v[52:53], 0, v[18:19]
	s_and_b64 vcc, exec, s[4:5]
	s_mov_b64 s[4:5], -1
	s_waitcnt vmcnt(0) lgkmcnt(0)
	v_mul_f32_e32 v59, v87, v58
	v_mul_f32_e32 v60, v86, v58
	;; [unrolled: 1-line block ×4, first 2 shown]
	ds_write2_b32 v71, v59, v60 offset1:67
	ds_write2_b32 v71, v61, v58 offset0:134 offset1:201
	s_waitcnt lgkmcnt(0)
	s_barrier
	ds_read2_b32 v[60:61], v75 offset1:1
	ds_read2_b32 v[58:59], v75 offset0:2 offset1:3
	s_waitcnt lgkmcnt(0)
	s_barrier
                                        ; implicit-def: $vgpr92
                                        ; implicit-def: $vgpr93
                                        ; implicit-def: $vgpr90
                                        ; implicit-def: $vgpr91
	s_cbranch_vccnz .LBB135_124
; %bb.115:                              ;   in Loop: Header=BB135_78 Depth=1
	v_add_u32_e32 v90, 48, v67
	v_cmp_gt_i32_e32 vcc, s22, v90
	v_mov_b32_e32 v90, 0
	v_mov_b32_e32 v91, 0
	s_and_saveexec_b64 s[4:5], vcc
	s_cbranch_execz .LBB135_117
; %bb.116:                              ;   in Loop: Header=BB135_78 Depth=1
	flat_load_dword v91, v[62:63]
.LBB135_117:                            ;   in Loop: Header=BB135_78 Depth=1
	s_or_b64 exec, exec, s[4:5]
	v_add_u32_e32 v92, 49, v67
	v_cmp_gt_i32_e32 vcc, s22, v92
	s_and_saveexec_b64 s[4:5], vcc
	s_cbranch_execz .LBB135_119
; %bb.118:                              ;   in Loop: Header=BB135_78 Depth=1
	v_lshl_add_u64 v[92:93], v[50:51], 0, v[18:19]
	flat_load_dword v90, v[92:93]
.LBB135_119:                            ;   in Loop: Header=BB135_78 Depth=1
	s_or_b64 exec, exec, s[4:5]
	v_cmp_gt_i32_e32 vcc, s22, v76
	v_mov_b32_e32 v92, 0
	v_mov_b32_e32 v93, 0
	s_and_saveexec_b64 s[4:5], vcc
	s_cbranch_execz .LBB135_121
; %bb.120:                              ;   in Loop: Header=BB135_78 Depth=1
	v_lshl_add_u64 v[94:95], v[46:47], 0, v[18:19]
	flat_load_dword v93, v[94:95]
.LBB135_121:                            ;   in Loop: Header=BB135_78 Depth=1
	s_or_b64 exec, exec, s[4:5]
	v_cmp_gt_i32_e32 vcc, s22, v77
	s_and_saveexec_b64 s[4:5], vcc
	s_cbranch_execz .LBB135_123
; %bb.122:                              ;   in Loop: Header=BB135_78 Depth=1
	v_lshl_add_u64 v[94:95], v[48:49], 0, v[18:19]
	flat_load_dword v92, v[94:95]
.LBB135_123:                            ;   in Loop: Header=BB135_78 Depth=1
	s_or_b64 exec, exec, s[4:5]
	s_mov_b64 s[4:5], 0
.LBB135_124:                            ;   in Loop: Header=BB135_78 Depth=1
	s_and_b64 vcc, exec, s[4:5]
	s_cbranch_vccz .LBB135_126
; %bb.125:                              ;   in Loop: Header=BB135_78 Depth=1
	s_waitcnt vmcnt(0) lgkmcnt(0)
	flat_load_dword v91, v[62:63]
	v_lshl_add_u64 v[62:63], v[50:51], 0, v[18:19]
	flat_load_dword v90, v[62:63]
	v_lshl_add_u64 v[62:63], v[46:47], 0, v[18:19]
	;; [unrolled: 2-line block ×3, first 2 shown]
	flat_load_dword v92, v[62:63]
.LBB135_126:                            ;   in Loop: Header=BB135_78 Depth=1
	v_add_f32_e32 v60, 0, v60
	v_add_f32_e32 v60, v60, v61
	;; [unrolled: 1-line block ×4, first 2 shown]
	ds_read_b32 v58, v70
	v_add_f32_e32 v14, 0, v14
	v_add_f32_e32 v14, v14, v15
	;; [unrolled: 1-line block ×4, first 2 shown]
	ds_read_b128 v[12:15], v69 offset:192
	s_waitcnt vmcnt(0) lgkmcnt(0)
	v_mul_f32_e32 v59, v91, v58
	v_mul_f32_e32 v62, v90, v58
	ds_write2_b32 v71, v59, v62 offset1:67
	v_mul_f32_e32 v59, v93, v58
	v_mul_f32_e32 v58, v92, v58
	ds_write2_b32 v71, v59, v58 offset0:134 offset1:201
	s_waitcnt lgkmcnt(0)
	s_barrier
	ds_read2_b32 v[58:59], v75 offset1:1
	v_add_f32_e32 v56, 0, v56
	v_add_f32_e32 v62, v56, v57
	ds_read2_b32 v[56:57], v75 offset0:2 offset1:3
	v_add_f32_e32 v54, v62, v54
	v_add_f32_e32 v54, v54, v55
	s_waitcnt lgkmcnt(1)
	v_add_f32_e32 v55, 0, v58
	v_cmp_gt_i32_e32 vcc, s22, v64
	v_add_f32_e32 v55, v55, v59
	s_or_b64 s[4:5], s[12:13], vcc
	s_waitcnt lgkmcnt(0)
	v_add_f32_e32 v55, v55, v56
	s_and_b64 s[12:13], s[6:7], s[4:5]
	v_add_f32_e32 v55, v55, v57
	s_barrier
	ds_write2_b32 v72, v54, v61 offset1:16
	ds_write2_b32 v72, v60, v55 offset0:32 offset1:48
	s_waitcnt lgkmcnt(0)
	s_barrier
	s_and_saveexec_b64 s[4:5], s[12:13]
	s_cbranch_execz .LBB135_128
; %bb.127:                              ;   in Loop: Header=BB135_78 Depth=1
	ds_read2_b32 v[54:55], v73 offset1:1
	ds_read2_b32 v[56:57], v73 offset0:2 offset1:3
	ds_read2_b32 v[58:59], v73 offset0:4 offset1:5
	;; [unrolled: 1-line block ×4, first 2 shown]
	s_waitcnt lgkmcnt(4)
	v_add_f32_e32 v54, v54, v55
	s_waitcnt lgkmcnt(3)
	v_add_f32_e32 v54, v54, v56
	v_add_f32_e32 v54, v54, v57
	s_waitcnt lgkmcnt(2)
	v_add_f32_e32 v54, v54, v58
	;; [unrolled: 3-line block ×3, first 2 shown]
	v_add_f32_e32 v58, v54, v61
	ds_read2_b32 v[54:55], v73 offset0:10 offset1:11
	ds_read2_b32 v[56:57], v73 offset0:12 offset1:13
	ds_read_b32 v59, v73 offset:56
	s_waitcnt lgkmcnt(3)
	v_add_f32_e32 v58, v58, v62
	v_add_f32_e32 v58, v58, v63
	s_waitcnt lgkmcnt(2)
	v_add_f32_e32 v54, v58, v54
	ds_read_b32 v58, v74
	v_add_f32_e32 v54, v54, v55
	s_waitcnt lgkmcnt(2)
	v_add_f32_e32 v54, v54, v56
	v_add_f32_e32 v54, v54, v57
	s_waitcnt lgkmcnt(1)
	v_add_f32_e32 v54, v54, v59
	s_waitcnt lgkmcnt(0)
	v_add_f32_e32 v56, v54, v58
	v_add_u32_e32 v54, s24, v64
	v_ashrrev_i32_e32 v55, 31, v54
	v_lshl_add_u64 v[54:55], v[54:55], 2, s[8:9]
	global_store_dword v[54:55], v56, off
.LBB135_128:                            ;   in Loop: Header=BB135_78 Depth=1
	s_or_b64 exec, exec, s[4:5]
	v_fmac_f32_e32 v66, v79, v0
	v_fmac_f32_e32 v66, v78, v1
	v_fmac_f32_e32 v66, v81, v2
	v_fmac_f32_e32 v66, v80, v3
	v_fmac_f32_e32 v66, v83, v4
	v_fmac_f32_e32 v66, v82, v5
	v_fmac_f32_e32 v66, v85, v6
	v_fmac_f32_e32 v66, v84, v7
	v_fmac_f32_e32 v66, v87, v8
	v_fmac_f32_e32 v66, v86, v9
	v_fmac_f32_e32 v66, v89, v10
	v_fmac_f32_e32 v66, v88, v11
	v_fmac_f32_e32 v66, v91, v12
	v_fmac_f32_e32 v66, v90, v13
	v_fmac_f32_e32 v66, v93, v14
	s_add_i32 s4, s2, 1
	s_add_i32 s24, s24, 64
	s_add_i32 s2, s2, 2
	v_fmac_f32_e32 v66, v92, v15
	v_lshl_add_u64 v[24:25], v[24:25], 0, s[10:11]
	v_lshl_add_u64 v[26:27], v[26:27], 0, s[10:11]
	;; [unrolled: 1-line block ×15, first 2 shown]
	s_cmp_ge_u32 s2, s3
	v_lshl_add_u64 v[52:53], v[52:53], 0, s[10:11]
	s_barrier
	s_cbranch_scc0 .LBB135_74
.LBB135_129:
	s_movk_i32 s2, 0x10c
	v_cmp_gt_i32_e32 vcc, s18, v64
	v_mad_u32_u24 v0, v65, s2, v18
	s_or_b64 s[2:3], s[20:21], vcc
	s_and_b64 s[0:1], s[0:1], s[2:3]
	ds_write_b32 v0, v66
	s_waitcnt lgkmcnt(0)
	s_barrier
	s_and_saveexec_b64 s[2:3], s[0:1]
	s_cbranch_execz .LBB135_4
; %bb.130:
	ds_read2_b32 v[0:1], v18 offset1:67
	ds_read2_b32 v[2:3], v18 offset0:134 offset1:201
	s_waitcnt lgkmcnt(1)
	v_add_f32_e32 v0, v0, v1
	s_waitcnt lgkmcnt(0)
	v_add_f32_e32 v0, v0, v2
	v_add_f32_e32 v2, v0, v3
	v_lshl_add_u64 v[0:1], v[16:17], 2, s[8:9]
	global_store_dword v[0:1], v2, off
	s_endpgm
	.section	.rodata,"a",@progbits
	.p2align	6, 0x0
	.amdhsa_kernel _ZL26rocblas_hemvn_kernel_upperILb0ELi64ELi4ELi33ELi32ELi16ElPKfPKS1_PfEviT6_lT7_lT5_lS6_lS7_lS5_lT8_i
		.amdhsa_group_segment_fixed_size 4800
		.amdhsa_private_segment_fixed_size 0
		.amdhsa_kernarg_size 376
		.amdhsa_user_sgpr_count 2
		.amdhsa_user_sgpr_dispatch_ptr 0
		.amdhsa_user_sgpr_queue_ptr 0
		.amdhsa_user_sgpr_kernarg_segment_ptr 1
		.amdhsa_user_sgpr_dispatch_id 0
		.amdhsa_user_sgpr_kernarg_preload_length 0
		.amdhsa_user_sgpr_kernarg_preload_offset 0
		.amdhsa_user_sgpr_private_segment_size 0
		.amdhsa_uses_dynamic_stack 0
		.amdhsa_enable_private_segment 0
		.amdhsa_system_sgpr_workgroup_id_x 1
		.amdhsa_system_sgpr_workgroup_id_y 0
		.amdhsa_system_sgpr_workgroup_id_z 1
		.amdhsa_system_sgpr_workgroup_info 0
		.amdhsa_system_vgpr_workitem_id 1
		.amdhsa_next_free_vgpr 96
		.amdhsa_next_free_sgpr 40
		.amdhsa_accum_offset 96
		.amdhsa_reserve_vcc 1
		.amdhsa_float_round_mode_32 0
		.amdhsa_float_round_mode_16_64 0
		.amdhsa_float_denorm_mode_32 3
		.amdhsa_float_denorm_mode_16_64 3
		.amdhsa_dx10_clamp 1
		.amdhsa_ieee_mode 1
		.amdhsa_fp16_overflow 0
		.amdhsa_tg_split 0
		.amdhsa_exception_fp_ieee_invalid_op 0
		.amdhsa_exception_fp_denorm_src 0
		.amdhsa_exception_fp_ieee_div_zero 0
		.amdhsa_exception_fp_ieee_overflow 0
		.amdhsa_exception_fp_ieee_underflow 0
		.amdhsa_exception_fp_ieee_inexact 0
		.amdhsa_exception_int_div_zero 0
	.end_amdhsa_kernel
	.section	.text._ZL26rocblas_hemvn_kernel_upperILb0ELi64ELi4ELi33ELi32ELi16ElPKfPKS1_PfEviT6_lT7_lT5_lS6_lS7_lS5_lT8_i,"axG",@progbits,_ZL26rocblas_hemvn_kernel_upperILb0ELi64ELi4ELi33ELi32ELi16ElPKfPKS1_PfEviT6_lT7_lT5_lS6_lS7_lS5_lT8_i,comdat
.Lfunc_end135:
	.size	_ZL26rocblas_hemvn_kernel_upperILb0ELi64ELi4ELi33ELi32ELi16ElPKfPKS1_PfEviT6_lT7_lT5_lS6_lS7_lS5_lT8_i, .Lfunc_end135-_ZL26rocblas_hemvn_kernel_upperILb0ELi64ELi4ELi33ELi32ELi16ElPKfPKS1_PfEviT6_lT7_lT5_lS6_lS7_lS5_lT8_i
                                        ; -- End function
	.set _ZL26rocblas_hemvn_kernel_upperILb0ELi64ELi4ELi33ELi32ELi16ElPKfPKS1_PfEviT6_lT7_lT5_lS6_lS7_lS5_lT8_i.num_vgpr, 96
	.set _ZL26rocblas_hemvn_kernel_upperILb0ELi64ELi4ELi33ELi32ELi16ElPKfPKS1_PfEviT6_lT7_lT5_lS6_lS7_lS5_lT8_i.num_agpr, 0
	.set _ZL26rocblas_hemvn_kernel_upperILb0ELi64ELi4ELi33ELi32ELi16ElPKfPKS1_PfEviT6_lT7_lT5_lS6_lS7_lS5_lT8_i.numbered_sgpr, 40
	.set _ZL26rocblas_hemvn_kernel_upperILb0ELi64ELi4ELi33ELi32ELi16ElPKfPKS1_PfEviT6_lT7_lT5_lS6_lS7_lS5_lT8_i.num_named_barrier, 0
	.set _ZL26rocblas_hemvn_kernel_upperILb0ELi64ELi4ELi33ELi32ELi16ElPKfPKS1_PfEviT6_lT7_lT5_lS6_lS7_lS5_lT8_i.private_seg_size, 0
	.set _ZL26rocblas_hemvn_kernel_upperILb0ELi64ELi4ELi33ELi32ELi16ElPKfPKS1_PfEviT6_lT7_lT5_lS6_lS7_lS5_lT8_i.uses_vcc, 1
	.set _ZL26rocblas_hemvn_kernel_upperILb0ELi64ELi4ELi33ELi32ELi16ElPKfPKS1_PfEviT6_lT7_lT5_lS6_lS7_lS5_lT8_i.uses_flat_scratch, 0
	.set _ZL26rocblas_hemvn_kernel_upperILb0ELi64ELi4ELi33ELi32ELi16ElPKfPKS1_PfEviT6_lT7_lT5_lS6_lS7_lS5_lT8_i.has_dyn_sized_stack, 0
	.set _ZL26rocblas_hemvn_kernel_upperILb0ELi64ELi4ELi33ELi32ELi16ElPKfPKS1_PfEviT6_lT7_lT5_lS6_lS7_lS5_lT8_i.has_recursion, 0
	.set _ZL26rocblas_hemvn_kernel_upperILb0ELi64ELi4ELi33ELi32ELi16ElPKfPKS1_PfEviT6_lT7_lT5_lS6_lS7_lS5_lT8_i.has_indirect_call, 0
	.section	.AMDGPU.csdata,"",@progbits
; Kernel info:
; codeLenInByte = 6740
; TotalNumSgprs: 46
; NumVgprs: 96
; NumAgprs: 0
; TotalNumVgprs: 96
; ScratchSize: 0
; MemoryBound: 0
; FloatMode: 240
; IeeeMode: 1
; LDSByteSize: 4800 bytes/workgroup (compile time only)
; SGPRBlocks: 5
; VGPRBlocks: 11
; NumSGPRsForWavesPerEU: 46
; NumVGPRsForWavesPerEU: 96
; AccumOffset: 96
; Occupancy: 5
; WaveLimiterHint : 1
; COMPUTE_PGM_RSRC2:SCRATCH_EN: 0
; COMPUTE_PGM_RSRC2:USER_SGPR: 2
; COMPUTE_PGM_RSRC2:TRAP_HANDLER: 0
; COMPUTE_PGM_RSRC2:TGID_X_EN: 1
; COMPUTE_PGM_RSRC2:TGID_Y_EN: 0
; COMPUTE_PGM_RSRC2:TGID_Z_EN: 1
; COMPUTE_PGM_RSRC2:TIDIG_COMP_CNT: 1
; COMPUTE_PGM_RSRC3_GFX90A:ACCUM_OFFSET: 23
; COMPUTE_PGM_RSRC3_GFX90A:TG_SPLIT: 0
	.section	.text._ZL36rocblas_hemvn_kernel_upper_block_sumILi64ElPKfPKPffEviT1_lS5_lT2_lT0_lPT3_i,"axG",@progbits,_ZL36rocblas_hemvn_kernel_upper_block_sumILi64ElPKfPKPffEviT1_lS5_lT2_lT0_lPT3_i,comdat
	.globl	_ZL36rocblas_hemvn_kernel_upper_block_sumILi64ElPKfPKPffEviT1_lS5_lT2_lT0_lPT3_i ; -- Begin function _ZL36rocblas_hemvn_kernel_upper_block_sumILi64ElPKfPKPffEviT1_lS5_lT2_lT0_lPT3_i
	.p2align	8
	.type	_ZL36rocblas_hemvn_kernel_upper_block_sumILi64ElPKfPKPffEviT1_lS5_lT2_lT0_lPT3_i,@function
_ZL36rocblas_hemvn_kernel_upper_block_sumILi64ElPKfPKPffEviT1_lS5_lT2_lT0_lPT3_i: ; @_ZL36rocblas_hemvn_kernel_upper_block_sumILi64ElPKfPKPffEviT1_lS5_lT2_lT0_lPT3_i
; %bb.0:
	s_load_dwordx8 s[16:23], s[0:1], 0x8
	s_mov_b32 s14, s3
	s_waitcnt lgkmcnt(0)
	s_mul_i32 s3, s19, s3
	s_mul_hi_u32 s4, s18, s14
	s_add_i32 s5, s4, s3
	s_mul_i32 s4, s18, s14
	s_lshl_b64 s[4:5], s[4:5], 2
	s_add_u32 s4, s16, s4
	s_addc_u32 s5, s17, s5
	s_load_dword s8, s[4:5], 0x0
	s_mul_i32 s3, s23, s14
	s_mul_hi_u32 s4, s22, s14
	s_add_i32 s5, s4, s3
	s_mul_i32 s4, s22, s14
	s_lshl_b64 s[4:5], s[4:5], 2
	s_add_u32 s4, s20, s4
	s_addc_u32 s5, s21, s5
	s_load_dword s9, s[4:5], 0x0
	s_waitcnt lgkmcnt(0)
	v_cmp_eq_f32_e64 s[4:5], s8, 0
	v_cmp_eq_f32_e64 s[6:7], s9, 1.0
	s_and_b64 s[4:5], s[4:5], s[6:7]
	s_and_b64 vcc, exec, s[4:5]
	s_cbranch_vccnz .LBB136_19
; %bb.1:
	s_load_dwordx2 s[10:11], s[0:1], 0x28
	s_mov_b32 s15, 0
	s_lshl_b64 s[12:13], s[14:15], 3
	s_load_dword s16, s[0:1], 0x0
	s_load_dwordx4 s[4:7], s[0:1], 0x30
	v_lshl_or_b32 v0, s2, 6, v0
	s_waitcnt lgkmcnt(0)
	s_add_u32 s10, s10, s12
	s_addc_u32 s11, s11, s13
	s_load_dwordx2 s[10:11], s[10:11], 0x0
	s_lshl_b64 s[4:5], s[4:5], 2
	v_cmp_neq_f32_e64 s[12:13], s8, 0
	s_waitcnt lgkmcnt(0)
	s_add_u32 s10, s10, s4
	s_addc_u32 s11, s11, s5
	s_and_b64 vcc, exec, s[12:13]
	v_cmp_gt_i32_e64 s[4:5], s16, v0
	s_cbranch_vccnz .LBB136_6
; %bb.2:
	s_mov_b64 s[18:19], 0
	s_mov_b64 s[12:13], 0
                                        ; implicit-def: $vgpr1
                                        ; implicit-def: $vgpr2_vgpr3
	s_and_saveexec_b64 s[20:21], s[4:5]
	s_cbranch_execz .LBB136_7
; %bb.3:
	v_ashrrev_i32_e32 v2, 31, v0
	v_cmp_eq_f32_e64 s[4:5], s9, 0
	v_mul_lo_u32 v4, s7, v0
	v_mul_lo_u32 v5, s6, v2
	v_mad_u64_u32 v[2:3], s[12:13], s6, v0, 0
	v_mov_b32_e32 v1, 0
	v_add3_u32 v3, v3, v5, v4
	s_and_b64 vcc, exec, s[4:5]
	s_cbranch_vccnz .LBB136_5
; %bb.4:
	v_lshl_add_u64 v[4:5], v[2:3], 2, s[10:11]
	flat_load_dword v1, v[4:5]
	s_waitcnt vmcnt(0) lgkmcnt(0)
	v_mul_f32_e32 v1, s9, v1
.LBB136_5:
	s_mov_b64 s[12:13], exec
	s_or_b64 exec, exec, s[20:21]
	s_and_b64 vcc, exec, s[18:19]
	s_cbranch_vccnz .LBB136_8
	s_branch .LBB136_17
.LBB136_6:
	s_mov_b64 s[12:13], 0
                                        ; implicit-def: $vgpr1
                                        ; implicit-def: $vgpr2_vgpr3
	s_cbranch_execnz .LBB136_8
	s_branch .LBB136_17
.LBB136_7:
	s_or_b64 exec, exec, s[20:21]
	s_and_b64 vcc, exec, s[18:19]
	s_cbranch_vccz .LBB136_17
.LBB136_8:
	v_cmp_gt_i32_e32 vcc, s16, v0
                                        ; implicit-def: $vgpr1
                                        ; implicit-def: $vgpr2_vgpr3
	s_and_saveexec_b64 s[4:5], vcc
	s_cbranch_execz .LBB136_16
; %bb.9:
	v_ashrrev_i32_e32 v1, 31, v0
	s_cmp_lt_i32 s2, 0
	v_mov_b32_e32 v4, 0
	s_cbranch_scc1 .LBB136_12
; %bb.10:
	s_load_dwordx2 s[18:19], s[0:1], 0x48
	s_load_dword s3, s[0:1], 0x58
	s_ashr_i32 s17, s16, 31
	s_mul_hi_u32 s0, s16, s14
	s_mul_i32 s1, s17, s14
	s_add_i32 s0, s0, s1
	s_mul_i32 s14, s16, s14
	s_waitcnt lgkmcnt(0)
	s_mul_i32 s0, s0, s3
	s_mul_hi_u32 s1, s14, s3
	s_add_i32 s1, s1, s0
	s_mul_i32 s0, s14, s3
	s_lshl_b64 s[0:1], s[0:1], 2
	s_add_u32 s0, s18, s0
	s_addc_u32 s1, s19, s1
	v_lshl_add_u64 v[2:3], v[0:1], 2, s[0:1]
	s_add_i32 s2, s2, 1
	s_lshl_b64 s[0:1], s[16:17], 2
	v_mov_b32_e32 v4, 0
.LBB136_11:                             ; =>This Inner Loop Header: Depth=1
	global_load_dword v5, v[2:3], off
	s_add_i32 s2, s2, -1
	v_lshl_add_u64 v[2:3], v[2:3], 0, s[0:1]
	s_cmp_eq_u32 s2, 0
	s_waitcnt vmcnt(0)
	v_add_f32_e32 v4, v4, v5
	s_cbranch_scc0 .LBB136_11
.LBB136_12:
	v_cmp_eq_f32_e64 s[0:1], s9, 0
	s_and_b64 vcc, exec, s[0:1]
	v_mul_lo_u32 v5, s7, v0
	v_mul_lo_u32 v6, s6, v1
	s_cbranch_vccz .LBB136_20
; %bb.13:
	v_mad_u64_u32 v[2:3], s[0:1], s6, v0, 0
	v_mul_f32_e32 v1, s8, v4
	v_add3_u32 v3, v3, v6, v5
	s_cbranch_execnz .LBB136_15
.LBB136_14:
	v_mad_u64_u32 v[2:3], s[0:1], s6, v0, 0
	v_add3_u32 v3, v3, v6, v5
	v_lshl_add_u64 v[0:1], v[2:3], 2, s[10:11]
	flat_load_dword v5, v[0:1]
	s_waitcnt vmcnt(0) lgkmcnt(0)
	v_pk_mul_f32 v[0:1], s[8:9], v[4:5]
	s_nop 0
	v_add_f32_e32 v1, v0, v1
.LBB136_15:
	s_or_b64 s[12:13], s[12:13], exec
.LBB136_16:
	s_or_b64 exec, exec, s[4:5]
.LBB136_17:
	s_and_saveexec_b64 s[0:1], s[12:13]
	s_cbranch_execz .LBB136_19
; %bb.18:
	v_lshl_add_u64 v[2:3], v[2:3], 2, s[10:11]
	flat_store_dword v[2:3], v1
.LBB136_19:
	s_endpgm
.LBB136_20:
                                        ; implicit-def: $vgpr1
                                        ; implicit-def: $vgpr2_vgpr3
	s_branch .LBB136_14
	.section	.rodata,"a",@progbits
	.p2align	6, 0x0
	.amdhsa_kernel _ZL36rocblas_hemvn_kernel_upper_block_sumILi64ElPKfPKPffEviT1_lS5_lT2_lT0_lPT3_i
		.amdhsa_group_segment_fixed_size 0
		.amdhsa_private_segment_fixed_size 0
		.amdhsa_kernarg_size 344
		.amdhsa_user_sgpr_count 2
		.amdhsa_user_sgpr_dispatch_ptr 0
		.amdhsa_user_sgpr_queue_ptr 0
		.amdhsa_user_sgpr_kernarg_segment_ptr 1
		.amdhsa_user_sgpr_dispatch_id 0
		.amdhsa_user_sgpr_kernarg_preload_length 0
		.amdhsa_user_sgpr_kernarg_preload_offset 0
		.amdhsa_user_sgpr_private_segment_size 0
		.amdhsa_uses_dynamic_stack 0
		.amdhsa_enable_private_segment 0
		.amdhsa_system_sgpr_workgroup_id_x 1
		.amdhsa_system_sgpr_workgroup_id_y 0
		.amdhsa_system_sgpr_workgroup_id_z 1
		.amdhsa_system_sgpr_workgroup_info 0
		.amdhsa_system_vgpr_workitem_id 0
		.amdhsa_next_free_vgpr 7
		.amdhsa_next_free_sgpr 24
		.amdhsa_accum_offset 8
		.amdhsa_reserve_vcc 1
		.amdhsa_float_round_mode_32 0
		.amdhsa_float_round_mode_16_64 0
		.amdhsa_float_denorm_mode_32 3
		.amdhsa_float_denorm_mode_16_64 3
		.amdhsa_dx10_clamp 1
		.amdhsa_ieee_mode 1
		.amdhsa_fp16_overflow 0
		.amdhsa_tg_split 0
		.amdhsa_exception_fp_ieee_invalid_op 0
		.amdhsa_exception_fp_denorm_src 0
		.amdhsa_exception_fp_ieee_div_zero 0
		.amdhsa_exception_fp_ieee_overflow 0
		.amdhsa_exception_fp_ieee_underflow 0
		.amdhsa_exception_fp_ieee_inexact 0
		.amdhsa_exception_int_div_zero 0
	.end_amdhsa_kernel
	.section	.text._ZL36rocblas_hemvn_kernel_upper_block_sumILi64ElPKfPKPffEviT1_lS5_lT2_lT0_lPT3_i,"axG",@progbits,_ZL36rocblas_hemvn_kernel_upper_block_sumILi64ElPKfPKPffEviT1_lS5_lT2_lT0_lPT3_i,comdat
.Lfunc_end136:
	.size	_ZL36rocblas_hemvn_kernel_upper_block_sumILi64ElPKfPKPffEviT1_lS5_lT2_lT0_lPT3_i, .Lfunc_end136-_ZL36rocblas_hemvn_kernel_upper_block_sumILi64ElPKfPKPffEviT1_lS5_lT2_lT0_lPT3_i
                                        ; -- End function
	.set _ZL36rocblas_hemvn_kernel_upper_block_sumILi64ElPKfPKPffEviT1_lS5_lT2_lT0_lPT3_i.num_vgpr, 7
	.set _ZL36rocblas_hemvn_kernel_upper_block_sumILi64ElPKfPKPffEviT1_lS5_lT2_lT0_lPT3_i.num_agpr, 0
	.set _ZL36rocblas_hemvn_kernel_upper_block_sumILi64ElPKfPKPffEviT1_lS5_lT2_lT0_lPT3_i.numbered_sgpr, 24
	.set _ZL36rocblas_hemvn_kernel_upper_block_sumILi64ElPKfPKPffEviT1_lS5_lT2_lT0_lPT3_i.num_named_barrier, 0
	.set _ZL36rocblas_hemvn_kernel_upper_block_sumILi64ElPKfPKPffEviT1_lS5_lT2_lT0_lPT3_i.private_seg_size, 0
	.set _ZL36rocblas_hemvn_kernel_upper_block_sumILi64ElPKfPKPffEviT1_lS5_lT2_lT0_lPT3_i.uses_vcc, 1
	.set _ZL36rocblas_hemvn_kernel_upper_block_sumILi64ElPKfPKPffEviT1_lS5_lT2_lT0_lPT3_i.uses_flat_scratch, 0
	.set _ZL36rocblas_hemvn_kernel_upper_block_sumILi64ElPKfPKPffEviT1_lS5_lT2_lT0_lPT3_i.has_dyn_sized_stack, 0
	.set _ZL36rocblas_hemvn_kernel_upper_block_sumILi64ElPKfPKPffEviT1_lS5_lT2_lT0_lPT3_i.has_recursion, 0
	.set _ZL36rocblas_hemvn_kernel_upper_block_sumILi64ElPKfPKPffEviT1_lS5_lT2_lT0_lPT3_i.has_indirect_call, 0
	.section	.AMDGPU.csdata,"",@progbits
; Kernel info:
; codeLenInByte = 660
; TotalNumSgprs: 30
; NumVgprs: 7
; NumAgprs: 0
; TotalNumVgprs: 7
; ScratchSize: 0
; MemoryBound: 0
; FloatMode: 240
; IeeeMode: 1
; LDSByteSize: 0 bytes/workgroup (compile time only)
; SGPRBlocks: 3
; VGPRBlocks: 0
; NumSGPRsForWavesPerEU: 30
; NumVGPRsForWavesPerEU: 7
; AccumOffset: 8
; Occupancy: 8
; WaveLimiterHint : 1
; COMPUTE_PGM_RSRC2:SCRATCH_EN: 0
; COMPUTE_PGM_RSRC2:USER_SGPR: 2
; COMPUTE_PGM_RSRC2:TRAP_HANDLER: 0
; COMPUTE_PGM_RSRC2:TGID_X_EN: 1
; COMPUTE_PGM_RSRC2:TGID_Y_EN: 0
; COMPUTE_PGM_RSRC2:TGID_Z_EN: 1
; COMPUTE_PGM_RSRC2:TIDIG_COMP_CNT: 0
; COMPUTE_PGM_RSRC3_GFX90A:ACCUM_OFFSET: 1
; COMPUTE_PGM_RSRC3_GFX90A:TG_SPLIT: 0
	.section	.text._ZL26rocblas_hemvn_kernel_upperILb0ELi64ELi4ELi33ELi32ELi16EiPKfPKS1_PfEviT6_lT7_lT5_lS6_lS7_lS5_lT8_i,"axG",@progbits,_ZL26rocblas_hemvn_kernel_upperILb0ELi64ELi4ELi33ELi32ELi16EiPKfPKS1_PfEviT6_lT7_lT5_lS6_lS7_lS5_lT8_i,comdat
	.globl	_ZL26rocblas_hemvn_kernel_upperILb0ELi64ELi4ELi33ELi32ELi16EiPKfPKS1_PfEviT6_lT7_lT5_lS6_lS7_lS5_lT8_i ; -- Begin function _ZL26rocblas_hemvn_kernel_upperILb0ELi64ELi4ELi33ELi32ELi16EiPKfPKS1_PfEviT6_lT7_lT5_lS6_lS7_lS5_lT8_i
	.p2align	8
	.type	_ZL26rocblas_hemvn_kernel_upperILb0ELi64ELi4ELi33ELi32ELi16EiPKfPKS1_PfEviT6_lT7_lT5_lS6_lS7_lS5_lT8_i,@function
_ZL26rocblas_hemvn_kernel_upperILb0ELi64ELi4ELi33ELi32ELi16EiPKfPKS1_PfEviT6_lT7_lT5_lS6_lS7_lS5_lT8_i: ; @_ZL26rocblas_hemvn_kernel_upperILb0ELi64ELi4ELi33ELi32ELi16EiPKfPKS1_PfEviT6_lT7_lT5_lS6_lS7_lS5_lT8_i
; %bb.0:
	s_load_dwordx2 s[4:5], s[0:1], 0x84
	s_add_u32 s12, s0, 0x78
	s_mov_b32 s22, s3
	s_addc_u32 s13, s1, 0
	s_waitcnt lgkmcnt(0)
	s_and_b32 s3, s5, 0xffff
	s_lshr_b32 s5, s4, 16
	s_and_b32 s4, s4, 0xffff
	s_mul_i32 s4, s5, s4
	s_mul_i32 s4, s4, s3
	s_cmpk_lg_i32 s4, 0x100
	s_cbranch_scc1 .LBB137_4
; %bb.1:
	s_load_dwordx8 s[4:11], s[0:1], 0x8
	s_load_dwordx4 s[16:19], s[0:1], 0x58
	s_waitcnt lgkmcnt(0)
	s_mul_i32 s3, s7, s22
	s_mul_hi_u32 s7, s6, s22
	s_mul_i32 s6, s6, s22
	s_add_i32 s7, s7, s3
	s_lshl_b64 s[6:7], s[6:7], 2
	s_add_u32 s4, s4, s6
	s_addc_u32 s5, s5, s7
	s_mul_i32 s14, s19, s22
	s_load_dword s3, s[4:5], 0x0
	s_mul_hi_u32 s4, s18, s22
	s_add_i32 s5, s4, s14
	s_mul_i32 s4, s18, s22
	s_lshl_b64 s[4:5], s[4:5], 2
	s_add_u32 s4, s16, s4
	s_addc_u32 s5, s17, s5
	s_load_dword s6, s[4:5], 0x0
	s_waitcnt lgkmcnt(0)
	v_cmp_eq_f32_e64 s[4:5], s3, 0
	v_cmp_eq_f32_e64 s[6:7], s6, 1.0
	s_and_b64 s[6:7], s[4:5], s[6:7]
	s_and_b64 vcc, exec, s[6:7]
	s_cbranch_vccnz .LBB137_4
; %bb.2:
	s_and_b64 vcc, exec, s[4:5]
	s_cbranch_vccz .LBB137_5
; %bb.3:
	s_cbranch_execz .LBB137_6
.LBB137_4:
	s_endpgm
.LBB137_5:
.LBB137_6:
	s_mov_b32 s23, 0
	s_load_dwordx4 s[4:7], s[0:1], 0x38
	s_load_dword s36, s[0:1], 0x48
	s_lshl_b64 s[14:15], s[22:23], 3
	s_add_u32 s8, s8, s14
	s_addc_u32 s9, s9, s15
	s_waitcnt lgkmcnt(0)
	s_add_u32 s14, s4, s14
	s_addc_u32 s15, s5, s15
	s_load_dwordx2 s[16:17], s[14:15], 0x0
	s_load_dwordx2 s[26:27], s[0:1], 0x68
	s_load_dword s23, s[0:1], 0x0
	s_load_dword s3, s[12:13], 0x0
	s_load_dwordx2 s[4:5], s[8:9], 0x0
	s_lshl_b64 s[6:7], s[6:7], 2
	s_waitcnt lgkmcnt(0)
	s_add_u32 s6, s16, s6
	s_addc_u32 s7, s17, s7
	s_ashr_i32 s37, s23, 31
	s_lshr_b32 s9, s37, 26
	v_and_b32_e32 v18, 0x3ff, v0
	s_lshl_b32 s24, s2, 6
	s_add_i32 s9, s23, s9
	s_andn2_b32 s9, s9, 63
	v_add_u32_e32 v16, s24, v18
	v_bfe_u32 v17, v0, 10, 10
	s_add_i32 s8, s3, -1
	s_sub_i32 s33, s23, s9
	v_mul_lo_u32 v0, s36, v16
	s_cmp_eq_u32 s2, s8
	v_ashrrev_i32_e32 v1, 31, v0
	s_cselect_b32 s16, s33, 0
	v_lshl_add_u64 v[6:7], v[0:1], 2, s[6:7]
	v_cmp_eq_u32_e64 s[12:13], 0, v17
	s_and_saveexec_b64 s[6:7], s[12:13]
	s_cbranch_execz .LBB137_10
; %bb.7:
	s_cmp_eq_u32 s16, 0
	s_cselect_b64 s[8:9], -1, 0
	v_cmp_gt_i32_e32 vcc, s16, v18
	s_or_b64 s[14:15], s[8:9], vcc
	v_mov_b32_e32 v0, 0
	s_and_saveexec_b64 s[8:9], s[14:15]
	s_cbranch_execz .LBB137_9
; %bb.8:
	flat_load_dword v0, v[6:7]
.LBB137_9:
	s_or_b64 exec, exec, s[8:9]
	v_lshlrev_b32_e32 v1, 2, v18
	s_waitcnt vmcnt(0) lgkmcnt(0)
	ds_write_b32 v1, v0 offset:4544
.LBB137_10:
	s_or_b64 exec, exec, s[6:7]
	s_lshl_b64 s[6:7], s[10:11], 2
	s_load_dword s20, s[0:1], 0x28
	s_add_u32 s4, s4, s6
	s_addc_u32 s5, s5, s7
	s_ashr_i32 s25, s24, 31
	v_lshl_add_u32 v14, v17, 6, v18
	s_lshl_b64 s[0:1], s[24:25], 2
	v_and_b32_e32 v2, 31, v18
	v_lshrrev_b32_e32 v15, 5, v14
	s_add_u32 s0, s4, s0
	s_addc_u32 s1, s5, s1
	s_waitcnt lgkmcnt(0)
	v_mad_u64_u32 v[4:5], s[4:5], s20, v15, v[2:3]
	v_ashrrev_i32_e32 v5, 31, v4
	v_lshl_add_u64 v[0:1], v[4:5], 2, s[0:1]
	s_mul_i32 s0, s20, s24
	s_ashr_i32 s1, s0, 31
	s_cmp_eq_u32 s16, 0
	s_cselect_b64 s[18:19], -1, 0
	s_cmp_lg_u32 s16, 0
	s_cselect_b64 s[30:31], -1, 0
	v_lshl_add_u64 v[10:11], s[0:1], 2, v[0:1]
	s_and_b64 vcc, exec, s[30:31]
	v_cmp_gt_i32_e64 s[0:1], s16, v2
	v_lshlrev_b32_e32 v0, 2, v2
	s_cbranch_vccz .LBB137_20
; %bb.11:
	v_sub_co_u32_e32 v8, vcc, v10, v0
	s_ashr_i32 s17, s16, 31
	s_nop 0
	v_subbrev_co_u32_e32 v9, vcc, 0, v11, vcc
	v_lshl_add_u64 v[8:9], s[16:17], 2, v[8:9]
	v_lshl_add_u64 v[8:9], v[8:9], 0, -4
	v_mov_b32_e32 v3, 0
	v_cndmask_b32_e64 v9, v9, v11, s[0:1]
	v_cndmask_b32_e64 v8, v8, v10, s[0:1]
	v_cmp_gt_i32_e32 vcc, s16, v15
	v_mov_b32_e32 v12, 0
	s_and_saveexec_b64 s[4:5], vcc
	s_cbranch_execz .LBB137_13
; %bb.12:
	flat_load_dword v12, v[8:9]
.LBB137_13:
	s_or_b64 exec, exec, s[4:5]
	s_movk_i32 s4, 0x84
	v_mad_u32_u24 v13, v15, s4, v0
	s_waitcnt vmcnt(0) lgkmcnt(0)
	ds_write_b32 v13, v12
	v_add_u32_e32 v12, 8, v15
	v_mul_u32_u24_e32 v1, 0x84, v15
	v_cmp_gt_i32_e32 vcc, s16, v12
	s_and_saveexec_b64 s[4:5], vcc
	s_cbranch_execz .LBB137_15
; %bb.14:
	s_lshl_b32 s6, s20, 3
	s_ashr_i32 s7, s6, 31
	v_lshl_add_u64 v[12:13], s[6:7], 2, v[8:9]
	flat_load_dword v3, v[12:13]
.LBB137_15:
	s_or_b64 exec, exec, s[4:5]
	v_add_u32_e32 v1, v1, v0
	s_waitcnt vmcnt(0) lgkmcnt(0)
	ds_write_b32 v1, v3 offset:1056
	v_add_u32_e32 v3, 16, v15
	v_cmp_gt_i32_e32 vcc, s16, v3
	v_mov_b32_e32 v3, 0
	v_mov_b32_e32 v12, 0
	s_and_saveexec_b64 s[4:5], vcc
	s_cbranch_execz .LBB137_17
; %bb.16:
	s_lshl_b32 s6, s20, 4
	s_ashr_i32 s7, s6, 31
	v_lshl_add_u64 v[12:13], s[6:7], 2, v[8:9]
	flat_load_dword v12, v[12:13]
.LBB137_17:
	s_or_b64 exec, exec, s[4:5]
	s_waitcnt vmcnt(0) lgkmcnt(0)
	ds_write_b32 v1, v12 offset:2112
	v_add_u32_e32 v12, 24, v15
	v_cmp_gt_i32_e32 vcc, s16, v12
	s_and_saveexec_b64 s[4:5], vcc
	s_cbranch_execz .LBB137_19
; %bb.18:
	s_mul_i32 s6, s20, 24
	s_ashr_i32 s7, s6, 31
	v_lshl_add_u64 v[12:13], s[6:7], 2, v[8:9]
	flat_load_dword v3, v[12:13]
.LBB137_19:
	s_or_b64 exec, exec, s[4:5]
	s_waitcnt vmcnt(0) lgkmcnt(0)
	ds_write_b32 v1, v3 offset:3168
	v_mov_b32_e32 v1, 0
	v_lshl_add_u64 v[8:9], v[8:9], 0, v[0:1]
	s_lshl_b64 s[4:5], s[16:17], 2
	v_mov_b32_e32 v1, s5
	v_subrev_co_u32_e32 v8, vcc, s4, v8
	s_nop 1
	v_subb_co_u32_e32 v9, vcc, v9, v1, vcc
	v_lshl_add_u64 v[8:9], v[8:9], 0, 4
	v_cndmask_b32_e64 v9, v9, v11, s[0:1]
	v_cndmask_b32_e64 v8, v8, v10, s[0:1]
	s_branch .LBB137_22
.LBB137_20:
                                        ; implicit-def: $vgpr8_vgpr9
	s_cbranch_execz .LBB137_22
; %bb.21:
	s_lshl_b32 s0, s20, 3
	s_ashr_i32 s1, s0, 31
	s_ashr_i32 s21, s20, 31
	v_lshl_add_u64 v[8:9], s[0:1], 2, v[10:11]
	s_lshl_b64 s[0:1], s[20:21], 5
	v_lshl_add_u64 v[12:13], v[8:9], 0, s[0:1]
	v_lshl_add_u64 v[20:21], v[12:13], 0, s[0:1]
	flat_load_dword v1, v[10:11]
	flat_load_dword v3, v[8:9]
	flat_load_dword v19, v[12:13]
	flat_load_dword v22, v[20:21]
	v_mul_u32_u24_e32 v8, 0x84, v15
	v_lshl_add_u32 v8, v2, 2, v8
	s_waitcnt vmcnt(0) lgkmcnt(0)
	ds_write_b32 v8, v1
	ds_write_b32 v8, v3 offset:1056
	ds_write_b32 v8, v19 offset:2112
	;; [unrolled: 1-line block ×3, first 2 shown]
	v_mov_b64_e32 v[8:9], v[10:11]
.LBB137_22:
	v_lshlrev_b32_e32 v20, 2, v15
	v_lshl_or_b32 v1, v2, 7, v0
	v_cmp_gt_u32_e64 s[4:5], v20, v2
	v_lshl_add_u32 v10, v20, 2, v1
	s_waitcnt lgkmcnt(0)
	s_barrier
	s_and_saveexec_b64 s[0:1], s[4:5]
	s_cbranch_execz .LBB137_24
; %bb.23:
	s_movk_i32 s6, 0x210
	v_mad_u32_u24 v3, v15, s6, v0
	ds_read_b32 v3, v3
	s_waitcnt lgkmcnt(0)
	ds_write_b32 v10, v3
.LBB137_24:
	s_or_b64 exec, exec, s[0:1]
	v_or_b32_e32 v3, 1, v20
	v_cmp_ge_u32_e64 s[6:7], v20, v2
	s_and_saveexec_b64 s[0:1], s[6:7]
	s_cbranch_execz .LBB137_26
; %bb.25:
	s_movk_i32 s8, 0x84
	v_mad_u32_u24 v11, v3, s8, v0
	ds_read_b32 v11, v11
	s_waitcnt lgkmcnt(0)
	ds_write_b32 v10, v11 offset:4
.LBB137_26:
	s_or_b64 exec, exec, s[0:1]
	v_or_b32_e32 v11, 2, v20
	v_cmp_gt_u32_e64 s[8:9], v11, v2
	s_and_saveexec_b64 s[0:1], s[8:9]
	s_cbranch_execz .LBB137_28
; %bb.27:
	s_movk_i32 s10, 0x84
	v_mad_u32_u24 v11, v11, s10, v0
	ds_read_b32 v11, v11
	s_waitcnt lgkmcnt(0)
	ds_write_b32 v10, v11 offset:8
.LBB137_28:
	s_or_b64 exec, exec, s[0:1]
	v_or_b32_e32 v12, 3, v20
	v_cmp_gt_u32_e64 s[10:11], v12, v2
	v_cmp_le_u32_e32 vcc, v12, v2
                                        ; implicit-def: $vgpr11
	s_and_saveexec_b64 s[0:1], vcc
	s_xor_b64 s[0:1], exec, s[0:1]
; %bb.29:
	v_mul_u32_u24_e32 v11, 0x84, v12
                                        ; implicit-def: $vgpr12
                                        ; implicit-def: $vgpr10
; %bb.30:
	s_andn2_saveexec_b64 s[0:1], s[0:1]
	s_cbranch_execz .LBB137_32
; %bb.31:
	s_movk_i32 s14, 0x84
	v_mad_u32_u24 v11, v12, s14, v0
	ds_read_b32 v13, v11
	v_mul_u32_u24_e32 v11, 0x84, v12
	s_waitcnt lgkmcnt(0)
	ds_write_b32 v10, v13 offset:12
.LBB137_32:
	s_or_b64 exec, exec, s[0:1]
	s_movk_i32 s0, 0x210
	v_mad_u32_u24 v10, v15, s0, v0
	s_movk_i32 s0, 0x84
	v_mad_u32_u24 v12, v3, s0, v0
	s_waitcnt lgkmcnt(0)
	s_barrier
	ds_read2_b32 v[24:25], v12 offset1:33
	v_lshlrev_b32_e32 v26, 2, v20
	ds_read_b32 v12, v10
	ds_read_b128 v[28:31], v26 offset:4544
	v_add_u32_e32 v23, v0, v11
	ds_read_b32 v11, v23
	s_waitcnt lgkmcnt(3)
	v_mov_b32_e32 v13, v24
	v_mov_b32_e32 v19, 0
	s_waitcnt lgkmcnt(1)
	v_pk_mul_f32 v[12:13], v[12:13], v[28:29]
	v_cmp_gt_u32_e64 s[0:1], 32, v14
	v_add_f32_e32 v10, 0, v12
	v_add_f32_e32 v12, v10, v13
	v_mov_b32_e32 v10, v25
	s_waitcnt lgkmcnt(0)
	v_pk_mul_f32 v[10:11], v[10:11], v[30:31]
	s_nop 0
	v_add_f32_e32 v10, v12, v10
	v_add_f32_e32 v10, v10, v11
	v_mul_u32_u24_e32 v11, 33, v2
	v_lshlrev_b32_e32 v21, 2, v11
	v_lshl_add_u32 v22, v15, 2, v21
	s_barrier
	ds_write_b32 v22, v10
	s_waitcnt lgkmcnt(0)
	s_barrier
	s_and_saveexec_b64 s[14:15], s[0:1]
	s_cbranch_execz .LBB137_34
; %bb.33:
	ds_read2_b32 v[10:11], v1 offset1:1
	ds_read2_b32 v[12:13], v1 offset0:2 offset1:3
	ds_read2_b32 v[24:25], v1 offset0:4 offset1:5
	ds_read2_b32 v[28:29], v1 offset0:6 offset1:7
	s_waitcnt lgkmcnt(3)
	v_add_f32_e32 v1, v10, v11
	s_waitcnt lgkmcnt(2)
	v_add_f32_e32 v1, v1, v12
	v_add_f32_e32 v1, v1, v13
	s_waitcnt lgkmcnt(1)
	v_add_f32_e32 v1, v1, v24
	;; [unrolled: 3-line block ×3, first 2 shown]
	v_add_f32_e32 v19, v1, v29
.LBB137_34:
	s_or_b64 exec, exec, s[14:15]
	s_lshl_b32 s28, s20, 5
	s_ashr_i32 s29, s28, 31
	v_lshl_add_u64 v[10:11], s[28:29], 2, v[8:9]
	s_mov_b64 s[14:15], 0x80
	v_lshl_add_u64 v[8:9], v[10:11], 0, s[14:15]
	s_and_b64 vcc, exec, s[30:31]
	s_barrier
	s_cbranch_vccz .LBB137_44
; %bb.35:
	v_sub_co_u32_e32 v12, vcc, v10, v0
	s_ashr_i32 s17, s16, 31
	s_nop 0
	v_subbrev_co_u32_e32 v13, vcc, 0, v11, vcc
	v_or_b32_e32 v1, 32, v2
	v_lshl_add_u64 v[12:13], s[16:17], 2, v[12:13]
	v_lshl_add_u64 v[12:13], v[12:13], 0, -4
	v_cmp_gt_i32_e32 vcc, s16, v1
	s_sub_i32 s21, s16, 32
	v_mov_b32_e32 v24, 0
	v_cndmask_b32_e32 v13, v13, v9, vcc
	v_cndmask_b32_e32 v12, v12, v8, vcc
	v_cmp_gt_i32_e64 s[14:15], s21, v15
	v_mov_b32_e32 v25, 0
	s_and_saveexec_b64 s[34:35], s[14:15]
	s_cbranch_execz .LBB137_37
; %bb.36:
	flat_load_dword v25, v[12:13]
.LBB137_37:
	s_or_b64 exec, exec, s[34:35]
	s_movk_i32 s14, 0x84
	v_mad_u32_u24 v27, v15, s14, v0
	s_waitcnt vmcnt(0) lgkmcnt(0)
	ds_write_b32 v27, v25
	v_add_u32_e32 v25, 8, v15
	v_mul_u32_u24_e32 v1, 0x84, v15
	v_cmp_gt_i32_e64 s[14:15], s21, v25
	s_and_saveexec_b64 s[34:35], s[14:15]
	s_cbranch_execz .LBB137_39
; %bb.38:
	s_lshl_b32 s14, s20, 3
	s_ashr_i32 s15, s14, 31
	v_lshl_add_u64 v[24:25], s[14:15], 2, v[12:13]
	flat_load_dword v24, v[24:25]
.LBB137_39:
	s_or_b64 exec, exec, s[34:35]
	v_add_u32_e32 v1, v1, v0
	s_waitcnt vmcnt(0) lgkmcnt(0)
	ds_write_b32 v1, v24 offset:1056
	v_add_u32_e32 v24, 16, v15
	v_cmp_gt_i32_e64 s[14:15], s21, v24
	v_mov_b32_e32 v24, 0
	v_mov_b32_e32 v25, 0
	s_and_saveexec_b64 s[34:35], s[14:15]
	s_cbranch_execz .LBB137_41
; %bb.40:
	s_lshl_b32 s14, s20, 4
	s_ashr_i32 s15, s14, 31
	v_lshl_add_u64 v[28:29], s[14:15], 2, v[12:13]
	flat_load_dword v25, v[28:29]
.LBB137_41:
	s_or_b64 exec, exec, s[34:35]
	s_waitcnt vmcnt(0) lgkmcnt(0)
	ds_write_b32 v1, v25 offset:2112
	v_add_u32_e32 v25, 24, v15
	v_cmp_gt_i32_e64 s[14:15], s21, v25
	s_and_saveexec_b64 s[34:35], s[14:15]
	s_cbranch_execz .LBB137_43
; %bb.42:
	s_mul_i32 s14, s20, 24
	s_ashr_i32 s15, s14, 31
	v_lshl_add_u64 v[24:25], s[14:15], 2, v[12:13]
	flat_load_dword v24, v[24:25]
.LBB137_43:
	s_or_b64 exec, exec, s[34:35]
	s_waitcnt vmcnt(0) lgkmcnt(0)
	ds_write_b32 v1, v24 offset:3168
	v_mov_b32_e32 v1, 0
	v_lshl_add_u64 v[12:13], v[12:13], 0, v[0:1]
	s_lshl_b64 s[14:15], s[16:17], 2
	v_mov_b32_e32 v1, s15
	v_subrev_co_u32_e64 v12, s[14:15], s14, v12
	s_nop 1
	v_subb_co_u32_e64 v13, s[14:15], v13, v1, s[14:15]
	s_mov_b64 s[14:15], 0x84
	s_nop 0
	v_lshl_add_u64 v[12:13], v[12:13], 0, s[14:15]
	v_cndmask_b32_e32 v13, v13, v9, vcc
	v_cndmask_b32_e32 v12, v12, v8, vcc
	v_mul_u32_u24_e32 v1, 0x210, v15
	s_branch .LBB137_46
.LBB137_44:
                                        ; implicit-def: $vgpr12_vgpr13
	v_mul_u32_u24_e32 v1, 0x210, v15
	s_cbranch_execz .LBB137_46
; %bb.45:
	s_lshl_b32 s14, s20, 3
	s_ashr_i32 s15, s14, 31
	s_ashr_i32 s21, s20, 31
	v_lshl_add_u64 v[12:13], s[14:15], 2, v[10:11]
	s_lshl_b64 s[14:15], s[20:21], 5
	v_lshl_add_u64 v[24:25], v[12:13], 0, s[14:15]
	v_lshl_add_u64 v[28:29], v[24:25], 0, s[14:15]
	flat_load_dword v27, v[10:11] offset:128
	flat_load_dword v30, v[12:13] offset:128
	;; [unrolled: 1-line block ×4, first 2 shown]
	s_movk_i32 s14, 0x84
	v_mad_u32_u24 v10, v15, s14, v0
	v_mov_b64_e32 v[12:13], v[8:9]
	s_waitcnt vmcnt(0) lgkmcnt(0)
	ds_write_b32 v10, v27
	ds_write_b32 v10, v30 offset:1056
	ds_write_b32 v10, v31 offset:2112
	ds_write_b32 v10, v32 offset:3168
.LBB137_46:
	v_mul_u32_u24_e32 v3, 0x84, v3
	v_add_u32_e32 v24, v0, v1
	v_lshl_add_u32 v1, v20, 2, v21
	s_waitcnt lgkmcnt(0)
	s_barrier
	s_and_saveexec_b64 s[14:15], s[4:5]
	s_cbranch_execz .LBB137_50
; %bb.47:
	ds_read_b32 v8, v24
	s_waitcnt lgkmcnt(0)
	ds_write_b32 v1, v8
	s_or_b64 exec, exec, s[14:15]
	v_add_u32_e32 v25, v0, v3
	s_and_saveexec_b64 s[4:5], s[6:7]
	s_cbranch_execnz .LBB137_51
.LBB137_48:
	s_or_b64 exec, exec, s[4:5]
	s_and_saveexec_b64 s[4:5], s[8:9]
	s_cbranch_execz .LBB137_52
.LBB137_49:
	ds_read_b32 v3, v25 offset:132
	s_waitcnt lgkmcnt(0)
	ds_write_b32 v1, v3 offset:8
	s_or_b64 exec, exec, s[4:5]
	v_add_u32_e32 v26, 0x11c0, v26
	s_and_saveexec_b64 s[4:5], s[10:11]
	s_cbranch_execnz .LBB137_53
	s_branch .LBB137_54
.LBB137_50:
	s_or_b64 exec, exec, s[14:15]
	v_add_u32_e32 v25, v0, v3
	s_and_saveexec_b64 s[4:5], s[6:7]
	s_cbranch_execz .LBB137_48
.LBB137_51:
	ds_read_b32 v3, v25
	s_waitcnt lgkmcnt(0)
	ds_write_b32 v1, v3 offset:4
	s_or_b64 exec, exec, s[4:5]
	s_and_saveexec_b64 s[4:5], s[8:9]
	s_cbranch_execnz .LBB137_49
.LBB137_52:
	s_or_b64 exec, exec, s[4:5]
	v_add_u32_e32 v26, 0x11c0, v26
	s_and_saveexec_b64 s[4:5], s[10:11]
	s_cbranch_execz .LBB137_54
.LBB137_53:
	ds_read_b32 v3, v23
	s_waitcnt lgkmcnt(0)
	ds_write_b32 v1, v3 offset:12
.LBB137_54:
	s_or_b64 exec, exec, s[4:5]
	s_waitcnt lgkmcnt(0)
	s_barrier
	ds_read2_b32 v[32:33], v25 offset1:33
	ds_read_b32 v28, v24
	ds_read_b128 v[8:11], v26 offset:128
	ds_read_b32 v31, v23
	v_cmp_eq_u32_e64 s[4:5], 1, v15
	s_waitcnt lgkmcnt(3)
	v_mov_b32_e32 v29, v32
	v_mov_b32_e32 v30, v33
	s_waitcnt lgkmcnt(1)
	v_pk_mul_f32 v[8:9], v[28:29], v[8:9]
	s_waitcnt lgkmcnt(0)
	v_add_f32_e32 v1, 0, v8
	v_add_f32_e32 v1, v1, v9
	v_pk_mul_f32 v[8:9], v[30:31], v[10:11]
	s_barrier
	v_add_f32_e32 v1, v1, v8
	v_add_f32_e32 v1, v1, v9
	ds_write_b32 v22, v1
	s_waitcnt lgkmcnt(0)
	s_barrier
	s_and_saveexec_b64 s[6:7], s[4:5]
	s_cbranch_execz .LBB137_56
; %bb.55:
	ds_read2_b32 v[8:9], v21 offset1:1
	ds_read2_b32 v[10:11], v21 offset0:2 offset1:3
	ds_read2_b32 v[28:29], v21 offset0:4 offset1:5
	;; [unrolled: 1-line block ×3, first 2 shown]
	s_waitcnt lgkmcnt(3)
	v_add_f32_e32 v1, v8, v9
	s_waitcnt lgkmcnt(2)
	v_add_f32_e32 v1, v1, v10
	v_add_f32_e32 v1, v1, v11
	s_waitcnt lgkmcnt(1)
	v_add_f32_e32 v1, v1, v28
	;; [unrolled: 3-line block ×3, first 2 shown]
	v_add_f32_e32 v19, v1, v31
.LBB137_56:
	s_or_b64 exec, exec, s[6:7]
	s_movk_i32 s6, 0xff80
	s_mov_b32 s7, -1
	v_lshl_add_u64 v[10:11], v[12:13], 0, s[6:7]
	s_and_b64 vcc, exec, s[30:31]
	s_barrier
	s_cbranch_vccz .LBB137_66
; %bb.57:
	v_sub_co_u32_e32 v12, vcc, v10, v0
	s_ashr_i32 s17, s16, 31
	s_nop 0
	v_subbrev_co_u32_e32 v13, vcc, 0, v11, vcc
	v_lshl_add_u64 v[12:13], s[16:17], 2, v[12:13]
	v_lshl_add_u64 v[12:13], v[12:13], 0, -4
	v_cmp_gt_i32_e32 vcc, s16, v2
	s_sub_i32 s10, s16, 32
	v_mov_b32_e32 v8, 0
	v_cndmask_b32_e32 v3, v13, v11, vcc
	v_cndmask_b32_e32 v2, v12, v10, vcc
	v_cmp_gt_i32_e64 s[6:7], s10, v15
	v_mov_b32_e32 v9, 0
	s_and_saveexec_b64 s[8:9], s[6:7]
	s_cbranch_execz .LBB137_59
; %bb.58:
	flat_load_dword v9, v[2:3]
.LBB137_59:
	s_or_b64 exec, exec, s[8:9]
	s_movk_i32 s6, 0x84
	v_mad_u32_u24 v12, v15, s6, v0
	s_waitcnt vmcnt(0) lgkmcnt(0)
	ds_write_b32 v12, v9
	v_add_u32_e32 v12, 8, v15
	v_mul_u32_u24_e32 v1, 0x84, v15
	v_cmp_gt_i32_e64 s[6:7], s10, v12
	s_and_saveexec_b64 s[8:9], s[6:7]
	s_cbranch_execz .LBB137_61
; %bb.60:
	s_lshl_b32 s6, s20, 3
	s_ashr_i32 s7, s6, 31
	v_lshl_add_u64 v[8:9], s[6:7], 2, v[2:3]
	flat_load_dword v8, v[8:9]
.LBB137_61:
	s_or_b64 exec, exec, s[8:9]
	v_add_u32_e32 v1, v1, v0
	v_add_u32_e32 v13, 16, v15
	s_waitcnt vmcnt(0) lgkmcnt(0)
	ds_write_b32 v1, v8 offset:1056
	v_cmp_gt_i32_e64 s[6:7], s10, v13
	v_mov_b32_e32 v8, 0
	v_mov_b32_e32 v9, 0
	s_and_saveexec_b64 s[8:9], s[6:7]
	s_cbranch_execz .LBB137_63
; %bb.62:
	s_lshl_b32 s6, s20, 4
	s_ashr_i32 s7, s6, 31
	v_lshl_add_u64 v[28:29], s[6:7], 2, v[2:3]
	flat_load_dword v9, v[28:29]
.LBB137_63:
	s_or_b64 exec, exec, s[8:9]
	v_add_u32_e32 v27, 24, v15
	v_cmp_gt_i32_e64 s[6:7], s10, v27
	s_waitcnt vmcnt(0) lgkmcnt(0)
	ds_write_b32 v1, v9 offset:2112
	s_and_saveexec_b64 s[8:9], s[6:7]
	s_cbranch_execz .LBB137_65
; %bb.64:
	s_mul_i32 s6, s20, 24
	s_ashr_i32 s7, s6, 31
	v_lshl_add_u64 v[8:9], s[6:7], 2, v[2:3]
	flat_load_dword v8, v[8:9]
.LBB137_65:
	s_or_b64 exec, exec, s[8:9]
	s_waitcnt vmcnt(0) lgkmcnt(0)
	ds_write_b32 v1, v8 offset:3168
	v_mov_b32_e32 v1, 0
	v_lshl_add_u64 v[2:3], v[2:3], 0, v[0:1]
	s_lshl_b64 s[6:7], s[16:17], 2
	v_mov_b32_e32 v1, s7
	v_subrev_co_u32_e64 v2, s[6:7], s6, v2
	s_nop 1
	v_subb_co_u32_e64 v3, s[6:7], v3, v1, s[6:7]
	v_lshl_add_u64 v[2:3], v[2:3], 0, 4
	v_cndmask_b32_e32 v9, v3, v11, vcc
	v_cndmask_b32_e32 v8, v2, v10, vcc
	s_branch .LBB137_68
.LBB137_66:
                                        ; implicit-def: $vgpr8_vgpr9
                                        ; implicit-def: $vgpr12
                                        ; implicit-def: $vgpr13
                                        ; implicit-def: $vgpr27
	s_cbranch_execz .LBB137_68
; %bb.67:
	s_lshl_b32 s6, s20, 3
	s_ashr_i32 s7, s6, 31
	s_ashr_i32 s21, s20, 31
	v_lshl_add_u64 v[2:3], s[6:7], 2, v[10:11]
	s_lshl_b64 s[6:7], s[20:21], 5
	v_lshl_add_u64 v[8:9], v[2:3], 0, s[6:7]
	v_lshl_add_u64 v[12:13], v[8:9], 0, s[6:7]
	flat_load_dword v1, v[10:11]
	flat_load_dword v28, v[2:3]
	;; [unrolled: 1-line block ×4, first 2 shown]
	s_movk_i32 s6, 0x84
	v_add_u32_e32 v12, 8, v15
	v_add_u32_e32 v13, 16, v15
	;; [unrolled: 1-line block ×3, first 2 shown]
	v_mad_u32_u24 v0, v15, s6, v0
	v_mov_b64_e32 v[8:9], v[10:11]
	s_waitcnt vmcnt(0) lgkmcnt(0)
	ds_write_b32 v0, v1
	ds_write_b32 v0, v28 offset:1056
	ds_write_b32 v0, v29 offset:2112
	;; [unrolled: 1-line block ×3, first 2 shown]
.LBB137_68:
	v_add_u32_e32 v0, v21, v20
	s_waitcnt lgkmcnt(0)
	s_barrier
	ds_read_b32 v10, v0
	ds_read_b32 v28, v20 offset:4544
	v_lshlrev_b32_e32 v0, 2, v12
	v_lshlrev_b32_e32 v2, 2, v13
	v_add_u32_e32 v1, v21, v0
	v_add_u32_e32 v3, v21, v2
	v_lshlrev_b32_e32 v13, 2, v27
	v_add_u32_e32 v15, v21, v13
	ds_read_b32 v11, v1
	ds_read_b32 v30, v3
	;; [unrolled: 1-line block ×3, first 2 shown]
	ds_read_b32 v33, v13 offset:4544
	ds_read_b32 v32, v2 offset:4544
	ds_read_b32 v29, v0 offset:4544
	ds_read_b32 v31, v15
	ds_read_b128 v[0:3], v26 offset:128
	ds_read_b32 v13, v23
	s_waitcnt lgkmcnt(3)
	v_pk_mul_f32 v[26:27], v[10:11], v[28:29]
	ds_read2_b32 v[10:11], v25 offset1:33
	v_add_f32_e32 v15, 0, v26
	s_waitcnt lgkmcnt(3)
	v_pk_mul_f32 v[28:29], v[30:31], v[32:33]
	v_add_f32_e32 v15, v15, v27
	v_add_f32_e32 v15, v15, v28
	;; [unrolled: 1-line block ×3, first 2 shown]
	s_waitcnt lgkmcnt(0)
	s_barrier
	ds_write_b32 v22, v15
	s_waitcnt lgkmcnt(0)
	s_barrier
	s_and_saveexec_b64 s[6:7], s[4:5]
	s_cbranch_execz .LBB137_70
; %bb.69:
	ds_read2_b32 v[24:25], v21 offset1:1
	ds_read2_b32 v[26:27], v21 offset0:2 offset1:3
	ds_read2_b32 v[28:29], v21 offset0:4 offset1:5
	ds_read2_b32 v[30:31], v21 offset0:6 offset1:7
	s_waitcnt lgkmcnt(3)
	v_add_f32_e32 v15, v19, v24
	v_add_f32_e32 v15, v15, v25
	s_waitcnt lgkmcnt(2)
	v_add_f32_e32 v15, v15, v26
	v_add_f32_e32 v15, v15, v27
	;; [unrolled: 3-line block ×4, first 2 shown]
.LBB137_70:
	s_or_b64 exec, exec, s[6:7]
	v_fma_f32 v0, v12, v0, 0
	v_fmac_f32_e32 v0, v10, v1
	v_fmac_f32_e32 v0, v11, v2
	;; [unrolled: 1-line block ×3, first 2 shown]
	s_barrier
	ds_write_b32 v22, v0
	s_waitcnt lgkmcnt(0)
	s_barrier
	s_and_saveexec_b64 s[4:5], s[0:1]
	s_cbranch_execz .LBB137_72
; %bb.71:
	ds_read2_b32 v[0:1], v21 offset1:1
	ds_read2_b32 v[2:3], v21 offset0:2 offset1:3
	ds_read2_b32 v[10:11], v21 offset0:4 offset1:5
	;; [unrolled: 1-line block ×3, first 2 shown]
	s_waitcnt lgkmcnt(3)
	v_add_f32_e32 v0, v19, v0
	v_add_f32_e32 v0, v0, v1
	s_waitcnt lgkmcnt(2)
	v_add_f32_e32 v0, v0, v2
	v_add_f32_e32 v0, v0, v3
	;; [unrolled: 3-line block ×4, first 2 shown]
.LBB137_72:
	s_or_b64 exec, exec, s[4:5]
	s_mul_hi_u32 s0, s23, s22
	s_mul_i32 s37, s37, s22
	s_add_i32 s0, s0, s37
	s_mul_i32 s4, s23, s22
	s_mul_i32 s0, s0, s3
	s_mul_hi_u32 s1, s4, s3
	s_add_i32 s1, s1, s0
	s_mul_i32 s0, s4, s3
	s_lshl_b64 s[0:1], s[0:1], 2
	s_add_u32 s4, s26, s0
	s_addc_u32 s5, s27, s1
	s_mul_hi_i32 s1, s23, s2
	s_mul_i32 s0, s23, s2
	s_lshl_b64 s[0:1], s[0:1], 2
	s_add_u32 s6, s4, s0
	s_addc_u32 s7, s5, s1
	s_add_i32 s8, s2, 1
	s_cmp_ge_u32 s8, s3
	v_lshlrev_b32_e32 v86, 2, v18
	s_barrier
	s_cbranch_scc1 .LBB137_129
; %bb.73:
	s_mul_i32 s0, s36, s24
	v_mov_b32_e32 v3, 0x10c0
	s_ashr_i32 s1, s0, 31
	v_lshl_add_u32 v88, v17, 4, v3
	v_lshrrev_b32_e32 v3, 2, v14
	s_lshl_b64 s[0:1], s[0:1], 2
	v_and_b32_e32 v2, 15, v18
	s_movk_i32 s10, 0x10c
	v_and_b32_e32 v3, 0x7ffc, v3
	v_lshlrev_b32_e32 v87, 2, v17
	v_mov_b32_e32 v0, s1
	v_subrev_co_u32_e32 v20, vcc, s0, v6
	v_mad_u32_u24 v89, v2, s10, v3
	v_and_b32_e32 v3, 48, v18
	v_subb_co_u32_e32 v21, vcc, v7, v0, vcc
	v_mad_u64_u32 v[0:1], s[0:1], s20, v87, v[18:19]
	v_lshlrev_b32_e32 v3, 2, v3
	v_ashrrev_i32_e32 v1, 31, v0
	v_mad_u32_u24 v90, v2, s10, v3
	v_or_b32_e32 v3, 60, v86
	s_lshl_b32 s30, s36, 6
	v_mul_u32_u24_e32 v10, 0x10c, v2
	s_lshl_b32 s4, s20, 4
	v_mad_u32_u24 v91, v2, s10, v3
	s_ashr_i32 s21, s20, 31
	s_lshl_b32 s24, s20, 1
	s_mul_i32 s26, s20, 3
	s_mul_i32 s36, s36, s8
	v_lshlrev_b64 v[2:3], 2, v[0:1]
	s_lshl_b64 s[14:15], s[28:29], 2
	s_add_i32 s17, s3, -2
	s_ashr_i32 s5, s4, 31
	s_ashr_i32 s25, s24, 31
	;; [unrolled: 1-line block ×3, first 2 shown]
	s_lshl_b64 s[22:23], s[20:21], 2
	s_lshl_b32 s8, s36, 6
	s_lshl_b64 s[34:35], s[20:21], 3
	v_mad_i64_i32 v[28:29], s[38:39], v4, -4, v[2:3]
	v_lshl_add_u64 v[2:3], s[28:29], 0, v[0:1]
	s_add_u32 s36, s34, s14
	v_lshlrev_b64 v[2:3], 2, v[2:3]
	v_lshlrev_b64 v[6:7], 2, v[4:5]
	s_addc_u32 s37, s35, s15
	s_lshl_b64 s[10:11], s[4:5], 4
	v_mad_i64_i32 v[4:5], s[38:39], s20, 12, v[2:3]
	s_add_u32 s38, s22, s14
	s_addc_u32 s39, s23, s15
	s_lshl_b64 s[24:25], s[24:25], 2
	s_add_u32 s40, s14, s24
	s_addc_u32 s41, s15, s25
	s_lshl_b64 s[26:27], s[26:27], 2
	v_lshl_add_u64 v[34:35], v[8:9], 0, s[40:41]
	s_add_u32 s40, s14, s26
	s_addc_u32 s41, s15, s27
	v_lshl_add_u64 v[36:37], v[8:9], 0, s[40:41]
	s_lshl_b64 s[40:41], s[4:5], 2
	s_add_u32 s42, s36, s40
	s_addc_u32 s43, s37, s41
	s_add_u32 s28, s28, s4
	s_addc_u32 s29, s29, s5
	v_lshl_add_u64 v[0:1], s[28:29], 0, v[0:1]
	v_lshlrev_b64 v[0:1], 2, v[0:1]
	v_mad_i64_i32 v[0:1], s[28:29], s20, 12, v[0:1]
	s_add_u32 s28, s38, s40
	s_addc_u32 s29, s39, s41
	v_lshl_add_u64 v[42:43], v[8:9], 0, s[28:29]
	s_add_u32 s28, s14, s40
	s_addc_u32 s29, s15, s41
	v_lshl_add_u64 v[32:33], v[8:9], 0, s[38:39]
	;; [unrolled: 3-line block ×4, first 2 shown]
	s_lshl_b64 s[28:29], s[4:5], 3
	v_lshl_add_u64 v[26:27], v[8:9], 0, s[36:37]
	s_add_u32 s36, s36, s28
	s_mul_i32 s44, s20, 12
	s_addc_u32 s37, s37, s29
	s_mul_hi_i32 s31, s20, 12
	v_lshl_add_u64 v[50:51], v[8:9], 0, s[36:37]
	s_add_u32 s36, s44, s28
	s_addc_u32 s37, s31, s29
	v_lshl_add_u64 v[22:23], v[8:9], 0, s[14:15]
	s_add_u32 s14, s28, s14
	s_addc_u32 s15, s29, s15
	s_add_u32 s28, s14, s22
	s_addc_u32 s29, s15, s23
	v_lshl_add_u64 v[40:41], v[8:9], 0, v[0:1]
	v_lshl_add_u64 v[0:1], s[36:37], 0, v[2:3]
	s_add_u32 s36, s14, s24
	s_addc_u32 s37, s15, s25
	v_lshl_add_u64 v[46:47], v[8:9], 0, s[38:39]
	s_add_u32 s38, s14, s26
	s_addc_u32 s39, s15, s27
	s_mul_i32 s31, s20, 0xc0
	s_mul_hi_i32 s40, s4, 12
	s_add_u32 s34, s31, s34
	s_addc_u32 s35, s40, s35
	v_lshl_add_u64 v[52:53], v[8:9], 0, v[0:1]
	v_lshl_add_u64 v[0:1], s[34:35], 0, v[2:3]
	s_add_u32 s20, s20, s4
	v_lshl_add_u64 v[54:55], v[8:9], 0, v[0:1]
	s_addc_u32 s5, s21, s5
	v_mad_u64_u32 v[0:1], s[20:21], s20, 12, v[2:3]
	v_lshl_add_u64 v[30:31], v[8:9], 0, v[4:5]
	v_mov_b32_e32 v4, v1
	v_mad_u64_u32 v[4:5], s[20:21], s5, 12, v[4:5]
	v_mov_b32_e32 v1, v4
	v_lshl_add_u64 v[56:57], v[8:9], 0, v[0:1]
	v_mad_i64_i32 v[0:1], s[4:5], s4, 12, v[2:3]
	v_lshl_add_u64 v[2:3], v[0:1], 0, s[22:23]
	s_movk_i32 s9, 0x430
	v_and_b32_e32 v11, 0x1fff0, v14
	v_sub_co_u32_e32 v24, vcc, 0, v6
	v_lshl_add_u64 v[58:59], v[8:9], 0, v[2:3]
	v_lshl_add_u64 v[60:61], v[8:9], 0, v[0:1]
	v_lshl_add_u64 v[2:3], v[0:1], 0, s[24:25]
	v_lshl_add_u64 v[0:1], v[0:1], 0, s[26:27]
	v_cmp_gt_u32_e64 s[0:1], 64, v14
	v_subb_co_u32_e32 v25, vcc, 0, v7, vcc
	v_lshl_add_u64 v[38:39], v[8:9], 0, s[42:43]
	v_add_u32_e32 v92, v10, v11
	v_lshl_add_u64 v[62:63], v[8:9], 0, v[2:3]
	v_lshl_add_u64 v[64:65], v[8:9], 0, v[0:1]
	;; [unrolled: 1-line block ×6, first 2 shown]
	v_add_u32_e32 v93, 0x10c0, v86
	v_add_u32_e32 v94, 0x11c0, v86
	v_mad_u32_u24 v95, v17, s9, v86
	v_or_b32_e32 v96, 1, v87
	v_or_b32_e32 v97, 2, v87
	v_or_b32_e32 v98, 3, v87
	v_add_u32_e32 v99, 16, v87
	v_add_u32_e32 v100, 17, v87
	;; [unrolled: 1-line block ×13, first 2 shown]
	s_cmp_eq_u32 s17, s2
	s_cselect_b32 s22, s33, 0
	s_and_saveexec_b64 s[4:5], s[12:13]
	s_cbranch_execz .LBB137_78
	s_branch .LBB137_75
.LBB137_74:                             ;   in Loop: Header=BB137_78 Depth=1
	s_mov_b32 s2, s4
	s_cmp_eq_u32 s17, s2
	s_cselect_b32 s22, s33, 0
	s_and_saveexec_b64 s[4:5], s[12:13]
	s_cbranch_execz .LBB137_78
.LBB137_75:
	s_cmp_eq_u32 s22, 0
	s_cselect_b64 s[14:15], -1, 0
	v_cmp_gt_i32_e32 vcc, s22, v18
	s_or_b64 s[20:21], s[14:15], vcc
	v_mov_b32_e32 v0, 0
	s_and_saveexec_b64 s[14:15], s[20:21]
	s_cbranch_execz .LBB137_77
; %bb.76:
	s_ashr_i32 s9, s8, 31
	v_lshl_add_u64 v[0:1], s[8:9], 2, v[20:21]
	flat_load_dword v0, v[0:1]
.LBB137_77:
	s_or_b64 exec, exec, s[14:15]
	s_waitcnt vmcnt(0) lgkmcnt(0)
	ds_write_b32 v93, v0
.LBB137_78:                             ; =>This Inner Loop Header: Depth=1
	s_or_b64 exec, exec, s[4:5]
	s_cmp_eq_u32 s22, 0
	s_cselect_b64 s[14:15], -1, 0
	s_cmp_lg_u32 s22, 0
	s_cselect_b64 s[20:21], -1, 0
	v_lshl_add_u64 v[0:1], v[22:23], 0, v[28:29]
	s_mov_b64 s[4:5], -1
	s_and_b64 vcc, exec, s[20:21]
	s_waitcnt lgkmcnt(0)
	s_barrier
                                        ; implicit-def: $vgpr113
                                        ; implicit-def: $vgpr114
                                        ; implicit-def: $vgpr111
                                        ; implicit-def: $vgpr112
	s_cbranch_vccz .LBB137_88
; %bb.79:                               ;   in Loop: Header=BB137_78 Depth=1
	v_cmp_gt_i32_e32 vcc, s22, v87
	v_mov_b32_e32 v111, 0
	v_mov_b32_e32 v112, 0
	s_and_saveexec_b64 s[4:5], vcc
	s_cbranch_execz .LBB137_81
; %bb.80:                               ;   in Loop: Header=BB137_78 Depth=1
	flat_load_dword v112, v[0:1]
.LBB137_81:                             ;   in Loop: Header=BB137_78 Depth=1
	s_or_b64 exec, exec, s[4:5]
	v_cmp_gt_i32_e32 vcc, s22, v96
	s_and_saveexec_b64 s[4:5], vcc
	s_cbranch_execz .LBB137_83
; %bb.82:                               ;   in Loop: Header=BB137_78 Depth=1
	v_lshl_add_u64 v[2:3], v[32:33], 0, v[28:29]
	flat_load_dword v111, v[2:3]
.LBB137_83:                             ;   in Loop: Header=BB137_78 Depth=1
	s_or_b64 exec, exec, s[4:5]
	v_cmp_gt_i32_e32 vcc, s22, v97
	v_mov_b32_e32 v113, 0
	v_mov_b32_e32 v114, 0
	s_and_saveexec_b64 s[4:5], vcc
	s_cbranch_execz .LBB137_85
; %bb.84:                               ;   in Loop: Header=BB137_78 Depth=1
	v_lshl_add_u64 v[2:3], v[34:35], 0, v[28:29]
	flat_load_dword v114, v[2:3]
.LBB137_85:                             ;   in Loop: Header=BB137_78 Depth=1
	s_or_b64 exec, exec, s[4:5]
	v_cmp_gt_i32_e32 vcc, s22, v98
	s_and_saveexec_b64 s[4:5], vcc
	s_cbranch_execz .LBB137_87
; %bb.86:                               ;   in Loop: Header=BB137_78 Depth=1
	v_lshl_add_u64 v[2:3], v[36:37], 0, v[28:29]
	flat_load_dword v113, v[2:3]
.LBB137_87:                             ;   in Loop: Header=BB137_78 Depth=1
	s_or_b64 exec, exec, s[4:5]
	s_mov_b64 s[4:5], 0
.LBB137_88:                             ;   in Loop: Header=BB137_78 Depth=1
	s_and_b64 vcc, exec, s[4:5]
	s_cbranch_vccz .LBB137_90
; %bb.89:                               ;   in Loop: Header=BB137_78 Depth=1
	s_waitcnt vmcnt(0) lgkmcnt(0)
	flat_load_dword v112, v[0:1]
	v_lshl_add_u64 v[0:1], v[32:33], 0, v[28:29]
	flat_load_dword v111, v[0:1]
	v_lshl_add_u64 v[0:1], v[26:27], 0, v[28:29]
	;; [unrolled: 2-line block ×3, first 2 shown]
	flat_load_dword v113, v[0:1]
.LBB137_90:                             ;   in Loop: Header=BB137_78 Depth=1
	ds_read_b32 v4, v94
	ds_read_b128 v[0:3], v88
	s_andn2_b64 vcc, exec, s[20:21]
                                        ; implicit-def: $vgpr117
                                        ; implicit-def: $vgpr118
                                        ; implicit-def: $vgpr115
                                        ; implicit-def: $vgpr116
	s_waitcnt vmcnt(0) lgkmcnt(0)
	v_mul_f32_e32 v5, v112, v4
	v_mul_f32_e32 v6, v111, v4
	;; [unrolled: 1-line block ×4, first 2 shown]
	ds_write2_b32 v95, v5, v6 offset1:67
	ds_write2_b32 v95, v7, v4 offset0:134 offset1:201
	s_waitcnt lgkmcnt(0)
	s_barrier
	ds_read2_b32 v[78:79], v92 offset1:1
	ds_read2_b32 v[76:77], v92 offset0:2 offset1:3
	v_cndmask_b32_e64 v6, 0, 1, s[20:21]
	v_lshl_add_u64 v[4:5], v[44:45], 0, v[28:29]
	v_cmp_ne_u32_e64 s[4:5], 1, v6
	s_mov_b64 s[20:21], -1
	s_waitcnt lgkmcnt(0)
	s_barrier
	s_cbranch_vccnz .LBB137_100
; %bb.91:                               ;   in Loop: Header=BB137_78 Depth=1
	v_cmp_gt_i32_e32 vcc, s22, v99
	v_mov_b32_e32 v115, 0
	v_mov_b32_e32 v116, 0
	s_and_saveexec_b64 s[20:21], vcc
	s_cbranch_execz .LBB137_93
; %bb.92:                               ;   in Loop: Header=BB137_78 Depth=1
	flat_load_dword v116, v[4:5]
.LBB137_93:                             ;   in Loop: Header=BB137_78 Depth=1
	s_or_b64 exec, exec, s[20:21]
	v_cmp_gt_i32_e32 vcc, s22, v100
	s_and_saveexec_b64 s[20:21], vcc
	s_cbranch_execz .LBB137_95
; %bb.94:                               ;   in Loop: Header=BB137_78 Depth=1
	v_lshl_add_u64 v[6:7], v[42:43], 0, v[28:29]
	flat_load_dword v115, v[6:7]
.LBB137_95:                             ;   in Loop: Header=BB137_78 Depth=1
	s_or_b64 exec, exec, s[20:21]
	v_cmp_gt_i32_e32 vcc, s22, v101
	v_mov_b32_e32 v117, 0
	v_mov_b32_e32 v118, 0
	s_and_saveexec_b64 s[20:21], vcc
	s_cbranch_execz .LBB137_97
; %bb.96:                               ;   in Loop: Header=BB137_78 Depth=1
	v_lshl_add_u64 v[6:7], v[46:47], 0, v[28:29]
	flat_load_dword v118, v[6:7]
.LBB137_97:                             ;   in Loop: Header=BB137_78 Depth=1
	s_or_b64 exec, exec, s[20:21]
	v_cmp_gt_i32_e32 vcc, s22, v102
	s_and_saveexec_b64 s[20:21], vcc
	s_cbranch_execz .LBB137_99
; %bb.98:                               ;   in Loop: Header=BB137_78 Depth=1
	v_lshl_add_u64 v[6:7], v[48:49], 0, v[28:29]
	flat_load_dword v117, v[6:7]
.LBB137_99:                             ;   in Loop: Header=BB137_78 Depth=1
	s_or_b64 exec, exec, s[20:21]
	s_mov_b64 s[20:21], 0
.LBB137_100:                            ;   in Loop: Header=BB137_78 Depth=1
	s_and_b64 vcc, exec, s[20:21]
	s_cbranch_vccz .LBB137_102
; %bb.101:                              ;   in Loop: Header=BB137_78 Depth=1
	s_waitcnt vmcnt(0) lgkmcnt(0)
	flat_load_dword v116, v[4:5]
	v_lshl_add_u64 v[4:5], v[42:43], 0, v[28:29]
	flat_load_dword v115, v[4:5]
	v_lshl_add_u64 v[4:5], v[38:39], 0, v[28:29]
	;; [unrolled: 2-line block ×3, first 2 shown]
	flat_load_dword v117, v[4:5]
.LBB137_102:                            ;   in Loop: Header=BB137_78 Depth=1
	ds_read_b32 v8, v94
	ds_read_b128 v[4:7], v88 offset:64
	s_and_b64 vcc, exec, s[4:5]
	s_mov_b64 s[20:21], -1
                                        ; implicit-def: $vgpr121
                                        ; implicit-def: $vgpr122
                                        ; implicit-def: $vgpr119
                                        ; implicit-def: $vgpr120
	s_waitcnt vmcnt(0) lgkmcnt(0)
	v_mul_f32_e32 v9, v116, v8
	v_mul_f32_e32 v10, v115, v8
	;; [unrolled: 1-line block ×4, first 2 shown]
	ds_write2_b32 v95, v9, v10 offset1:67
	ds_write2_b32 v95, v11, v8 offset0:134 offset1:201
	s_waitcnt lgkmcnt(0)
	s_barrier
	ds_read2_b32 v[14:15], v92 offset1:1
	ds_read2_b32 v[12:13], v92 offset0:2 offset1:3
	v_lshl_add_u64 v[8:9], v[68:69], 0, v[28:29]
	s_waitcnt lgkmcnt(0)
	s_barrier
	s_cbranch_vccnz .LBB137_112
; %bb.103:                              ;   in Loop: Header=BB137_78 Depth=1
	v_cmp_gt_i32_e32 vcc, s22, v103
	v_mov_b32_e32 v119, 0
	v_mov_b32_e32 v120, 0
	s_and_saveexec_b64 s[20:21], vcc
	s_cbranch_execz .LBB137_105
; %bb.104:                              ;   in Loop: Header=BB137_78 Depth=1
	flat_load_dword v120, v[8:9]
.LBB137_105:                            ;   in Loop: Header=BB137_78 Depth=1
	s_or_b64 exec, exec, s[20:21]
	v_cmp_gt_i32_e32 vcc, s22, v104
	s_and_saveexec_b64 s[20:21], vcc
	s_cbranch_execz .LBB137_107
; %bb.106:                              ;   in Loop: Header=BB137_78 Depth=1
	v_lshl_add_u64 v[10:11], v[66:67], 0, v[28:29]
	flat_load_dword v119, v[10:11]
.LBB137_107:                            ;   in Loop: Header=BB137_78 Depth=1
	s_or_b64 exec, exec, s[20:21]
	v_cmp_gt_i32_e32 vcc, s22, v105
	v_mov_b32_e32 v121, 0
	v_mov_b32_e32 v122, 0
	s_and_saveexec_b64 s[20:21], vcc
	s_cbranch_execz .LBB137_109
; %bb.108:                              ;   in Loop: Header=BB137_78 Depth=1
	v_lshl_add_u64 v[10:11], v[70:71], 0, v[28:29]
	flat_load_dword v122, v[10:11]
.LBB137_109:                            ;   in Loop: Header=BB137_78 Depth=1
	s_or_b64 exec, exec, s[20:21]
	v_cmp_gt_i32_e32 vcc, s22, v106
	s_and_saveexec_b64 s[20:21], vcc
	s_cbranch_execz .LBB137_111
; %bb.110:                              ;   in Loop: Header=BB137_78 Depth=1
	v_lshl_add_u64 v[10:11], v[72:73], 0, v[28:29]
	flat_load_dword v121, v[10:11]
.LBB137_111:                            ;   in Loop: Header=BB137_78 Depth=1
	s_or_b64 exec, exec, s[20:21]
	s_mov_b64 s[20:21], 0
.LBB137_112:                            ;   in Loop: Header=BB137_78 Depth=1
	s_and_b64 vcc, exec, s[20:21]
	s_cbranch_vccz .LBB137_114
; %bb.113:                              ;   in Loop: Header=BB137_78 Depth=1
	s_waitcnt vmcnt(0) lgkmcnt(0)
	flat_load_dword v120, v[8:9]
	v_lshl_add_u64 v[8:9], v[66:67], 0, v[28:29]
	flat_load_dword v119, v[8:9]
	v_lshl_add_u64 v[8:9], v[50:51], 0, v[28:29]
	;; [unrolled: 2-line block ×3, first 2 shown]
	flat_load_dword v121, v[8:9]
.LBB137_114:                            ;   in Loop: Header=BB137_78 Depth=1
	ds_read_b32 v75, v94
	ds_read_b128 v[8:11], v88 offset:128
	v_lshl_add_u64 v[84:85], v[60:61], 0, v[24:25]
	s_and_b64 vcc, exec, s[4:5]
	s_mov_b64 s[4:5], -1
	s_waitcnt vmcnt(0) lgkmcnt(0)
	v_mul_f32_e32 v80, v120, v75
	v_mul_f32_e32 v81, v119, v75
	;; [unrolled: 1-line block ×4, first 2 shown]
	ds_write2_b32 v95, v80, v81 offset1:67
	ds_write2_b32 v95, v82, v75 offset0:134 offset1:201
	s_waitcnt lgkmcnt(0)
	s_barrier
	ds_read2_b32 v[82:83], v92 offset1:1
	ds_read2_b32 v[80:81], v92 offset0:2 offset1:3
	s_waitcnt lgkmcnt(0)
	s_barrier
                                        ; implicit-def: $vgpr125
                                        ; implicit-def: $vgpr126
                                        ; implicit-def: $vgpr123
                                        ; implicit-def: $vgpr124
	s_cbranch_vccnz .LBB137_124
; %bb.115:                              ;   in Loop: Header=BB137_78 Depth=1
	v_cmp_gt_i32_e32 vcc, s22, v107
	v_mov_b32_e32 v123, 0
	v_mov_b32_e32 v124, 0
	s_and_saveexec_b64 s[4:5], vcc
	s_cbranch_execz .LBB137_117
; %bb.116:                              ;   in Loop: Header=BB137_78 Depth=1
	flat_load_dword v124, v[84:85]
.LBB137_117:                            ;   in Loop: Header=BB137_78 Depth=1
	s_or_b64 exec, exec, s[4:5]
	v_cmp_gt_i32_e32 vcc, s22, v108
	s_and_saveexec_b64 s[4:5], vcc
	s_cbranch_execz .LBB137_119
; %bb.118:                              ;   in Loop: Header=BB137_78 Depth=1
	v_lshl_add_u64 v[126:127], v[58:59], 0, v[24:25]
	flat_load_dword v123, v[126:127]
.LBB137_119:                            ;   in Loop: Header=BB137_78 Depth=1
	s_or_b64 exec, exec, s[4:5]
	v_cmp_gt_i32_e32 vcc, s22, v109
	v_mov_b32_e32 v125, 0
	v_mov_b32_e32 v126, 0
	s_and_saveexec_b64 s[4:5], vcc
	s_cbranch_execz .LBB137_121
; %bb.120:                              ;   in Loop: Header=BB137_78 Depth=1
	v_lshl_add_u64 v[126:127], v[62:63], 0, v[24:25]
	flat_load_dword v126, v[126:127]
.LBB137_121:                            ;   in Loop: Header=BB137_78 Depth=1
	s_or_b64 exec, exec, s[4:5]
	v_cmp_gt_i32_e32 vcc, s22, v110
	s_and_saveexec_b64 s[4:5], vcc
	s_cbranch_execz .LBB137_123
; %bb.122:                              ;   in Loop: Header=BB137_78 Depth=1
	v_lshl_add_u64 v[128:129], v[64:65], 0, v[24:25]
	flat_load_dword v125, v[128:129]
.LBB137_123:                            ;   in Loop: Header=BB137_78 Depth=1
	s_or_b64 exec, exec, s[4:5]
	s_mov_b64 s[4:5], 0
.LBB137_124:                            ;   in Loop: Header=BB137_78 Depth=1
	s_and_b64 vcc, exec, s[4:5]
	s_cbranch_vccz .LBB137_126
; %bb.125:                              ;   in Loop: Header=BB137_78 Depth=1
	s_waitcnt vmcnt(0) lgkmcnt(0)
	flat_load_dword v124, v[84:85]
	v_lshl_add_u64 v[84:85], v[58:59], 0, v[24:25]
	flat_load_dword v123, v[84:85]
	v_lshl_add_u64 v[84:85], v[54:55], 0, v[24:25]
	;; [unrolled: 2-line block ×3, first 2 shown]
	flat_load_dword v125, v[84:85]
.LBB137_126:                            ;   in Loop: Header=BB137_78 Depth=1
	v_add_f32_e32 v75, 0, v82
	v_add_f32_e32 v75, v75, v83
	;; [unrolled: 1-line block ×3, first 2 shown]
	ds_read_b32 v80, v94
	v_add_f32_e32 v14, 0, v14
	v_add_f32_e32 v14, v14, v15
	;; [unrolled: 1-line block ×5, first 2 shown]
	ds_read_b128 v[12:15], v88 offset:192
	s_waitcnt vmcnt(0) lgkmcnt(0)
	v_mul_f32_e32 v81, v124, v80
	v_mul_f32_e32 v83, v123, v80
	ds_write2_b32 v95, v81, v83 offset1:67
	v_mul_f32_e32 v81, v126, v80
	v_mul_f32_e32 v80, v125, v80
	ds_write2_b32 v95, v81, v80 offset0:134 offset1:201
	s_waitcnt lgkmcnt(0)
	s_barrier
	ds_read2_b32 v[80:81], v92 offset1:1
	v_add_f32_e32 v78, 0, v78
	v_add_f32_e32 v83, v78, v79
	ds_read2_b32 v[78:79], v92 offset0:2 offset1:3
	v_add_f32_e32 v76, v83, v76
	v_add_f32_e32 v76, v76, v77
	s_waitcnt lgkmcnt(1)
	v_add_f32_e32 v77, 0, v80
	v_cmp_gt_i32_e32 vcc, s22, v18
	v_add_f32_e32 v77, v77, v81
	s_or_b64 s[4:5], s[14:15], vcc
	s_waitcnt lgkmcnt(0)
	v_add_f32_e32 v77, v77, v78
	s_and_b64 s[14:15], s[0:1], s[4:5]
	v_add_f32_e32 v77, v77, v79
	s_barrier
	ds_write2_b32 v89, v76, v82 offset1:16
	ds_write2_b32 v89, v75, v77 offset0:32 offset1:48
	s_waitcnt lgkmcnt(0)
	s_barrier
	s_and_saveexec_b64 s[4:5], s[14:15]
	s_cbranch_execz .LBB137_128
; %bb.127:                              ;   in Loop: Header=BB137_78 Depth=1
	ds_read2_b32 v[76:77], v90 offset1:1
	ds_read2_b32 v[78:79], v90 offset0:2 offset1:3
	ds_read2_b32 v[80:81], v90 offset0:4 offset1:5
	;; [unrolled: 1-line block ×4, first 2 shown]
	s_waitcnt lgkmcnt(4)
	v_add_f32_e32 v75, v76, v77
	s_waitcnt lgkmcnt(3)
	v_add_f32_e32 v75, v75, v78
	v_add_f32_e32 v75, v75, v79
	s_waitcnt lgkmcnt(2)
	v_add_f32_e32 v75, v75, v80
	;; [unrolled: 3-line block ×3, first 2 shown]
	v_add_f32_e32 v75, v75, v83
	ds_read2_b32 v[76:77], v90 offset0:10 offset1:11
	ds_read2_b32 v[78:79], v90 offset0:12 offset1:13
	ds_read_b32 v80, v90 offset:56
	s_waitcnt lgkmcnt(3)
	v_add_f32_e32 v75, v75, v84
	v_add_f32_e32 v75, v75, v85
	s_waitcnt lgkmcnt(2)
	v_add_f32_e32 v75, v75, v76
	ds_read_b32 v76, v91
	v_add_f32_e32 v75, v75, v77
	s_waitcnt lgkmcnt(2)
	v_add_f32_e32 v75, v75, v78
	v_add_f32_e32 v75, v75, v79
	s_waitcnt lgkmcnt(1)
	v_add_f32_e32 v75, v75, v80
	s_waitcnt lgkmcnt(0)
	v_add_f32_e32 v78, v75, v76
	v_ashrrev_i32_e32 v75, 31, v74
	v_lshl_add_u64 v[76:77], v[74:75], 2, s[6:7]
	global_store_dword v[76:77], v78, off
.LBB137_128:                            ;   in Loop: Header=BB137_78 Depth=1
	s_or_b64 exec, exec, s[4:5]
	v_fmac_f32_e32 v19, v112, v0
	v_fmac_f32_e32 v19, v111, v1
	;; [unrolled: 1-line block ×15, first 2 shown]
	s_add_i32 s4, s2, 1
	s_add_i32 s8, s8, s30
	;; [unrolled: 1-line block ×3, first 2 shown]
	v_fmac_f32_e32 v19, v125, v15
	v_add_u32_e32 v74, 64, v74
	v_lshl_add_u64 v[26:27], v[26:27], 0, s[10:11]
	v_lshl_add_u64 v[30:31], v[30:31], 0, s[10:11]
	;; [unrolled: 1-line block ×23, first 2 shown]
	s_cmp_ge_u32 s2, s3
	v_lshl_add_u64 v[64:65], v[64:65], 0, s[10:11]
	s_barrier
	s_cbranch_scc0 .LBB137_74
.LBB137_129:
	s_movk_i32 s0, 0x10c
	v_cmp_gt_i32_e32 vcc, s16, v18
	v_mad_u32_u24 v0, v17, s0, v86
	s_or_b64 s[0:1], s[18:19], vcc
	s_and_b64 s[0:1], s[12:13], s[0:1]
	ds_write_b32 v0, v19
	s_waitcnt lgkmcnt(0)
	s_barrier
	s_and_saveexec_b64 s[2:3], s[0:1]
	s_cbranch_execz .LBB137_4
; %bb.130:
	ds_read2_b32 v[0:1], v86 offset1:67
	ds_read2_b32 v[2:3], v86 offset0:134 offset1:201
	v_ashrrev_i32_e32 v17, 31, v16
	s_waitcnt lgkmcnt(1)
	v_add_f32_e32 v0, v0, v1
	s_waitcnt lgkmcnt(0)
	v_add_f32_e32 v0, v0, v2
	v_add_f32_e32 v2, v0, v3
	v_lshl_add_u64 v[0:1], v[16:17], 2, s[6:7]
	global_store_dword v[0:1], v2, off
	s_endpgm
	.section	.rodata,"a",@progbits
	.p2align	6, 0x0
	.amdhsa_kernel _ZL26rocblas_hemvn_kernel_upperILb0ELi64ELi4ELi33ELi32ELi16EiPKfPKS1_PfEviT6_lT7_lT5_lS6_lS7_lS5_lT8_i
		.amdhsa_group_segment_fixed_size 4800
		.amdhsa_private_segment_fixed_size 0
		.amdhsa_kernarg_size 376
		.amdhsa_user_sgpr_count 2
		.amdhsa_user_sgpr_dispatch_ptr 0
		.amdhsa_user_sgpr_queue_ptr 0
		.amdhsa_user_sgpr_kernarg_segment_ptr 1
		.amdhsa_user_sgpr_dispatch_id 0
		.amdhsa_user_sgpr_kernarg_preload_length 0
		.amdhsa_user_sgpr_kernarg_preload_offset 0
		.amdhsa_user_sgpr_private_segment_size 0
		.amdhsa_uses_dynamic_stack 0
		.amdhsa_enable_private_segment 0
		.amdhsa_system_sgpr_workgroup_id_x 1
		.amdhsa_system_sgpr_workgroup_id_y 0
		.amdhsa_system_sgpr_workgroup_id_z 1
		.amdhsa_system_sgpr_workgroup_info 0
		.amdhsa_system_vgpr_workitem_id 1
		.amdhsa_next_free_vgpr 130
		.amdhsa_next_free_sgpr 45
		.amdhsa_accum_offset 132
		.amdhsa_reserve_vcc 1
		.amdhsa_float_round_mode_32 0
		.amdhsa_float_round_mode_16_64 0
		.amdhsa_float_denorm_mode_32 3
		.amdhsa_float_denorm_mode_16_64 3
		.amdhsa_dx10_clamp 1
		.amdhsa_ieee_mode 1
		.amdhsa_fp16_overflow 0
		.amdhsa_tg_split 0
		.amdhsa_exception_fp_ieee_invalid_op 0
		.amdhsa_exception_fp_denorm_src 0
		.amdhsa_exception_fp_ieee_div_zero 0
		.amdhsa_exception_fp_ieee_overflow 0
		.amdhsa_exception_fp_ieee_underflow 0
		.amdhsa_exception_fp_ieee_inexact 0
		.amdhsa_exception_int_div_zero 0
	.end_amdhsa_kernel
	.section	.text._ZL26rocblas_hemvn_kernel_upperILb0ELi64ELi4ELi33ELi32ELi16EiPKfPKS1_PfEviT6_lT7_lT5_lS6_lS7_lS5_lT8_i,"axG",@progbits,_ZL26rocblas_hemvn_kernel_upperILb0ELi64ELi4ELi33ELi32ELi16EiPKfPKS1_PfEviT6_lT7_lT5_lS6_lS7_lS5_lT8_i,comdat
.Lfunc_end137:
	.size	_ZL26rocblas_hemvn_kernel_upperILb0ELi64ELi4ELi33ELi32ELi16EiPKfPKS1_PfEviT6_lT7_lT5_lS6_lS7_lS5_lT8_i, .Lfunc_end137-_ZL26rocblas_hemvn_kernel_upperILb0ELi64ELi4ELi33ELi32ELi16EiPKfPKS1_PfEviT6_lT7_lT5_lS6_lS7_lS5_lT8_i
                                        ; -- End function
	.set _ZL26rocblas_hemvn_kernel_upperILb0ELi64ELi4ELi33ELi32ELi16EiPKfPKS1_PfEviT6_lT7_lT5_lS6_lS7_lS5_lT8_i.num_vgpr, 130
	.set _ZL26rocblas_hemvn_kernel_upperILb0ELi64ELi4ELi33ELi32ELi16EiPKfPKS1_PfEviT6_lT7_lT5_lS6_lS7_lS5_lT8_i.num_agpr, 0
	.set _ZL26rocblas_hemvn_kernel_upperILb0ELi64ELi4ELi33ELi32ELi16EiPKfPKS1_PfEviT6_lT7_lT5_lS6_lS7_lS5_lT8_i.numbered_sgpr, 45
	.set _ZL26rocblas_hemvn_kernel_upperILb0ELi64ELi4ELi33ELi32ELi16EiPKfPKS1_PfEviT6_lT7_lT5_lS6_lS7_lS5_lT8_i.num_named_barrier, 0
	.set _ZL26rocblas_hemvn_kernel_upperILb0ELi64ELi4ELi33ELi32ELi16EiPKfPKS1_PfEviT6_lT7_lT5_lS6_lS7_lS5_lT8_i.private_seg_size, 0
	.set _ZL26rocblas_hemvn_kernel_upperILb0ELi64ELi4ELi33ELi32ELi16EiPKfPKS1_PfEviT6_lT7_lT5_lS6_lS7_lS5_lT8_i.uses_vcc, 1
	.set _ZL26rocblas_hemvn_kernel_upperILb0ELi64ELi4ELi33ELi32ELi16EiPKfPKS1_PfEviT6_lT7_lT5_lS6_lS7_lS5_lT8_i.uses_flat_scratch, 0
	.set _ZL26rocblas_hemvn_kernel_upperILb0ELi64ELi4ELi33ELi32ELi16EiPKfPKS1_PfEviT6_lT7_lT5_lS6_lS7_lS5_lT8_i.has_dyn_sized_stack, 0
	.set _ZL26rocblas_hemvn_kernel_upperILb0ELi64ELi4ELi33ELi32ELi16EiPKfPKS1_PfEviT6_lT7_lT5_lS6_lS7_lS5_lT8_i.has_recursion, 0
	.set _ZL26rocblas_hemvn_kernel_upperILb0ELi64ELi4ELi33ELi32ELi16EiPKfPKS1_PfEviT6_lT7_lT5_lS6_lS7_lS5_lT8_i.has_indirect_call, 0
	.section	.AMDGPU.csdata,"",@progbits
; Kernel info:
; codeLenInByte = 6556
; TotalNumSgprs: 51
; NumVgprs: 130
; NumAgprs: 0
; TotalNumVgprs: 130
; ScratchSize: 0
; MemoryBound: 0
; FloatMode: 240
; IeeeMode: 1
; LDSByteSize: 4800 bytes/workgroup (compile time only)
; SGPRBlocks: 6
; VGPRBlocks: 16
; NumSGPRsForWavesPerEU: 51
; NumVGPRsForWavesPerEU: 130
; AccumOffset: 132
; Occupancy: 3
; WaveLimiterHint : 1
; COMPUTE_PGM_RSRC2:SCRATCH_EN: 0
; COMPUTE_PGM_RSRC2:USER_SGPR: 2
; COMPUTE_PGM_RSRC2:TRAP_HANDLER: 0
; COMPUTE_PGM_RSRC2:TGID_X_EN: 1
; COMPUTE_PGM_RSRC2:TGID_Y_EN: 0
; COMPUTE_PGM_RSRC2:TGID_Z_EN: 1
; COMPUTE_PGM_RSRC2:TIDIG_COMP_CNT: 1
; COMPUTE_PGM_RSRC3_GFX90A:ACCUM_OFFSET: 32
; COMPUTE_PGM_RSRC3_GFX90A:TG_SPLIT: 0
	.section	.text._ZL36rocblas_hemvn_kernel_upper_block_sumILi64EiPKfPKPffEviT1_lS5_lT2_lT0_lPT3_i,"axG",@progbits,_ZL36rocblas_hemvn_kernel_upper_block_sumILi64EiPKfPKPffEviT1_lS5_lT2_lT0_lPT3_i,comdat
	.globl	_ZL36rocblas_hemvn_kernel_upper_block_sumILi64EiPKfPKPffEviT1_lS5_lT2_lT0_lPT3_i ; -- Begin function _ZL36rocblas_hemvn_kernel_upper_block_sumILi64EiPKfPKPffEviT1_lS5_lT2_lT0_lPT3_i
	.p2align	8
	.type	_ZL36rocblas_hemvn_kernel_upper_block_sumILi64EiPKfPKPffEviT1_lS5_lT2_lT0_lPT3_i,@function
_ZL36rocblas_hemvn_kernel_upper_block_sumILi64EiPKfPKPffEviT1_lS5_lT2_lT0_lPT3_i: ; @_ZL36rocblas_hemvn_kernel_upper_block_sumILi64EiPKfPKPffEviT1_lS5_lT2_lT0_lPT3_i
; %bb.0:
	s_load_dwordx8 s[4:11], s[0:1], 0x8
	s_mov_b32 s12, s3
	s_waitcnt lgkmcnt(0)
	s_mul_i32 s3, s7, s3
	s_mul_hi_u32 s7, s6, s12
	s_add_i32 s7, s7, s3
	s_mul_i32 s6, s6, s12
	s_lshl_b64 s[6:7], s[6:7], 2
	s_add_u32 s4, s4, s6
	s_addc_u32 s5, s5, s7
	s_load_dword s6, s[4:5], 0x0
	s_mul_i32 s3, s11, s12
	s_mul_hi_u32 s4, s10, s12
	s_add_i32 s5, s4, s3
	s_mul_i32 s4, s10, s12
	s_lshl_b64 s[4:5], s[4:5], 2
	s_add_u32 s4, s8, s4
	s_addc_u32 s5, s9, s5
	s_load_dword s7, s[4:5], 0x0
	s_waitcnt lgkmcnt(0)
	v_cmp_eq_f32_e64 s[4:5], s6, 0
	v_cmp_eq_f32_e64 s[8:9], s7, 1.0
	s_and_b64 s[4:5], s[4:5], s[8:9]
	s_and_b64 vcc, exec, s[4:5]
	s_cbranch_vccnz .LBB138_19
; %bb.1:
	s_load_dwordx4 s[8:11], s[0:1], 0x28
	s_mov_b32 s13, 0
	s_lshl_b64 s[4:5], s[12:13], 3
	s_load_dword s3, s[0:1], 0x38
	s_load_dword s14, s[0:1], 0x0
	v_lshl_or_b32 v0, s2, 6, v0
	s_waitcnt lgkmcnt(0)
	s_add_u32 s4, s8, s4
	s_addc_u32 s5, s9, s5
	s_load_dwordx2 s[4:5], s[4:5], 0x0
	s_lshl_b64 s[8:9], s[10:11], 2
	v_cmp_neq_f32_e64 s[16:17], s6, 0
	s_waitcnt lgkmcnt(0)
	s_add_u32 s8, s4, s8
	s_addc_u32 s9, s5, s9
	s_and_b64 vcc, exec, s[16:17]
	v_cmp_gt_i32_e64 s[4:5], s14, v0
	s_cbranch_vccnz .LBB138_6
; %bb.2:
	s_mov_b64 s[16:17], 0
	s_mov_b64 s[10:11], 0
                                        ; implicit-def: $vgpr4
                                        ; implicit-def: $vgpr2_vgpr3
	s_and_saveexec_b64 s[18:19], s[4:5]
	s_cbranch_execz .LBB138_7
; %bb.3:
	v_cmp_eq_f32_e64 s[4:5], s7, 0
	v_mul_lo_u32 v2, s3, v0
	v_mov_b32_e32 v4, 0
	v_ashrrev_i32_e32 v3, 31, v2
	s_and_b64 vcc, exec, s[4:5]
	s_cbranch_vccnz .LBB138_5
; %bb.4:
	v_lshl_add_u64 v[4:5], v[2:3], 2, s[8:9]
	flat_load_dword v1, v[4:5]
	s_waitcnt vmcnt(0) lgkmcnt(0)
	v_mul_f32_e32 v4, s7, v1
.LBB138_5:
	s_mov_b64 s[10:11], exec
	s_or_b64 exec, exec, s[18:19]
	s_and_b64 vcc, exec, s[16:17]
	s_cbranch_vccnz .LBB138_8
	s_branch .LBB138_17
.LBB138_6:
	s_mov_b64 s[10:11], 0
                                        ; implicit-def: $vgpr4
                                        ; implicit-def: $vgpr2_vgpr3
	s_cbranch_execnz .LBB138_8
	s_branch .LBB138_17
.LBB138_7:
	s_or_b64 exec, exec, s[18:19]
	s_and_b64 vcc, exec, s[16:17]
	s_cbranch_vccz .LBB138_17
.LBB138_8:
	v_cmp_gt_i32_e32 vcc, s14, v0
                                        ; implicit-def: $vgpr4
                                        ; implicit-def: $vgpr2_vgpr3
	s_and_saveexec_b64 s[4:5], vcc
	s_cbranch_execz .LBB138_16
; %bb.9:
	s_cmp_lt_i32 s2, 0
	v_mov_b32_e32 v1, 0
	s_cbranch_scc1 .LBB138_12
; %bb.10:
	s_load_dwordx2 s[16:17], s[0:1], 0x48
	s_load_dword s13, s[0:1], 0x58
	s_ashr_i32 s15, s14, 31
	s_mul_hi_u32 s0, s14, s12
	s_mul_i32 s1, s15, s12
	s_add_i32 s0, s0, s1
	s_mul_i32 s12, s14, s12
	s_waitcnt lgkmcnt(0)
	s_mul_i32 s0, s0, s13
	s_mul_hi_u32 s1, s12, s13
	s_add_i32 s1, s1, s0
	s_mul_i32 s0, s12, s13
	s_lshl_b64 s[0:1], s[0:1], 2
	s_add_u32 s0, s16, s0
	s_addc_u32 s1, s17, s1
	v_mov_b32_e32 v1, 0
	v_lshl_add_u64 v[2:3], v[0:1], 2, s[0:1]
	s_add_i32 s2, s2, 1
	s_lshl_b64 s[0:1], s[14:15], 2
.LBB138_11:                             ; =>This Inner Loop Header: Depth=1
	global_load_dword v4, v[2:3], off
	s_add_i32 s2, s2, -1
	v_lshl_add_u64 v[2:3], v[2:3], 0, s[0:1]
	s_cmp_eq_u32 s2, 0
	s_waitcnt vmcnt(0)
	v_add_f32_e32 v1, v1, v4
	s_cbranch_scc0 .LBB138_11
.LBB138_12:
	v_cmp_eq_f32_e64 s[0:1], s7, 0
	v_mul_lo_u32 v2, s3, v0
	s_and_b64 vcc, exec, s[0:1]
	v_ashrrev_i32_e32 v3, 31, v2
	s_cbranch_vccz .LBB138_20
; %bb.13:
	v_mul_f32_e32 v4, s6, v1
	s_cbranch_execnz .LBB138_15
.LBB138_14:
	v_lshl_add_u64 v[4:5], v[2:3], 2, s[8:9]
	flat_load_dword v5, v[4:5]
	v_mov_b32_e32 v4, v1
	s_waitcnt vmcnt(0) lgkmcnt(0)
	v_pk_mul_f32 v[0:1], s[6:7], v[4:5]
	s_nop 0
	v_add_f32_e32 v4, v0, v1
.LBB138_15:
	s_or_b64 s[10:11], s[10:11], exec
.LBB138_16:
	s_or_b64 exec, exec, s[4:5]
.LBB138_17:
	s_and_saveexec_b64 s[0:1], s[10:11]
	s_cbranch_execz .LBB138_19
; %bb.18:
	v_lshl_add_u64 v[0:1], v[2:3], 2, s[8:9]
	flat_store_dword v[0:1], v4
.LBB138_19:
	s_endpgm
.LBB138_20:
                                        ; implicit-def: $vgpr4
	s_branch .LBB138_14
	.section	.rodata,"a",@progbits
	.p2align	6, 0x0
	.amdhsa_kernel _ZL36rocblas_hemvn_kernel_upper_block_sumILi64EiPKfPKPffEviT1_lS5_lT2_lT0_lPT3_i
		.amdhsa_group_segment_fixed_size 0
		.amdhsa_private_segment_fixed_size 0
		.amdhsa_kernarg_size 344
		.amdhsa_user_sgpr_count 2
		.amdhsa_user_sgpr_dispatch_ptr 0
		.amdhsa_user_sgpr_queue_ptr 0
		.amdhsa_user_sgpr_kernarg_segment_ptr 1
		.amdhsa_user_sgpr_dispatch_id 0
		.amdhsa_user_sgpr_kernarg_preload_length 0
		.amdhsa_user_sgpr_kernarg_preload_offset 0
		.amdhsa_user_sgpr_private_segment_size 0
		.amdhsa_uses_dynamic_stack 0
		.amdhsa_enable_private_segment 0
		.amdhsa_system_sgpr_workgroup_id_x 1
		.amdhsa_system_sgpr_workgroup_id_y 0
		.amdhsa_system_sgpr_workgroup_id_z 1
		.amdhsa_system_sgpr_workgroup_info 0
		.amdhsa_system_vgpr_workitem_id 0
		.amdhsa_next_free_vgpr 6
		.amdhsa_next_free_sgpr 20
		.amdhsa_accum_offset 8
		.amdhsa_reserve_vcc 1
		.amdhsa_float_round_mode_32 0
		.amdhsa_float_round_mode_16_64 0
		.amdhsa_float_denorm_mode_32 3
		.amdhsa_float_denorm_mode_16_64 3
		.amdhsa_dx10_clamp 1
		.amdhsa_ieee_mode 1
		.amdhsa_fp16_overflow 0
		.amdhsa_tg_split 0
		.amdhsa_exception_fp_ieee_invalid_op 0
		.amdhsa_exception_fp_denorm_src 0
		.amdhsa_exception_fp_ieee_div_zero 0
		.amdhsa_exception_fp_ieee_overflow 0
		.amdhsa_exception_fp_ieee_underflow 0
		.amdhsa_exception_fp_ieee_inexact 0
		.amdhsa_exception_int_div_zero 0
	.end_amdhsa_kernel
	.section	.text._ZL36rocblas_hemvn_kernel_upper_block_sumILi64EiPKfPKPffEviT1_lS5_lT2_lT0_lPT3_i,"axG",@progbits,_ZL36rocblas_hemvn_kernel_upper_block_sumILi64EiPKfPKPffEviT1_lS5_lT2_lT0_lPT3_i,comdat
.Lfunc_end138:
	.size	_ZL36rocblas_hemvn_kernel_upper_block_sumILi64EiPKfPKPffEviT1_lS5_lT2_lT0_lPT3_i, .Lfunc_end138-_ZL36rocblas_hemvn_kernel_upper_block_sumILi64EiPKfPKPffEviT1_lS5_lT2_lT0_lPT3_i
                                        ; -- End function
	.set _ZL36rocblas_hemvn_kernel_upper_block_sumILi64EiPKfPKPffEviT1_lS5_lT2_lT0_lPT3_i.num_vgpr, 6
	.set _ZL36rocblas_hemvn_kernel_upper_block_sumILi64EiPKfPKPffEviT1_lS5_lT2_lT0_lPT3_i.num_agpr, 0
	.set _ZL36rocblas_hemvn_kernel_upper_block_sumILi64EiPKfPKPffEviT1_lS5_lT2_lT0_lPT3_i.numbered_sgpr, 20
	.set _ZL36rocblas_hemvn_kernel_upper_block_sumILi64EiPKfPKPffEviT1_lS5_lT2_lT0_lPT3_i.num_named_barrier, 0
	.set _ZL36rocblas_hemvn_kernel_upper_block_sumILi64EiPKfPKPffEviT1_lS5_lT2_lT0_lPT3_i.private_seg_size, 0
	.set _ZL36rocblas_hemvn_kernel_upper_block_sumILi64EiPKfPKPffEviT1_lS5_lT2_lT0_lPT3_i.uses_vcc, 1
	.set _ZL36rocblas_hemvn_kernel_upper_block_sumILi64EiPKfPKPffEviT1_lS5_lT2_lT0_lPT3_i.uses_flat_scratch, 0
	.set _ZL36rocblas_hemvn_kernel_upper_block_sumILi64EiPKfPKPffEviT1_lS5_lT2_lT0_lPT3_i.has_dyn_sized_stack, 0
	.set _ZL36rocblas_hemvn_kernel_upper_block_sumILi64EiPKfPKPffEviT1_lS5_lT2_lT0_lPT3_i.has_recursion, 0
	.set _ZL36rocblas_hemvn_kernel_upper_block_sumILi64EiPKfPKPffEviT1_lS5_lT2_lT0_lPT3_i.has_indirect_call, 0
	.section	.AMDGPU.csdata,"",@progbits
; Kernel info:
; codeLenInByte = 600
; TotalNumSgprs: 26
; NumVgprs: 6
; NumAgprs: 0
; TotalNumVgprs: 6
; ScratchSize: 0
; MemoryBound: 0
; FloatMode: 240
; IeeeMode: 1
; LDSByteSize: 0 bytes/workgroup (compile time only)
; SGPRBlocks: 3
; VGPRBlocks: 0
; NumSGPRsForWavesPerEU: 26
; NumVGPRsForWavesPerEU: 6
; AccumOffset: 8
; Occupancy: 8
; WaveLimiterHint : 1
; COMPUTE_PGM_RSRC2:SCRATCH_EN: 0
; COMPUTE_PGM_RSRC2:USER_SGPR: 2
; COMPUTE_PGM_RSRC2:TRAP_HANDLER: 0
; COMPUTE_PGM_RSRC2:TGID_X_EN: 1
; COMPUTE_PGM_RSRC2:TGID_Y_EN: 0
; COMPUTE_PGM_RSRC2:TGID_Z_EN: 1
; COMPUTE_PGM_RSRC2:TIDIG_COMP_CNT: 0
; COMPUTE_PGM_RSRC3_GFX90A:ACCUM_OFFSET: 1
; COMPUTE_PGM_RSRC3_GFX90A:TG_SPLIT: 0
	.section	.text._ZL26rocblas_hemvn_kernel_upperILb0ELi64ELi4ELi33ELi32ELi16ElfPKPKfPfEviT6_lT7_lT5_lS6_lS7_lS5_lT8_i,"axG",@progbits,_ZL26rocblas_hemvn_kernel_upperILb0ELi64ELi4ELi33ELi32ELi16ElfPKPKfPfEviT6_lT7_lT5_lS6_lS7_lS5_lT8_i,comdat
	.globl	_ZL26rocblas_hemvn_kernel_upperILb0ELi64ELi4ELi33ELi32ELi16ElfPKPKfPfEviT6_lT7_lT5_lS6_lS7_lS5_lT8_i ; -- Begin function _ZL26rocblas_hemvn_kernel_upperILb0ELi64ELi4ELi33ELi32ELi16ElfPKPKfPfEviT6_lT7_lT5_lS6_lS7_lS5_lT8_i
	.p2align	8
	.type	_ZL26rocblas_hemvn_kernel_upperILb0ELi64ELi4ELi33ELi32ELi16ElfPKPKfPfEviT6_lT7_lT5_lS6_lS7_lS5_lT8_i,@function
_ZL26rocblas_hemvn_kernel_upperILb0ELi64ELi4ELi33ELi32ELi16ElfPKPKfPfEviT6_lT7_lT5_lS6_lS7_lS5_lT8_i: ; @_ZL26rocblas_hemvn_kernel_upperILb0ELi64ELi4ELi33ELi32ELi16ElfPKPKfPfEviT6_lT7_lT5_lS6_lS7_lS5_lT8_i
; %bb.0:
	s_load_dwordx2 s[4:5], s[0:1], 0x7c
	s_add_u32 s8, s0, 0x70
	s_mov_b32 s28, s3
	s_addc_u32 s9, s1, 0
	s_waitcnt lgkmcnt(0)
	s_and_b32 s3, s5, 0xffff
	s_lshr_b32 s5, s4, 16
	s_and_b32 s4, s4, 0xffff
	s_mul_i32 s4, s5, s4
	s_mul_i32 s4, s4, s3
	s_cmpk_lg_i32 s4, 0x100
	s_cbranch_scc1 .LBB139_4
; %bb.1:
	s_load_dwordx2 s[30:31], s[0:1], 0x0
	s_load_dword s3, s[0:1], 0x50
	s_waitcnt lgkmcnt(0)
	v_cmp_eq_f32_e64 s[4:5], s31, 0
	v_cmp_eq_f32_e64 s[6:7], s3, 1.0
	s_and_b64 s[6:7], s[4:5], s[6:7]
	s_and_b64 vcc, exec, s[6:7]
	s_cbranch_vccnz .LBB139_4
; %bb.2:
	s_and_b64 vcc, exec, s[4:5]
	s_cbranch_vccz .LBB139_5
; %bb.3:
	s_cbranch_execz .LBB139_6
.LBB139_4:
	s_endpgm
.LBB139_5:
.LBB139_6:
	s_load_dwordx4 s[4:7], s[0:1], 0x10
	s_load_dwordx2 s[24:25], s[0:1], 0x20
	s_load_dwordx4 s[12:15], s[0:1], 0x30
	s_load_dwordx2 s[18:19], s[0:1], 0x40
	s_mov_b32 s29, 0
	s_lshl_b64 s[10:11], s[28:29], 3
	s_waitcnt lgkmcnt(0)
	s_add_u32 s16, s4, s10
	s_addc_u32 s17, s5, s11
	s_add_u32 s10, s12, s10
	s_addc_u32 s11, s13, s11
	s_load_dwordx2 s[12:13], s[10:11], 0x0
	s_load_dword s3, s[8:9], 0x0
	s_load_dwordx2 s[4:5], s[16:17], 0x0
	s_lshl_b64 s[8:9], s[14:15], 2
	v_and_b32_e32 v64, 0x3ff, v0
	s_waitcnt lgkmcnt(0)
	s_add_u32 s8, s12, s8
	s_addc_u32 s9, s13, s9
	s_ashr_i32 s31, s30, 31
	s_lshr_b32 s11, s31, 26
	s_lshl_b32 s26, s2, 6
	s_add_i32 s11, s30, s11
	s_andn2_b32 s11, s11, 63
	v_add_u32_e32 v16, s26, v64
	s_add_i32 s10, s3, -1
	s_sub_i32 s29, s30, s11
	v_ashrrev_i32_e32 v17, 31, v16
	v_bfe_u32 v65, v0, 10, 10
	s_cmp_eq_u32 s2, s10
	v_mul_lo_u32 v2, s18, v17
	v_mul_lo_u32 v3, s19, v16
	v_mad_u64_u32 v[0:1], s[10:11], s18, v16, 0
	v_add3_u32 v1, v1, v2, v3
	s_cselect_b32 s20, s29, 0
	v_lshl_add_u64 v[4:5], v[0:1], 2, s[8:9]
	v_cmp_eq_u32_e64 s[14:15], 0, v65
	s_and_saveexec_b64 s[8:9], s[14:15]
	s_cbranch_execz .LBB139_10
; %bb.7:
	s_cmp_eq_u32 s20, 0
	s_cselect_b64 s[10:11], -1, 0
	v_cmp_gt_i32_e32 vcc, s20, v64
	s_or_b64 s[12:13], s[10:11], vcc
	v_mov_b32_e32 v0, 0
	s_and_saveexec_b64 s[10:11], s[12:13]
	s_cbranch_execz .LBB139_9
; %bb.8:
	flat_load_dword v0, v[4:5]
.LBB139_9:
	s_or_b64 exec, exec, s[10:11]
	v_lshlrev_b32_e32 v1, 2, v64
	s_waitcnt vmcnt(0) lgkmcnt(0)
	ds_write_b32 v1, v0 offset:4544
.LBB139_10:
	s_or_b64 exec, exec, s[8:9]
	s_lshl_b64 s[6:7], s[6:7], 2
	s_add_u32 s6, s4, s6
	s_addc_u32 s7, s5, s7
	s_ashr_i32 s27, s26, 31
	v_lshl_add_u32 v14, v65, 6, v64
	s_lshl_b64 s[4:5], s[26:27], 2
	v_and_b32_e32 v2, 31, v64
	v_lshrrev_b32_e32 v15, 5, v14
	s_add_u32 s4, s6, s4
	v_mov_b32_e32 v3, 0
	s_addc_u32 s5, s7, s5
	v_mad_u64_u32 v[6:7], s[6:7], s24, v15, v[2:3]
	v_mov_b32_e32 v0, v7
	v_mad_u64_u32 v[0:1], s[6:7], s25, v15, v[0:1]
	v_mov_b32_e32 v7, v0
	v_lshl_add_u64 v[0:1], v[6:7], 2, s[4:5]
	s_mul_hi_u32 s4, s24, s26
	s_mul_i32 s5, s24, s27
	s_add_i32 s4, s4, s5
	s_mul_i32 s5, s25, s26
	s_add_i32 s5, s4, s5
	s_cmp_eq_u32 s20, 0
	s_cselect_b64 s[22:23], -1, 0
	s_cmp_lg_u32 s20, 0
	s_mul_i32 s4, s24, s26
	s_cselect_b64 s[36:37], -1, 0
	v_lshl_add_u64 v[10:11], s[4:5], 2, v[0:1]
	s_and_b64 vcc, exec, s[36:37]
	v_cmp_gt_i32_e64 s[4:5], s20, v2
	v_lshlrev_b32_e32 v0, 2, v2
	s_cbranch_vccz .LBB139_20
; %bb.11:
	v_sub_co_u32_e32 v8, vcc, v10, v0
	s_ashr_i32 s21, s20, 31
	s_nop 0
	v_subbrev_co_u32_e32 v9, vcc, 0, v11, vcc
	v_lshl_add_u64 v[8:9], s[20:21], 2, v[8:9]
	v_lshl_add_u64 v[8:9], v[8:9], 0, -4
	v_cndmask_b32_e64 v9, v9, v11, s[4:5]
	v_cndmask_b32_e64 v8, v8, v10, s[4:5]
	v_cmp_gt_i32_e32 vcc, s20, v15
	s_and_saveexec_b64 s[6:7], vcc
	s_cbranch_execz .LBB139_13
; %bb.12:
	flat_load_dword v3, v[8:9]
.LBB139_13:
	s_or_b64 exec, exec, s[6:7]
	v_lshlrev_b32_e32 v1, 2, v2
	s_movk_i32 s6, 0x84
	v_mad_u32_u24 v13, v15, s6, v1
	s_waitcnt vmcnt(0) lgkmcnt(0)
	ds_write_b32 v13, v3
	v_add_u32_e32 v3, 8, v15
	v_mul_u32_u24_e32 v12, 0x84, v15
	v_cmp_gt_i32_e32 vcc, s20, v3
	v_mov_b32_e32 v13, 0
	v_mov_b32_e32 v18, 0
	s_and_saveexec_b64 s[6:7], vcc
	s_cbranch_execz .LBB139_15
; %bb.14:
	s_lshl_b64 s[8:9], s[24:25], 5
	v_lshl_add_u64 v[18:19], v[8:9], 0, s[8:9]
	flat_load_dword v18, v[18:19]
.LBB139_15:
	s_or_b64 exec, exec, s[6:7]
	v_add_u32_e32 v3, v12, v1
	v_add_u32_e32 v1, 16, v15
	v_cmp_gt_i32_e32 vcc, s20, v1
	s_waitcnt vmcnt(0) lgkmcnt(0)
	ds_write_b32 v3, v18 offset:1056
	s_and_saveexec_b64 s[6:7], vcc
	s_cbranch_execz .LBB139_17
; %bb.16:
	s_lshl_b64 s[8:9], s[24:25], 6
	v_lshl_add_u64 v[12:13], v[8:9], 0, s[8:9]
	flat_load_dword v13, v[12:13]
.LBB139_17:
	s_or_b64 exec, exec, s[6:7]
	v_add_u32_e32 v1, 24, v15
	v_cmp_gt_i32_e32 vcc, s20, v1
	v_mov_b32_e32 v1, 0
	v_mov_b32_e32 v12, 0
	s_waitcnt vmcnt(0) lgkmcnt(0)
	ds_write_b32 v3, v13 offset:2112
	s_and_saveexec_b64 s[6:7], vcc
	s_cbranch_execz .LBB139_19
; %bb.18:
	v_mov_b32_e32 v12, 0x60
	v_mad_u64_u32 v[12:13], s[8:9], s24, v12, v[8:9]
	s_mul_i32 s8, s25, 0x60
	s_nop 0
	v_add_u32_e32 v13, s8, v13
	flat_load_dword v12, v[12:13]
.LBB139_19:
	s_or_b64 exec, exec, s[6:7]
	v_lshl_add_u64 v[8:9], v[8:9], 0, v[0:1]
	s_lshl_b64 s[6:7], s[20:21], 2
	v_mov_b32_e32 v1, s7
	v_subrev_co_u32_e32 v8, vcc, s6, v8
	s_waitcnt vmcnt(0) lgkmcnt(0)
	ds_write_b32 v3, v12 offset:3168
	v_subb_co_u32_e32 v9, vcc, v9, v1, vcc
	v_lshl_add_u64 v[8:9], v[8:9], 0, 4
	v_cndmask_b32_e64 v9, v9, v11, s[4:5]
	v_cndmask_b32_e64 v8, v8, v10, s[4:5]
	s_branch .LBB139_22
.LBB139_20:
                                        ; implicit-def: $vgpr8_vgpr9
	s_cbranch_execz .LBB139_22
; %bb.21:
	s_lshl_b64 s[4:5], s[24:25], 5
	v_lshl_add_u64 v[8:9], v[10:11], 0, s[4:5]
	v_lshl_add_u64 v[12:13], v[8:9], 0, s[4:5]
	;; [unrolled: 1-line block ×3, first 2 shown]
	flat_load_dword v1, v[10:11]
	flat_load_dword v3, v[8:9]
	;; [unrolled: 1-line block ×4, first 2 shown]
	v_mul_u32_u24_e32 v8, 0x84, v15
	v_lshl_add_u32 v8, v2, 2, v8
	s_waitcnt vmcnt(0) lgkmcnt(0)
	ds_write_b32 v8, v1
	ds_write_b32 v8, v3 offset:1056
	ds_write_b32 v8, v20 offset:2112
	;; [unrolled: 1-line block ×3, first 2 shown]
	v_mov_b64_e32 v[8:9], v[10:11]
.LBB139_22:
	v_lshlrev_b32_e32 v20, 2, v2
	v_lshlrev_b32_e32 v18, 2, v15
	v_lshl_or_b32 v1, v2, 7, v20
	v_cmp_gt_u32_e64 s[6:7], v18, v2
	v_lshl_add_u32 v10, v18, 2, v1
	s_waitcnt lgkmcnt(0)
	s_barrier
	s_and_saveexec_b64 s[4:5], s[6:7]
	s_cbranch_execz .LBB139_24
; %bb.23:
	s_movk_i32 s8, 0x210
	v_mad_u32_u24 v3, v15, s8, v20
	ds_read_b32 v3, v3
	s_waitcnt lgkmcnt(0)
	ds_write_b32 v10, v3
.LBB139_24:
	s_or_b64 exec, exec, s[4:5]
	v_or_b32_e32 v3, 1, v18
	v_cmp_ge_u32_e64 s[8:9], v18, v2
	s_and_saveexec_b64 s[4:5], s[8:9]
	s_cbranch_execz .LBB139_26
; %bb.25:
	s_movk_i32 s10, 0x84
	v_mad_u32_u24 v11, v3, s10, v20
	ds_read_b32 v11, v11
	s_waitcnt lgkmcnt(0)
	ds_write_b32 v10, v11 offset:4
.LBB139_26:
	s_or_b64 exec, exec, s[4:5]
	v_or_b32_e32 v11, 2, v18
	v_cmp_gt_u32_e64 s[10:11], v11, v2
	s_and_saveexec_b64 s[4:5], s[10:11]
	s_cbranch_execz .LBB139_28
; %bb.27:
	s_movk_i32 s12, 0x84
	v_mad_u32_u24 v11, v11, s12, v20
	ds_read_b32 v11, v11
	s_waitcnt lgkmcnt(0)
	ds_write_b32 v10, v11 offset:8
.LBB139_28:
	s_or_b64 exec, exec, s[4:5]
	v_or_b32_e32 v12, 3, v18
	v_cmp_gt_u32_e64 s[12:13], v12, v2
	v_cmp_le_u32_e32 vcc, v12, v2
                                        ; implicit-def: $vgpr11
	s_and_saveexec_b64 s[4:5], vcc
	s_xor_b64 s[4:5], exec, s[4:5]
; %bb.29:
	v_mul_u32_u24_e32 v11, 0x84, v12
                                        ; implicit-def: $vgpr12
                                        ; implicit-def: $vgpr10
; %bb.30:
	s_andn2_saveexec_b64 s[4:5], s[4:5]
	s_cbranch_execz .LBB139_32
; %bb.31:
	s_movk_i32 s16, 0x84
	v_mad_u32_u24 v11, v12, s16, v20
	ds_read_b32 v13, v11
	v_mul_u32_u24_e32 v11, 0x84, v12
	s_waitcnt lgkmcnt(0)
	ds_write_b32 v10, v13 offset:12
.LBB139_32:
	s_or_b64 exec, exec, s[4:5]
	s_movk_i32 s4, 0x210
	v_mad_u32_u24 v10, v15, s4, v20
	s_movk_i32 s4, 0x84
	v_mad_u32_u24 v12, v3, s4, v20
	s_waitcnt lgkmcnt(0)
	s_barrier
	ds_read2_b32 v[22:23], v12 offset1:33
	v_lshlrev_b32_e32 v25, 2, v18
	ds_read_b32 v12, v10
	ds_read_b128 v[26:29], v25 offset:4544
	v_mov_b32_e32 v66, 0
	v_cmp_gt_u32_e64 s[4:5], 32, v14
	s_waitcnt lgkmcnt(2)
	v_mov_b32_e32 v13, v22
	v_add_u32_e32 v22, v20, v11
	ds_read_b32 v11, v22
	s_waitcnt lgkmcnt(1)
	v_pk_mul_f32 v[12:13], v[12:13], v[26:27]
	s_waitcnt lgkmcnt(0)
	v_add_f32_e32 v10, 0, v12
	v_add_f32_e32 v12, v10, v13
	v_mov_b32_e32 v10, v23
	v_pk_mul_f32 v[10:11], v[10:11], v[28:29]
	s_barrier
	v_add_f32_e32 v10, v12, v10
	v_add_f32_e32 v10, v10, v11
	v_mul_u32_u24_e32 v11, 33, v2
	v_lshlrev_b32_e32 v19, 2, v11
	v_lshl_add_u32 v21, v15, 2, v19
	ds_write_b32 v21, v10
	s_waitcnt lgkmcnt(0)
	s_barrier
	s_and_saveexec_b64 s[16:17], s[4:5]
	s_cbranch_execz .LBB139_34
; %bb.33:
	ds_read2_b32 v[10:11], v1 offset1:1
	ds_read2_b32 v[12:13], v1 offset0:2 offset1:3
	ds_read2_b32 v[26:27], v1 offset0:4 offset1:5
	;; [unrolled: 1-line block ×3, first 2 shown]
	s_waitcnt lgkmcnt(3)
	v_add_f32_e32 v1, v10, v11
	s_waitcnt lgkmcnt(2)
	v_add_f32_e32 v1, v1, v12
	v_add_f32_e32 v1, v1, v13
	s_waitcnt lgkmcnt(1)
	v_add_f32_e32 v1, v1, v26
	;; [unrolled: 3-line block ×3, first 2 shown]
	v_add_f32_e32 v66, v1, v29
.LBB139_34:
	s_or_b64 exec, exec, s[16:17]
	s_lshl_b64 s[16:17], s[24:25], 7
	v_lshl_add_u64 v[10:11], v[8:9], 0, s[16:17]
	s_mov_b64 s[16:17], 0x80
	s_lshl_b64 s[34:35], s[24:25], 5
	v_lshl_add_u64 v[8:9], v[10:11], 0, s[16:17]
	s_and_b64 vcc, exec, s[36:37]
	s_barrier
	s_cbranch_vccz .LBB139_44
; %bb.35:
	v_sub_co_u32_e32 v12, vcc, v10, v0
	s_ashr_i32 s21, s20, 31
	s_nop 0
	v_subbrev_co_u32_e32 v13, vcc, 0, v11, vcc
	v_or_b32_e32 v1, 32, v2
	v_lshl_add_u64 v[12:13], s[20:21], 2, v[12:13]
	v_lshl_add_u64 v[12:13], v[12:13], 0, -4
	v_cmp_gt_i32_e32 vcc, s20, v1
	s_sub_i32 s33, s20, 32
	v_mov_b32_e32 v23, 0
	v_cndmask_b32_e32 v13, v13, v9, vcc
	v_cndmask_b32_e32 v12, v12, v8, vcc
	v_cmp_gt_i32_e64 s[16:17], s33, v15
	v_mov_b32_e32 v24, 0
	s_and_saveexec_b64 s[38:39], s[16:17]
	s_cbranch_execz .LBB139_37
; %bb.36:
	flat_load_dword v24, v[12:13]
.LBB139_37:
	s_or_b64 exec, exec, s[38:39]
	s_movk_i32 s16, 0x84
	v_mad_u32_u24 v26, v15, s16, v20
	s_waitcnt vmcnt(0) lgkmcnt(0)
	ds_write_b32 v26, v24
	v_add_u32_e32 v24, 8, v15
	v_mul_u32_u24_e32 v1, 0x84, v15
	v_cmp_gt_i32_e64 s[16:17], s33, v24
	s_and_saveexec_b64 s[38:39], s[16:17]
	s_cbranch_execz .LBB139_39
; %bb.38:
	v_lshl_add_u64 v[26:27], v[12:13], 0, s[34:35]
	flat_load_dword v23, v[26:27]
.LBB139_39:
	s_or_b64 exec, exec, s[38:39]
	v_add_u32_e32 v1, v1, v20
	s_waitcnt vmcnt(0) lgkmcnt(0)
	ds_write_b32 v1, v23 offset:1056
	v_add_u32_e32 v23, 16, v15
	v_cmp_gt_i32_e64 s[16:17], s33, v23
	v_mov_b32_e32 v23, 0
	v_mov_b32_e32 v24, 0
	s_and_saveexec_b64 s[38:39], s[16:17]
	s_cbranch_execz .LBB139_41
; %bb.40:
	s_lshl_b64 s[16:17], s[24:25], 6
	v_lshl_add_u64 v[26:27], v[12:13], 0, s[16:17]
	flat_load_dword v24, v[26:27]
.LBB139_41:
	s_or_b64 exec, exec, s[38:39]
	s_waitcnt vmcnt(0) lgkmcnt(0)
	ds_write_b32 v1, v24 offset:2112
	v_add_u32_e32 v24, 24, v15
	v_cmp_gt_i32_e64 s[16:17], s33, v24
	s_and_saveexec_b64 s[38:39], s[16:17]
	s_cbranch_execz .LBB139_43
; %bb.42:
	v_mov_b32_e32 v23, 0x60
	v_mad_u64_u32 v[26:27], s[16:17], s24, v23, v[12:13]
	s_mul_i32 s16, s25, 0x60
	s_nop 0
	v_add_u32_e32 v27, s16, v27
	flat_load_dword v23, v[26:27]
.LBB139_43:
	s_or_b64 exec, exec, s[38:39]
	s_waitcnt vmcnt(0) lgkmcnt(0)
	ds_write_b32 v1, v23 offset:3168
	v_mov_b32_e32 v1, 0
	v_lshl_add_u64 v[12:13], v[12:13], 0, v[0:1]
	s_lshl_b64 s[16:17], s[20:21], 2
	v_mov_b32_e32 v1, s17
	v_subrev_co_u32_e64 v12, s[16:17], s16, v12
	s_nop 1
	v_subb_co_u32_e64 v13, s[16:17], v13, v1, s[16:17]
	s_mov_b64 s[16:17], 0x84
	s_nop 0
	v_lshl_add_u64 v[12:13], v[12:13], 0, s[16:17]
	v_cndmask_b32_e32 v13, v13, v9, vcc
	v_cndmask_b32_e32 v12, v12, v8, vcc
	v_mul_u32_u24_e32 v1, 0x210, v15
	s_branch .LBB139_46
.LBB139_44:
                                        ; implicit-def: $vgpr12_vgpr13
	v_mul_u32_u24_e32 v1, 0x210, v15
	s_cbranch_execz .LBB139_46
; %bb.45:
	v_lshl_add_u64 v[12:13], v[10:11], 0, s[34:35]
	v_lshl_add_u64 v[26:27], v[12:13], 0, s[34:35]
	;; [unrolled: 1-line block ×3, first 2 shown]
	flat_load_dword v23, v[10:11] offset:128
	flat_load_dword v24, v[12:13] offset:128
	;; [unrolled: 1-line block ×4, first 2 shown]
	s_movk_i32 s16, 0x84
	v_mad_u32_u24 v10, v15, s16, v20
	v_mov_b64_e32 v[12:13], v[8:9]
	s_waitcnt vmcnt(0) lgkmcnt(0)
	ds_write_b32 v10, v23
	ds_write_b32 v10, v24 offset:1056
	ds_write_b32 v10, v30 offset:2112
	;; [unrolled: 1-line block ×3, first 2 shown]
.LBB139_46:
	v_mul_u32_u24_e32 v3, 0x84, v3
	v_add_u32_e32 v23, v20, v1
	v_lshl_add_u32 v1, v18, 2, v19
	s_waitcnt lgkmcnt(0)
	s_barrier
	s_and_saveexec_b64 s[16:17], s[6:7]
	s_cbranch_execz .LBB139_50
; %bb.47:
	ds_read_b32 v8, v23
	s_waitcnt lgkmcnt(0)
	ds_write_b32 v1, v8
	s_or_b64 exec, exec, s[16:17]
	v_add_u32_e32 v24, v20, v3
	s_and_saveexec_b64 s[6:7], s[8:9]
	s_cbranch_execnz .LBB139_51
.LBB139_48:
	s_or_b64 exec, exec, s[6:7]
	s_and_saveexec_b64 s[6:7], s[10:11]
	s_cbranch_execz .LBB139_52
.LBB139_49:
	ds_read_b32 v3, v24 offset:132
	s_waitcnt lgkmcnt(0)
	ds_write_b32 v1, v3 offset:8
	s_or_b64 exec, exec, s[6:7]
	v_add_u32_e32 v25, 0x11c0, v25
	s_and_saveexec_b64 s[6:7], s[12:13]
	s_cbranch_execnz .LBB139_53
	s_branch .LBB139_54
.LBB139_50:
	s_or_b64 exec, exec, s[16:17]
	v_add_u32_e32 v24, v20, v3
	s_and_saveexec_b64 s[6:7], s[8:9]
	s_cbranch_execz .LBB139_48
.LBB139_51:
	ds_read_b32 v3, v24
	s_waitcnt lgkmcnt(0)
	ds_write_b32 v1, v3 offset:4
	s_or_b64 exec, exec, s[6:7]
	s_and_saveexec_b64 s[6:7], s[10:11]
	s_cbranch_execnz .LBB139_49
.LBB139_52:
	s_or_b64 exec, exec, s[6:7]
	v_add_u32_e32 v25, 0x11c0, v25
	s_and_saveexec_b64 s[6:7], s[12:13]
	s_cbranch_execz .LBB139_54
.LBB139_53:
	ds_read_b32 v3, v22
	s_waitcnt lgkmcnt(0)
	ds_write_b32 v1, v3 offset:12
.LBB139_54:
	s_or_b64 exec, exec, s[6:7]
	s_waitcnt lgkmcnt(0)
	s_barrier
	ds_read2_b32 v[30:31], v24 offset1:33
	ds_read_b32 v26, v23
	ds_read_b128 v[8:11], v25 offset:128
	ds_read_b32 v29, v22
	v_cmp_eq_u32_e64 s[6:7], 1, v15
	s_waitcnt lgkmcnt(3)
	v_mov_b32_e32 v27, v30
	v_mov_b32_e32 v28, v31
	s_waitcnt lgkmcnt(1)
	v_pk_mul_f32 v[8:9], v[26:27], v[8:9]
	s_waitcnt lgkmcnt(0)
	v_add_f32_e32 v1, 0, v8
	v_add_f32_e32 v1, v1, v9
	v_pk_mul_f32 v[8:9], v[28:29], v[10:11]
	s_barrier
	v_add_f32_e32 v1, v1, v8
	v_add_f32_e32 v1, v1, v9
	ds_write_b32 v21, v1
	s_waitcnt lgkmcnt(0)
	s_barrier
	s_and_saveexec_b64 s[8:9], s[6:7]
	s_cbranch_execz .LBB139_56
; %bb.55:
	ds_read2_b32 v[8:9], v19 offset1:1
	ds_read2_b32 v[10:11], v19 offset0:2 offset1:3
	ds_read2_b32 v[26:27], v19 offset0:4 offset1:5
	;; [unrolled: 1-line block ×3, first 2 shown]
	s_waitcnt lgkmcnt(3)
	v_add_f32_e32 v1, v8, v9
	s_waitcnt lgkmcnt(2)
	v_add_f32_e32 v1, v1, v10
	v_add_f32_e32 v1, v1, v11
	s_waitcnt lgkmcnt(1)
	v_add_f32_e32 v1, v1, v26
	;; [unrolled: 3-line block ×3, first 2 shown]
	v_add_f32_e32 v66, v1, v29
.LBB139_56:
	s_or_b64 exec, exec, s[8:9]
	s_movk_i32 s8, 0xff80
	s_mov_b32 s9, -1
	v_lshl_add_u64 v[10:11], v[12:13], 0, s[8:9]
	s_and_b64 vcc, exec, s[36:37]
	s_barrier
	s_cbranch_vccz .LBB139_66
; %bb.57:
	v_sub_co_u32_e32 v12, vcc, v10, v0
	s_ashr_i32 s21, s20, 31
	s_nop 0
	v_subbrev_co_u32_e32 v13, vcc, 0, v11, vcc
	v_lshl_add_u64 v[12:13], s[20:21], 2, v[12:13]
	v_lshl_add_u64 v[12:13], v[12:13], 0, -4
	v_cmp_gt_i32_e32 vcc, s20, v2
	s_sub_i32 s12, s20, 32
	v_mov_b32_e32 v8, 0
	v_cndmask_b32_e32 v3, v13, v11, vcc
	v_cndmask_b32_e32 v2, v12, v10, vcc
	v_cmp_gt_i32_e64 s[8:9], s12, v15
	v_mov_b32_e32 v9, 0
	s_and_saveexec_b64 s[10:11], s[8:9]
	s_cbranch_execz .LBB139_59
; %bb.58:
	flat_load_dword v9, v[2:3]
.LBB139_59:
	s_or_b64 exec, exec, s[10:11]
	s_movk_i32 s8, 0x84
	v_mad_u32_u24 v12, v15, s8, v20
	s_waitcnt vmcnt(0) lgkmcnt(0)
	ds_write_b32 v12, v9
	v_add_u32_e32 v12, 8, v15
	v_mul_u32_u24_e32 v1, 0x84, v15
	v_cmp_gt_i32_e64 s[8:9], s12, v12
	s_and_saveexec_b64 s[10:11], s[8:9]
	s_cbranch_execz .LBB139_61
; %bb.60:
	v_lshl_add_u64 v[8:9], v[2:3], 0, s[34:35]
	flat_load_dword v8, v[8:9]
.LBB139_61:
	s_or_b64 exec, exec, s[10:11]
	v_add_u32_e32 v1, v1, v20
	v_add_u32_e32 v13, 16, v15
	s_waitcnt vmcnt(0) lgkmcnt(0)
	ds_write_b32 v1, v8 offset:1056
	v_cmp_gt_i32_e64 s[8:9], s12, v13
	v_mov_b32_e32 v8, 0
	v_mov_b32_e32 v9, 0
	s_and_saveexec_b64 s[10:11], s[8:9]
	s_cbranch_execz .LBB139_63
; %bb.62:
	s_lshl_b64 s[8:9], s[24:25], 6
	v_lshl_add_u64 v[26:27], v[2:3], 0, s[8:9]
	flat_load_dword v9, v[26:27]
.LBB139_63:
	s_or_b64 exec, exec, s[10:11]
	v_add_u32_e32 v26, 24, v15
	v_cmp_gt_i32_e64 s[8:9], s12, v26
	s_waitcnt vmcnt(0) lgkmcnt(0)
	ds_write_b32 v1, v9 offset:2112
	s_and_saveexec_b64 s[10:11], s[8:9]
	s_cbranch_execz .LBB139_65
; %bb.64:
	v_mov_b32_e32 v8, 0x60
	v_mad_u64_u32 v[8:9], s[8:9], s24, v8, v[2:3]
	s_mul_i32 s8, s25, 0x60
	s_nop 0
	v_add_u32_e32 v9, s8, v9
	flat_load_dword v8, v[8:9]
.LBB139_65:
	s_or_b64 exec, exec, s[10:11]
	s_waitcnt vmcnt(0) lgkmcnt(0)
	ds_write_b32 v1, v8 offset:3168
	v_mov_b32_e32 v1, 0
	v_lshl_add_u64 v[0:1], v[2:3], 0, v[0:1]
	s_lshl_b64 s[8:9], s[20:21], 2
	v_mov_b32_e32 v2, s9
	v_subrev_co_u32_e64 v0, s[8:9], s8, v0
	s_nop 1
	v_subb_co_u32_e64 v1, s[8:9], v1, v2, s[8:9]
	v_lshl_add_u64 v[0:1], v[0:1], 0, 4
	v_cndmask_b32_e32 v9, v1, v11, vcc
	v_cndmask_b32_e32 v8, v0, v10, vcc
	s_branch .LBB139_68
.LBB139_66:
                                        ; implicit-def: $vgpr8_vgpr9
                                        ; implicit-def: $vgpr12
                                        ; implicit-def: $vgpr13
                                        ; implicit-def: $vgpr26
	s_cbranch_execz .LBB139_68
; %bb.67:
	v_lshl_add_u64 v[0:1], v[10:11], 0, s[34:35]
	v_lshl_add_u64 v[2:3], v[0:1], 0, s[34:35]
	;; [unrolled: 1-line block ×3, first 2 shown]
	flat_load_dword v27, v[10:11]
	flat_load_dword v28, v[0:1]
	;; [unrolled: 1-line block ×4, first 2 shown]
	s_movk_i32 s8, 0x84
	v_add_u32_e32 v12, 8, v15
	v_add_u32_e32 v13, 16, v15
	;; [unrolled: 1-line block ×3, first 2 shown]
	v_mad_u32_u24 v0, v15, s8, v20
	v_mov_b64_e32 v[8:9], v[10:11]
	s_waitcnt vmcnt(0) lgkmcnt(0)
	ds_write_b32 v0, v27
	ds_write_b32 v0, v28 offset:1056
	ds_write_b32 v0, v29 offset:2112
	;; [unrolled: 1-line block ×3, first 2 shown]
.LBB139_68:
	v_add_u32_e32 v0, v19, v18
	s_waitcnt lgkmcnt(0)
	s_barrier
	ds_read_b32 v10, v0
	ds_read_b32 v28, v18 offset:4544
	v_lshlrev_b32_e32 v0, 2, v12
	v_lshlrev_b32_e32 v2, 2, v13
	v_add_u32_e32 v1, v19, v0
	v_add_u32_e32 v3, v19, v2
	v_lshlrev_b32_e32 v13, 2, v26
	v_add_u32_e32 v15, v19, v13
	ds_read_b32 v11, v1
	ds_read_b32 v26, v3
	;; [unrolled: 1-line block ×3, first 2 shown]
	ds_read_b32 v31, v13 offset:4544
	ds_read_b32 v30, v2 offset:4544
	ds_read_b32 v29, v0 offset:4544
	ds_read_b32 v27, v15
	ds_read_b128 v[0:3], v25 offset:128
	ds_read_b32 v13, v22
	s_waitcnt lgkmcnt(3)
	v_pk_mul_f32 v[22:23], v[10:11], v[28:29]
	ds_read2_b32 v[10:11], v24 offset1:33
	v_add_f32_e32 v15, 0, v22
	s_waitcnt lgkmcnt(3)
	v_pk_mul_f32 v[26:27], v[26:27], v[30:31]
	v_add_f32_e32 v15, v15, v23
	v_add_f32_e32 v15, v15, v26
	;; [unrolled: 1-line block ×3, first 2 shown]
	s_waitcnt lgkmcnt(0)
	s_barrier
	ds_write_b32 v21, v15
	s_waitcnt lgkmcnt(0)
	s_barrier
	s_and_saveexec_b64 s[8:9], s[6:7]
	s_cbranch_execz .LBB139_70
; %bb.69:
	ds_read2_b32 v[22:23], v19 offset1:1
	ds_read2_b32 v[24:25], v19 offset0:2 offset1:3
	ds_read2_b32 v[26:27], v19 offset0:4 offset1:5
	;; [unrolled: 1-line block ×3, first 2 shown]
	s_waitcnt lgkmcnt(3)
	v_add_f32_e32 v15, v66, v22
	v_add_f32_e32 v15, v15, v23
	s_waitcnt lgkmcnt(2)
	v_add_f32_e32 v15, v15, v24
	v_add_f32_e32 v15, v15, v25
	;; [unrolled: 3-line block ×4, first 2 shown]
.LBB139_70:
	s_or_b64 exec, exec, s[8:9]
	v_fma_f32 v0, v12, v0, 0
	v_fmac_f32_e32 v0, v10, v1
	v_fmac_f32_e32 v0, v11, v2
	;; [unrolled: 1-line block ×3, first 2 shown]
	s_barrier
	ds_write_b32 v21, v0
	s_waitcnt lgkmcnt(0)
	s_barrier
	s_and_saveexec_b64 s[6:7], s[4:5]
	s_cbranch_execz .LBB139_72
; %bb.71:
	ds_read2_b32 v[0:1], v19 offset1:1
	ds_read2_b32 v[2:3], v19 offset0:2 offset1:3
	ds_read2_b32 v[10:11], v19 offset0:4 offset1:5
	;; [unrolled: 1-line block ×3, first 2 shown]
	s_waitcnt lgkmcnt(3)
	v_add_f32_e32 v0, v66, v0
	v_add_f32_e32 v0, v0, v1
	s_waitcnt lgkmcnt(2)
	v_add_f32_e32 v0, v0, v2
	v_add_f32_e32 v0, v0, v3
	;; [unrolled: 3-line block ×4, first 2 shown]
.LBB139_72:
	s_or_b64 exec, exec, s[6:7]
	s_load_dwordx2 s[0:1], s[0:1], 0x60
	s_mul_hi_u32 s4, s30, s28
	s_mul_i32 s31, s31, s28
	s_add_i32 s4, s4, s31
	s_mul_i32 s6, s30, s28
	s_mul_i32 s4, s4, s3
	s_mul_hi_u32 s5, s6, s3
	s_add_i32 s5, s5, s4
	s_mul_i32 s4, s6, s3
	s_lshl_b64 s[4:5], s[4:5], 2
	s_waitcnt lgkmcnt(0)
	s_add_u32 s4, s0, s4
	s_addc_u32 s5, s1, s5
	s_mul_hi_i32 s1, s30, s2
	s_mul_i32 s0, s30, s2
	s_lshl_b64 s[0:1], s[0:1], 2
	s_add_u32 s6, s4, s0
	s_addc_u32 s7, s5, s1
	s_add_i32 s0, s2, 1
	s_cmp_ge_u32 s0, s3
	v_lshlrev_b32_e32 v18, 2, v64
	s_barrier
	s_cbranch_scc1 .LBB139_129
; %bb.73:
	s_mul_i32 s0, s18, s27
	s_mul_hi_u32 s1, s18, s26
	s_add_i32 s0, s1, s0
	s_mul_i32 s1, s19, s26
	s_add_i32 s1, s0, s1
	s_mul_i32 s0, s18, s26
	s_lshl_b64 s[0:1], s[0:1], 2
	v_lshlrev_b32_e32 v67, 2, v65
	v_mov_b32_e32 v0, s1
	v_subrev_co_u32_e32 v20, vcc, s0, v4
	v_lshlrev_b64 v[2:3], 2, v[6:7]
	s_nop 0
	v_subb_co_u32_e32 v21, vcc, v5, v0, vcc
	v_mad_u64_u32 v[4:5], s[0:1], s24, v67, 0
	v_lshl_add_u64 v[0:1], s[34:35], 2, v[8:9]
	v_mov_b32_e32 v6, v5
	v_sub_co_u32_e32 v0, vcc, v0, v2
	v_mad_u64_u32 v[6:7], s[0:1], s25, v67, v[6:7]
	s_nop 0
	v_subb_co_u32_e32 v1, vcc, v1, v3, vcc
	v_mov_b32_e32 v5, v6
	v_lshl_add_u64 v[22:23], v[4:5], 2, v[0:1]
	v_lshrrev_b32_e32 v0, 2, v14
	v_and_b32_e32 v10, 15, v64
	s_movk_i32 s4, 0x10c
	v_and_b32_e32 v0, 0x7ffc, v0
	v_mad_u32_u24 v72, v10, s4, v0
	v_and_b32_e32 v0, 48, v64
	v_lshlrev_b32_e32 v19, 4, v65
	v_lshlrev_b32_e32 v0, 2, v0
	v_mad_u32_u24 v73, v10, s4, v0
	v_or_b32_e32 v0, 60, v18
	v_add_u32_e32 v5, 0x88, v19
	v_mad_u32_u24 v74, v10, s4, v0
	v_mad_u64_u32 v[0:1], s[4:5], s24, v5, 0
	v_mov_b32_e32 v4, v1
	v_mad_u64_u32 v[4:5], s[4:5], s25, v5, v[4:5]
	v_sub_co_u32_e32 v0, vcc, v0, v2
	v_add_u32_e32 v7, 0x8c, v19
	s_nop 0
	v_subb_co_u32_e32 v1, vcc, v4, v3, vcc
	v_mad_u64_u32 v[4:5], s[4:5], s24, v7, 0
	v_mov_b32_e32 v6, v5
	v_mad_u64_u32 v[6:7], s[4:5], s25, v7, v[6:7]
	v_sub_co_u32_e32 v4, vcc, v4, v2
	v_add_u32_e32 v11, 0x84, v19
	s_nop 0
	v_subb_co_u32_e32 v5, vcc, v6, v3, vcc
	v_mad_u64_u32 v[6:7], s[4:5], s24, v11, 0
	v_mul_u32_u24_e32 v54, 0x10c, v10
	v_mov_b32_e32 v10, v7
	v_mad_u64_u32 v[10:11], s[4:5], s25, v11, v[10:11]
	v_sub_co_u32_e32 v6, vcc, v6, v2
	v_add_u32_e32 v13, 0xc8, v19
	s_nop 0
	v_subb_co_u32_e32 v7, vcc, v10, v3, vcc
	v_mad_u64_u32 v[10:11], s[4:5], s24, v13, 0
	v_mov_b32_e32 v12, v11
	v_mad_u64_u32 v[12:13], s[4:5], s25, v13, v[12:13]
	v_sub_co_u32_e32 v10, vcc, v10, v2
	v_add_u32_e32 v15, 0xcc, v19
	s_movk_i32 s0, 0x430
	v_subb_co_u32_e32 v11, vcc, v12, v3, vcc
	v_mad_u64_u32 v[12:13], s[4:5], s24, v15, 0
	v_mad_u32_u24 v71, v65, s0, v18
	v_and_b32_e32 v55, 0x1fff0, v14
	v_cmp_gt_u32_e64 s[0:1], 64, v14
	v_mov_b32_e32 v14, v13
	v_mad_u64_u32 v[14:15], s[4:5], s25, v15, v[14:15]
	v_sub_co_u32_e32 v12, vcc, v12, v2
	v_add_u32_e32 v25, 0xc4, v19
	s_nop 0
	v_subb_co_u32_e32 v13, vcc, v14, v3, vcc
	v_mad_u64_u32 v[14:15], s[4:5], s24, v25, 0
	v_mov_b32_e32 v24, v15
	v_mad_u64_u32 v[24:25], s[4:5], s25, v25, v[24:25]
	v_sub_co_u32_e32 v14, vcc, v14, v2
	v_add_u32_e32 v27, 0xc0, v19
	s_nop 0
	v_subb_co_u32_e32 v15, vcc, v24, v3, vcc
	v_mad_u64_u32 v[24:25], s[4:5], s24, v27, 0
	v_mov_b32_e32 v26, v25
	v_mad_u64_u32 v[26:27], s[4:5], s25, v27, v[26:27]
	v_add_u32_e32 v27, 0x108, v19
	v_sub_co_u32_e32 v36, vcc, v24, v2
	v_mad_u64_u32 v[24:25], s[4:5], s24, v27, 0
	s_nop 0
	v_subb_co_u32_e32 v37, vcc, v26, v3, vcc
	v_mov_b32_e32 v26, v25
	v_mad_u64_u32 v[26:27], s[4:5], s25, v27, v[26:27]
	v_add_u32_e32 v27, 0x10c, v19
	v_sub_co_u32_e32 v38, vcc, v24, v2
	v_mad_u64_u32 v[24:25], s[4:5], s24, v27, 0
	s_nop 0
	v_subb_co_u32_e32 v39, vcc, v26, v3, vcc
	;; [unrolled: 7-line block ×6, first 2 shown]
	v_mov_b32_e32 v26, v25
	v_mad_u64_u32 v[26:27], s[4:5], s25, v27, v[26:27]
	v_add_u32_e32 v27, 0x144, v19
	v_sub_co_u32_e32 v48, vcc, v24, v2
	v_mad_u64_u32 v[24:25], s[4:5], s24, v27, 0
	v_add_u32_e32 v69, 0x10c0, v19
	v_subb_co_u32_e32 v49, vcc, v26, v3, vcc
	v_mov_b32_e32 v26, v25
	v_add_u32_e32 v19, 0x140, v19
	v_mad_u64_u32 v[26:27], s[4:5], s25, v27, v[26:27]
	v_sub_co_u32_e32 v50, vcc, v24, v2
	v_mad_u64_u32 v[24:25], s[4:5], s24, v19, 0
	s_nop 0
	v_subb_co_u32_e32 v51, vcc, v26, v3, vcc
	v_mov_b32_e32 v26, v25
	v_mad_u64_u32 v[26:27], s[4:5], s25, v19, v[26:27]
	v_sub_co_u32_e32 v2, vcc, v24, v2
	s_add_i32 s16, s3, -2
	s_nop 0
	v_subb_co_u32_e32 v3, vcc, v26, v3, vcc
	v_add_u32_e32 v68, 0x10c0, v18
	v_add_u32_e32 v70, 0x11c0, v18
	v_lshl_add_u64 v[24:25], v[8:9], 0, v[0:1]
	v_lshl_add_u64 v[26:27], v[8:9], 0, v[4:5]
	;; [unrolled: 1-line block ×15, first 2 shown]
	v_add_u32_e32 v75, v54, v55
	s_add_i32 s17, s26, 64
	v_mov_b32_e32 v19, 0
	s_lshl_b64 s[8:9], s[24:25], 8
	v_add_u32_e32 v76, 50, v67
	v_add_u32_e32 v77, 51, v67
	s_cmp_eq_u32 s16, s2
	s_cselect_b32 s21, s29, 0
	s_and_saveexec_b64 s[4:5], s[14:15]
	s_cbranch_execz .LBB139_78
	s_branch .LBB139_75
.LBB139_74:                             ;   in Loop: Header=BB139_78 Depth=1
	s_mov_b32 s2, s4
	s_cmp_eq_u32 s16, s2
	s_cselect_b32 s21, s29, 0
	s_and_saveexec_b64 s[4:5], s[14:15]
	s_cbranch_execz .LBB139_78
.LBB139_75:
	s_cmp_eq_u32 s21, 0
	s_cselect_b64 s[10:11], -1, 0
	v_cmp_gt_i32_e32 vcc, s21, v64
	s_or_b64 s[12:13], s[10:11], vcc
	v_mov_b32_e32 v0, 0
	s_and_saveexec_b64 s[10:11], s[12:13]
	s_cbranch_execz .LBB139_77
; %bb.76:
	s_ashr_i32 s12, s17, 31
	s_mul_hi_u32 s13, s18, s17
	s_mul_i32 s12, s18, s12
	s_add_i32 s12, s13, s12
	s_mul_i32 s13, s19, s17
	s_add_i32 s13, s12, s13
	s_mul_i32 s12, s18, s17
	v_lshl_add_u64 v[0:1], s[12:13], 2, v[20:21]
	flat_load_dword v0, v[0:1]
.LBB139_77:
	s_or_b64 exec, exec, s[10:11]
	s_waitcnt vmcnt(0) lgkmcnt(0)
	ds_write_b32 v68, v0
.LBB139_78:                             ; =>This Inner Loop Header: Depth=1
	s_or_b64 exec, exec, s[4:5]
	s_cmp_eq_u32 s21, 0
	s_cselect_b64 s[10:11], -1, 0
	s_cmp_lg_u32 s21, 0
	s_cselect_b64 s[12:13], -1, 0
	v_lshl_add_u64 v[0:1], v[22:23], 0, v[18:19]
	s_mov_b64 s[4:5], -1
	s_and_b64 vcc, exec, s[12:13]
	s_waitcnt lgkmcnt(0)
	s_barrier
                                        ; implicit-def: $vgpr80
                                        ; implicit-def: $vgpr81
                                        ; implicit-def: $vgpr78
                                        ; implicit-def: $vgpr79
	s_cbranch_vccz .LBB139_88
; %bb.79:                               ;   in Loop: Header=BB139_78 Depth=1
	v_cmp_gt_i32_e32 vcc, s21, v67
	v_mov_b32_e32 v78, 0
	v_mov_b32_e32 v79, 0
	s_and_saveexec_b64 s[4:5], vcc
	s_cbranch_execz .LBB139_81
; %bb.80:                               ;   in Loop: Header=BB139_78 Depth=1
	flat_load_dword v79, v[0:1]
.LBB139_81:                             ;   in Loop: Header=BB139_78 Depth=1
	s_or_b64 exec, exec, s[4:5]
	v_or_b32_e32 v2, 1, v67
	v_cmp_gt_i32_e32 vcc, s21, v2
	s_and_saveexec_b64 s[4:5], vcc
	s_cbranch_execz .LBB139_83
; %bb.82:                               ;   in Loop: Header=BB139_78 Depth=1
	v_lshl_add_u64 v[2:3], v[28:29], 0, v[18:19]
	flat_load_dword v78, v[2:3]
.LBB139_83:                             ;   in Loop: Header=BB139_78 Depth=1
	s_or_b64 exec, exec, s[4:5]
	v_or_b32_e32 v2, 2, v67
	v_cmp_gt_i32_e32 vcc, s21, v2
	v_mov_b32_e32 v80, 0
	v_mov_b32_e32 v81, 0
	s_and_saveexec_b64 s[4:5], vcc
	s_cbranch_execz .LBB139_85
; %bb.84:                               ;   in Loop: Header=BB139_78 Depth=1
	v_lshl_add_u64 v[2:3], v[24:25], 0, v[18:19]
	flat_load_dword v81, v[2:3]
.LBB139_85:                             ;   in Loop: Header=BB139_78 Depth=1
	s_or_b64 exec, exec, s[4:5]
	v_or_b32_e32 v2, 3, v67
	v_cmp_gt_i32_e32 vcc, s21, v2
	s_and_saveexec_b64 s[4:5], vcc
	s_cbranch_execz .LBB139_87
; %bb.86:                               ;   in Loop: Header=BB139_78 Depth=1
	v_lshl_add_u64 v[2:3], v[26:27], 0, v[18:19]
	flat_load_dword v80, v[2:3]
.LBB139_87:                             ;   in Loop: Header=BB139_78 Depth=1
	s_or_b64 exec, exec, s[4:5]
	s_mov_b64 s[4:5], 0
.LBB139_88:                             ;   in Loop: Header=BB139_78 Depth=1
	s_and_b64 vcc, exec, s[4:5]
	s_cbranch_vccz .LBB139_90
; %bb.89:                               ;   in Loop: Header=BB139_78 Depth=1
	s_waitcnt vmcnt(0) lgkmcnt(0)
	flat_load_dword v79, v[0:1]
	v_lshl_add_u64 v[0:1], v[28:29], 0, v[18:19]
	flat_load_dword v78, v[0:1]
	v_lshl_add_u64 v[0:1], v[24:25], 0, v[18:19]
	;; [unrolled: 2-line block ×3, first 2 shown]
	flat_load_dword v80, v[0:1]
.LBB139_90:                             ;   in Loop: Header=BB139_78 Depth=1
	ds_read_b32 v4, v70
	ds_read_b128 v[0:3], v69
	s_andn2_b64 vcc, exec, s[12:13]
                                        ; implicit-def: $vgpr84
                                        ; implicit-def: $vgpr85
                                        ; implicit-def: $vgpr82
                                        ; implicit-def: $vgpr83
	s_waitcnt vmcnt(0) lgkmcnt(0)
	v_mul_f32_e32 v5, v79, v4
	v_mul_f32_e32 v6, v78, v4
	;; [unrolled: 1-line block ×4, first 2 shown]
	ds_write2_b32 v71, v5, v6 offset1:67
	ds_write2_b32 v71, v7, v4 offset0:134 offset1:201
	s_waitcnt lgkmcnt(0)
	s_barrier
	ds_read2_b32 v[56:57], v75 offset1:1
	ds_read2_b32 v[54:55], v75 offset0:2 offset1:3
	v_cndmask_b32_e64 v6, 0, 1, s[12:13]
	v_lshl_add_u64 v[4:5], v[36:37], 0, v[18:19]
	v_cmp_ne_u32_e64 s[4:5], 1, v6
	s_mov_b64 s[12:13], -1
	s_waitcnt lgkmcnt(0)
	s_barrier
	s_cbranch_vccnz .LBB139_100
; %bb.91:                               ;   in Loop: Header=BB139_78 Depth=1
	v_add_u32_e32 v6, 16, v67
	v_cmp_gt_i32_e32 vcc, s21, v6
	v_mov_b32_e32 v82, 0
	v_mov_b32_e32 v83, 0
	s_and_saveexec_b64 s[12:13], vcc
	s_cbranch_execz .LBB139_93
; %bb.92:                               ;   in Loop: Header=BB139_78 Depth=1
	flat_load_dword v83, v[4:5]
.LBB139_93:                             ;   in Loop: Header=BB139_78 Depth=1
	s_or_b64 exec, exec, s[12:13]
	v_add_u32_e32 v6, 17, v67
	v_cmp_gt_i32_e32 vcc, s21, v6
	s_and_saveexec_b64 s[12:13], vcc
	s_cbranch_execz .LBB139_95
; %bb.94:                               ;   in Loop: Header=BB139_78 Depth=1
	v_lshl_add_u64 v[6:7], v[34:35], 0, v[18:19]
	flat_load_dword v82, v[6:7]
.LBB139_95:                             ;   in Loop: Header=BB139_78 Depth=1
	s_or_b64 exec, exec, s[12:13]
	v_add_u32_e32 v6, 18, v67
	v_cmp_gt_i32_e32 vcc, s21, v6
	v_mov_b32_e32 v84, 0
	v_mov_b32_e32 v85, 0
	s_and_saveexec_b64 s[12:13], vcc
	s_cbranch_execz .LBB139_97
; %bb.96:                               ;   in Loop: Header=BB139_78 Depth=1
	v_lshl_add_u64 v[6:7], v[30:31], 0, v[18:19]
	flat_load_dword v85, v[6:7]
.LBB139_97:                             ;   in Loop: Header=BB139_78 Depth=1
	s_or_b64 exec, exec, s[12:13]
	v_add_u32_e32 v6, 19, v67
	v_cmp_gt_i32_e32 vcc, s21, v6
	s_and_saveexec_b64 s[12:13], vcc
	s_cbranch_execz .LBB139_99
; %bb.98:                               ;   in Loop: Header=BB139_78 Depth=1
	v_lshl_add_u64 v[6:7], v[32:33], 0, v[18:19]
	flat_load_dword v84, v[6:7]
.LBB139_99:                             ;   in Loop: Header=BB139_78 Depth=1
	s_or_b64 exec, exec, s[12:13]
	s_mov_b64 s[12:13], 0
.LBB139_100:                            ;   in Loop: Header=BB139_78 Depth=1
	s_and_b64 vcc, exec, s[12:13]
	s_cbranch_vccz .LBB139_102
; %bb.101:                              ;   in Loop: Header=BB139_78 Depth=1
	s_waitcnt vmcnt(0) lgkmcnt(0)
	flat_load_dword v83, v[4:5]
	v_lshl_add_u64 v[4:5], v[34:35], 0, v[18:19]
	flat_load_dword v82, v[4:5]
	v_lshl_add_u64 v[4:5], v[30:31], 0, v[18:19]
	;; [unrolled: 2-line block ×3, first 2 shown]
	flat_load_dword v84, v[4:5]
.LBB139_102:                            ;   in Loop: Header=BB139_78 Depth=1
	ds_read_b32 v8, v70
	ds_read_b128 v[4:7], v69 offset:64
	s_and_b64 vcc, exec, s[4:5]
	s_mov_b64 s[12:13], -1
                                        ; implicit-def: $vgpr88
                                        ; implicit-def: $vgpr89
                                        ; implicit-def: $vgpr86
                                        ; implicit-def: $vgpr87
	s_waitcnt vmcnt(0) lgkmcnt(0)
	v_mul_f32_e32 v9, v83, v8
	v_mul_f32_e32 v10, v82, v8
	;; [unrolled: 1-line block ×4, first 2 shown]
	ds_write2_b32 v71, v9, v10 offset1:67
	ds_write2_b32 v71, v11, v8 offset0:134 offset1:201
	s_waitcnt lgkmcnt(0)
	s_barrier
	ds_read2_b32 v[14:15], v75 offset1:1
	ds_read2_b32 v[12:13], v75 offset0:2 offset1:3
	v_lshl_add_u64 v[8:9], v[44:45], 0, v[18:19]
	s_waitcnt lgkmcnt(0)
	s_barrier
	s_cbranch_vccnz .LBB139_112
; %bb.103:                              ;   in Loop: Header=BB139_78 Depth=1
	v_add_u32_e32 v10, 32, v67
	v_cmp_gt_i32_e32 vcc, s21, v10
	v_mov_b32_e32 v86, 0
	v_mov_b32_e32 v87, 0
	s_and_saveexec_b64 s[12:13], vcc
	s_cbranch_execz .LBB139_105
; %bb.104:                              ;   in Loop: Header=BB139_78 Depth=1
	flat_load_dword v87, v[8:9]
.LBB139_105:                            ;   in Loop: Header=BB139_78 Depth=1
	s_or_b64 exec, exec, s[12:13]
	v_add_u32_e32 v10, 33, v67
	v_cmp_gt_i32_e32 vcc, s21, v10
	s_and_saveexec_b64 s[12:13], vcc
	s_cbranch_execz .LBB139_107
; %bb.106:                              ;   in Loop: Header=BB139_78 Depth=1
	v_lshl_add_u64 v[10:11], v[42:43], 0, v[18:19]
	flat_load_dword v86, v[10:11]
.LBB139_107:                            ;   in Loop: Header=BB139_78 Depth=1
	s_or_b64 exec, exec, s[12:13]
	v_add_u32_e32 v10, 34, v67
	v_cmp_gt_i32_e32 vcc, s21, v10
	v_mov_b32_e32 v88, 0
	v_mov_b32_e32 v89, 0
	s_and_saveexec_b64 s[12:13], vcc
	s_cbranch_execz .LBB139_109
; %bb.108:                              ;   in Loop: Header=BB139_78 Depth=1
	v_lshl_add_u64 v[10:11], v[38:39], 0, v[18:19]
	flat_load_dword v89, v[10:11]
.LBB139_109:                            ;   in Loop: Header=BB139_78 Depth=1
	s_or_b64 exec, exec, s[12:13]
	v_add_u32_e32 v10, 35, v67
	v_cmp_gt_i32_e32 vcc, s21, v10
	s_and_saveexec_b64 s[12:13], vcc
	s_cbranch_execz .LBB139_111
; %bb.110:                              ;   in Loop: Header=BB139_78 Depth=1
	v_lshl_add_u64 v[10:11], v[40:41], 0, v[18:19]
	flat_load_dword v88, v[10:11]
.LBB139_111:                            ;   in Loop: Header=BB139_78 Depth=1
	s_or_b64 exec, exec, s[12:13]
	s_mov_b64 s[12:13], 0
.LBB139_112:                            ;   in Loop: Header=BB139_78 Depth=1
	s_and_b64 vcc, exec, s[12:13]
	s_cbranch_vccz .LBB139_114
; %bb.113:                              ;   in Loop: Header=BB139_78 Depth=1
	s_waitcnt vmcnt(0) lgkmcnt(0)
	flat_load_dword v87, v[8:9]
	v_lshl_add_u64 v[8:9], v[42:43], 0, v[18:19]
	flat_load_dword v86, v[8:9]
	v_lshl_add_u64 v[8:9], v[38:39], 0, v[18:19]
	;; [unrolled: 2-line block ×3, first 2 shown]
	flat_load_dword v88, v[8:9]
.LBB139_114:                            ;   in Loop: Header=BB139_78 Depth=1
	ds_read_b32 v58, v70
	ds_read_b128 v[8:11], v69 offset:128
	v_lshl_add_u64 v[62:63], v[52:53], 0, v[18:19]
	s_and_b64 vcc, exec, s[4:5]
	s_mov_b64 s[4:5], -1
	s_waitcnt vmcnt(0) lgkmcnt(0)
	v_mul_f32_e32 v59, v87, v58
	v_mul_f32_e32 v60, v86, v58
	;; [unrolled: 1-line block ×4, first 2 shown]
	ds_write2_b32 v71, v59, v60 offset1:67
	ds_write2_b32 v71, v61, v58 offset0:134 offset1:201
	s_waitcnt lgkmcnt(0)
	s_barrier
	ds_read2_b32 v[60:61], v75 offset1:1
	ds_read2_b32 v[58:59], v75 offset0:2 offset1:3
	s_waitcnt lgkmcnt(0)
	s_barrier
                                        ; implicit-def: $vgpr92
                                        ; implicit-def: $vgpr93
                                        ; implicit-def: $vgpr90
                                        ; implicit-def: $vgpr91
	s_cbranch_vccnz .LBB139_124
; %bb.115:                              ;   in Loop: Header=BB139_78 Depth=1
	v_add_u32_e32 v90, 48, v67
	v_cmp_gt_i32_e32 vcc, s21, v90
	v_mov_b32_e32 v90, 0
	v_mov_b32_e32 v91, 0
	s_and_saveexec_b64 s[4:5], vcc
	s_cbranch_execz .LBB139_117
; %bb.116:                              ;   in Loop: Header=BB139_78 Depth=1
	flat_load_dword v91, v[62:63]
.LBB139_117:                            ;   in Loop: Header=BB139_78 Depth=1
	s_or_b64 exec, exec, s[4:5]
	v_add_u32_e32 v92, 49, v67
	v_cmp_gt_i32_e32 vcc, s21, v92
	s_and_saveexec_b64 s[4:5], vcc
	s_cbranch_execz .LBB139_119
; %bb.118:                              ;   in Loop: Header=BB139_78 Depth=1
	v_lshl_add_u64 v[92:93], v[50:51], 0, v[18:19]
	flat_load_dword v90, v[92:93]
.LBB139_119:                            ;   in Loop: Header=BB139_78 Depth=1
	s_or_b64 exec, exec, s[4:5]
	v_cmp_gt_i32_e32 vcc, s21, v76
	v_mov_b32_e32 v92, 0
	v_mov_b32_e32 v93, 0
	s_and_saveexec_b64 s[4:5], vcc
	s_cbranch_execz .LBB139_121
; %bb.120:                              ;   in Loop: Header=BB139_78 Depth=1
	v_lshl_add_u64 v[94:95], v[46:47], 0, v[18:19]
	flat_load_dword v93, v[94:95]
.LBB139_121:                            ;   in Loop: Header=BB139_78 Depth=1
	s_or_b64 exec, exec, s[4:5]
	v_cmp_gt_i32_e32 vcc, s21, v77
	s_and_saveexec_b64 s[4:5], vcc
	s_cbranch_execz .LBB139_123
; %bb.122:                              ;   in Loop: Header=BB139_78 Depth=1
	v_lshl_add_u64 v[94:95], v[48:49], 0, v[18:19]
	flat_load_dword v92, v[94:95]
.LBB139_123:                            ;   in Loop: Header=BB139_78 Depth=1
	s_or_b64 exec, exec, s[4:5]
	s_mov_b64 s[4:5], 0
.LBB139_124:                            ;   in Loop: Header=BB139_78 Depth=1
	s_and_b64 vcc, exec, s[4:5]
	s_cbranch_vccz .LBB139_126
; %bb.125:                              ;   in Loop: Header=BB139_78 Depth=1
	s_waitcnt vmcnt(0) lgkmcnt(0)
	flat_load_dword v91, v[62:63]
	v_lshl_add_u64 v[62:63], v[50:51], 0, v[18:19]
	flat_load_dword v90, v[62:63]
	v_lshl_add_u64 v[62:63], v[46:47], 0, v[18:19]
	;; [unrolled: 2-line block ×3, first 2 shown]
	flat_load_dword v92, v[62:63]
.LBB139_126:                            ;   in Loop: Header=BB139_78 Depth=1
	v_add_f32_e32 v60, 0, v60
	v_add_f32_e32 v60, v60, v61
	v_add_f32_e32 v58, v60, v58
	v_add_f32_e32 v60, v58, v59
	ds_read_b32 v58, v70
	v_add_f32_e32 v14, 0, v14
	v_add_f32_e32 v14, v14, v15
	;; [unrolled: 1-line block ×4, first 2 shown]
	ds_read_b128 v[12:15], v69 offset:192
	s_waitcnt vmcnt(0) lgkmcnt(0)
	v_mul_f32_e32 v59, v91, v58
	v_mul_f32_e32 v62, v90, v58
	ds_write2_b32 v71, v59, v62 offset1:67
	v_mul_f32_e32 v59, v93, v58
	v_mul_f32_e32 v58, v92, v58
	ds_write2_b32 v71, v59, v58 offset0:134 offset1:201
	s_waitcnt lgkmcnt(0)
	s_barrier
	ds_read2_b32 v[58:59], v75 offset1:1
	v_add_f32_e32 v56, 0, v56
	v_add_f32_e32 v62, v56, v57
	ds_read2_b32 v[56:57], v75 offset0:2 offset1:3
	v_add_f32_e32 v54, v62, v54
	v_add_f32_e32 v54, v54, v55
	s_waitcnt lgkmcnt(1)
	v_add_f32_e32 v55, 0, v58
	v_cmp_gt_i32_e32 vcc, s21, v64
	v_add_f32_e32 v55, v55, v59
	s_or_b64 s[4:5], s[10:11], vcc
	s_waitcnt lgkmcnt(0)
	v_add_f32_e32 v55, v55, v56
	s_and_b64 s[10:11], s[0:1], s[4:5]
	v_add_f32_e32 v55, v55, v57
	s_barrier
	ds_write2_b32 v72, v54, v61 offset1:16
	ds_write2_b32 v72, v60, v55 offset0:32 offset1:48
	s_waitcnt lgkmcnt(0)
	s_barrier
	s_and_saveexec_b64 s[4:5], s[10:11]
	s_cbranch_execz .LBB139_128
; %bb.127:                              ;   in Loop: Header=BB139_78 Depth=1
	ds_read2_b32 v[54:55], v73 offset1:1
	ds_read2_b32 v[56:57], v73 offset0:2 offset1:3
	ds_read2_b32 v[58:59], v73 offset0:4 offset1:5
	;; [unrolled: 1-line block ×4, first 2 shown]
	s_waitcnt lgkmcnt(4)
	v_add_f32_e32 v54, v54, v55
	s_waitcnt lgkmcnt(3)
	v_add_f32_e32 v54, v54, v56
	v_add_f32_e32 v54, v54, v57
	s_waitcnt lgkmcnt(2)
	v_add_f32_e32 v54, v54, v58
	;; [unrolled: 3-line block ×3, first 2 shown]
	v_add_f32_e32 v58, v54, v61
	ds_read2_b32 v[54:55], v73 offset0:10 offset1:11
	ds_read2_b32 v[56:57], v73 offset0:12 offset1:13
	ds_read_b32 v59, v73 offset:56
	s_waitcnt lgkmcnt(3)
	v_add_f32_e32 v58, v58, v62
	v_add_f32_e32 v58, v58, v63
	s_waitcnt lgkmcnt(2)
	v_add_f32_e32 v54, v58, v54
	ds_read_b32 v58, v74
	v_add_f32_e32 v54, v54, v55
	s_waitcnt lgkmcnt(2)
	v_add_f32_e32 v54, v54, v56
	v_add_f32_e32 v54, v54, v57
	s_waitcnt lgkmcnt(1)
	v_add_f32_e32 v54, v54, v59
	s_waitcnt lgkmcnt(0)
	v_add_f32_e32 v56, v54, v58
	v_add_u32_e32 v54, s17, v64
	v_ashrrev_i32_e32 v55, 31, v54
	v_lshl_add_u64 v[54:55], v[54:55], 2, s[6:7]
	global_store_dword v[54:55], v56, off
.LBB139_128:                            ;   in Loop: Header=BB139_78 Depth=1
	s_or_b64 exec, exec, s[4:5]
	v_fmac_f32_e32 v66, v79, v0
	v_fmac_f32_e32 v66, v78, v1
	v_fmac_f32_e32 v66, v81, v2
	v_fmac_f32_e32 v66, v80, v3
	v_fmac_f32_e32 v66, v83, v4
	v_fmac_f32_e32 v66, v82, v5
	v_fmac_f32_e32 v66, v85, v6
	v_fmac_f32_e32 v66, v84, v7
	v_fmac_f32_e32 v66, v87, v8
	v_fmac_f32_e32 v66, v86, v9
	v_fmac_f32_e32 v66, v89, v10
	v_fmac_f32_e32 v66, v88, v11
	v_fmac_f32_e32 v66, v91, v12
	v_fmac_f32_e32 v66, v90, v13
	v_fmac_f32_e32 v66, v93, v14
	s_add_i32 s4, s2, 1
	s_add_i32 s17, s17, 64
	;; [unrolled: 1-line block ×3, first 2 shown]
	v_fmac_f32_e32 v66, v92, v15
	v_lshl_add_u64 v[24:25], v[24:25], 0, s[8:9]
	v_lshl_add_u64 v[26:27], v[26:27], 0, s[8:9]
	v_lshl_add_u64 v[28:29], v[28:29], 0, s[8:9]
	v_lshl_add_u64 v[22:23], v[22:23], 0, s[8:9]
	v_lshl_add_u64 v[30:31], v[30:31], 0, s[8:9]
	v_lshl_add_u64 v[32:33], v[32:33], 0, s[8:9]
	v_lshl_add_u64 v[34:35], v[34:35], 0, s[8:9]
	v_lshl_add_u64 v[36:37], v[36:37], 0, s[8:9]
	v_lshl_add_u64 v[38:39], v[38:39], 0, s[8:9]
	v_lshl_add_u64 v[40:41], v[40:41], 0, s[8:9]
	v_lshl_add_u64 v[42:43], v[42:43], 0, s[8:9]
	v_lshl_add_u64 v[44:45], v[44:45], 0, s[8:9]
	v_lshl_add_u64 v[46:47], v[46:47], 0, s[8:9]
	v_lshl_add_u64 v[48:49], v[48:49], 0, s[8:9]
	v_lshl_add_u64 v[50:51], v[50:51], 0, s[8:9]
	s_cmp_ge_u32 s2, s3
	v_lshl_add_u64 v[52:53], v[52:53], 0, s[8:9]
	s_barrier
	s_cbranch_scc0 .LBB139_74
.LBB139_129:
	s_movk_i32 s0, 0x10c
	v_cmp_gt_i32_e32 vcc, s20, v64
	v_mad_u32_u24 v0, v65, s0, v18
	s_or_b64 s[0:1], s[22:23], vcc
	s_and_b64 s[0:1], s[14:15], s[0:1]
	ds_write_b32 v0, v66
	s_waitcnt lgkmcnt(0)
	s_barrier
	s_and_saveexec_b64 s[2:3], s[0:1]
	s_cbranch_execz .LBB139_4
; %bb.130:
	ds_read2_b32 v[0:1], v18 offset1:67
	ds_read2_b32 v[2:3], v18 offset0:134 offset1:201
	s_waitcnt lgkmcnt(1)
	v_add_f32_e32 v0, v0, v1
	s_waitcnt lgkmcnt(0)
	v_add_f32_e32 v0, v0, v2
	v_add_f32_e32 v2, v0, v3
	v_lshl_add_u64 v[0:1], v[16:17], 2, s[6:7]
	global_store_dword v[0:1], v2, off
	s_endpgm
	.section	.rodata,"a",@progbits
	.p2align	6, 0x0
	.amdhsa_kernel _ZL26rocblas_hemvn_kernel_upperILb0ELi64ELi4ELi33ELi32ELi16ElfPKPKfPfEviT6_lT7_lT5_lS6_lS7_lS5_lT8_i
		.amdhsa_group_segment_fixed_size 4800
		.amdhsa_private_segment_fixed_size 0
		.amdhsa_kernarg_size 368
		.amdhsa_user_sgpr_count 2
		.amdhsa_user_sgpr_dispatch_ptr 0
		.amdhsa_user_sgpr_queue_ptr 0
		.amdhsa_user_sgpr_kernarg_segment_ptr 1
		.amdhsa_user_sgpr_dispatch_id 0
		.amdhsa_user_sgpr_kernarg_preload_length 0
		.amdhsa_user_sgpr_kernarg_preload_offset 0
		.amdhsa_user_sgpr_private_segment_size 0
		.amdhsa_uses_dynamic_stack 0
		.amdhsa_enable_private_segment 0
		.amdhsa_system_sgpr_workgroup_id_x 1
		.amdhsa_system_sgpr_workgroup_id_y 0
		.amdhsa_system_sgpr_workgroup_id_z 1
		.amdhsa_system_sgpr_workgroup_info 0
		.amdhsa_system_vgpr_workitem_id 1
		.amdhsa_next_free_vgpr 96
		.amdhsa_next_free_sgpr 40
		.amdhsa_accum_offset 96
		.amdhsa_reserve_vcc 1
		.amdhsa_float_round_mode_32 0
		.amdhsa_float_round_mode_16_64 0
		.amdhsa_float_denorm_mode_32 3
		.amdhsa_float_denorm_mode_16_64 3
		.amdhsa_dx10_clamp 1
		.amdhsa_ieee_mode 1
		.amdhsa_fp16_overflow 0
		.amdhsa_tg_split 0
		.amdhsa_exception_fp_ieee_invalid_op 0
		.amdhsa_exception_fp_denorm_src 0
		.amdhsa_exception_fp_ieee_div_zero 0
		.amdhsa_exception_fp_ieee_overflow 0
		.amdhsa_exception_fp_ieee_underflow 0
		.amdhsa_exception_fp_ieee_inexact 0
		.amdhsa_exception_int_div_zero 0
	.end_amdhsa_kernel
	.section	.text._ZL26rocblas_hemvn_kernel_upperILb0ELi64ELi4ELi33ELi32ELi16ElfPKPKfPfEviT6_lT7_lT5_lS6_lS7_lS5_lT8_i,"axG",@progbits,_ZL26rocblas_hemvn_kernel_upperILb0ELi64ELi4ELi33ELi32ELi16ElfPKPKfPfEviT6_lT7_lT5_lS6_lS7_lS5_lT8_i,comdat
.Lfunc_end139:
	.size	_ZL26rocblas_hemvn_kernel_upperILb0ELi64ELi4ELi33ELi32ELi16ElfPKPKfPfEviT6_lT7_lT5_lS6_lS7_lS5_lT8_i, .Lfunc_end139-_ZL26rocblas_hemvn_kernel_upperILb0ELi64ELi4ELi33ELi32ELi16ElfPKPKfPfEviT6_lT7_lT5_lS6_lS7_lS5_lT8_i
                                        ; -- End function
	.set _ZL26rocblas_hemvn_kernel_upperILb0ELi64ELi4ELi33ELi32ELi16ElfPKPKfPfEviT6_lT7_lT5_lS6_lS7_lS5_lT8_i.num_vgpr, 96
	.set _ZL26rocblas_hemvn_kernel_upperILb0ELi64ELi4ELi33ELi32ELi16ElfPKPKfPfEviT6_lT7_lT5_lS6_lS7_lS5_lT8_i.num_agpr, 0
	.set _ZL26rocblas_hemvn_kernel_upperILb0ELi64ELi4ELi33ELi32ELi16ElfPKPKfPfEviT6_lT7_lT5_lS6_lS7_lS5_lT8_i.numbered_sgpr, 40
	.set _ZL26rocblas_hemvn_kernel_upperILb0ELi64ELi4ELi33ELi32ELi16ElfPKPKfPfEviT6_lT7_lT5_lS6_lS7_lS5_lT8_i.num_named_barrier, 0
	.set _ZL26rocblas_hemvn_kernel_upperILb0ELi64ELi4ELi33ELi32ELi16ElfPKPKfPfEviT6_lT7_lT5_lS6_lS7_lS5_lT8_i.private_seg_size, 0
	.set _ZL26rocblas_hemvn_kernel_upperILb0ELi64ELi4ELi33ELi32ELi16ElfPKPKfPfEviT6_lT7_lT5_lS6_lS7_lS5_lT8_i.uses_vcc, 1
	.set _ZL26rocblas_hemvn_kernel_upperILb0ELi64ELi4ELi33ELi32ELi16ElfPKPKfPfEviT6_lT7_lT5_lS6_lS7_lS5_lT8_i.uses_flat_scratch, 0
	.set _ZL26rocblas_hemvn_kernel_upperILb0ELi64ELi4ELi33ELi32ELi16ElfPKPKfPfEviT6_lT7_lT5_lS6_lS7_lS5_lT8_i.has_dyn_sized_stack, 0
	.set _ZL26rocblas_hemvn_kernel_upperILb0ELi64ELi4ELi33ELi32ELi16ElfPKPKfPfEviT6_lT7_lT5_lS6_lS7_lS5_lT8_i.has_recursion, 0
	.set _ZL26rocblas_hemvn_kernel_upperILb0ELi64ELi4ELi33ELi32ELi16ElfPKPKfPfEviT6_lT7_lT5_lS6_lS7_lS5_lT8_i.has_indirect_call, 0
	.section	.AMDGPU.csdata,"",@progbits
; Kernel info:
; codeLenInByte = 6664
; TotalNumSgprs: 46
; NumVgprs: 96
; NumAgprs: 0
; TotalNumVgprs: 96
; ScratchSize: 0
; MemoryBound: 0
; FloatMode: 240
; IeeeMode: 1
; LDSByteSize: 4800 bytes/workgroup (compile time only)
; SGPRBlocks: 5
; VGPRBlocks: 11
; NumSGPRsForWavesPerEU: 46
; NumVGPRsForWavesPerEU: 96
; AccumOffset: 96
; Occupancy: 5
; WaveLimiterHint : 1
; COMPUTE_PGM_RSRC2:SCRATCH_EN: 0
; COMPUTE_PGM_RSRC2:USER_SGPR: 2
; COMPUTE_PGM_RSRC2:TRAP_HANDLER: 0
; COMPUTE_PGM_RSRC2:TGID_X_EN: 1
; COMPUTE_PGM_RSRC2:TGID_Y_EN: 0
; COMPUTE_PGM_RSRC2:TGID_Z_EN: 1
; COMPUTE_PGM_RSRC2:TIDIG_COMP_CNT: 1
; COMPUTE_PGM_RSRC3_GFX90A:ACCUM_OFFSET: 23
; COMPUTE_PGM_RSRC3_GFX90A:TG_SPLIT: 0
	.section	.text._ZL36rocblas_hemvn_kernel_upper_block_sumILi64ElfPKPffEviT1_lS3_lT2_lT0_lPT3_i,"axG",@progbits,_ZL36rocblas_hemvn_kernel_upper_block_sumILi64ElfPKPffEviT1_lS3_lT2_lT0_lPT3_i,comdat
	.globl	_ZL36rocblas_hemvn_kernel_upper_block_sumILi64ElfPKPffEviT1_lS3_lT2_lT0_lPT3_i ; -- Begin function _ZL36rocblas_hemvn_kernel_upper_block_sumILi64ElfPKPffEviT1_lS3_lT2_lT0_lPT3_i
	.p2align	8
	.type	_ZL36rocblas_hemvn_kernel_upper_block_sumILi64ElfPKPffEviT1_lS3_lT2_lT0_lPT3_i,@function
_ZL36rocblas_hemvn_kernel_upper_block_sumILi64ElfPKPffEviT1_lS3_lT2_lT0_lPT3_i: ; @_ZL36rocblas_hemvn_kernel_upper_block_sumILi64ElfPKPffEviT1_lS3_lT2_lT0_lPT3_i
; %bb.0:
	s_mov_b32 s14, s3
	s_load_dwordx2 s[10:11], s[0:1], 0x0
	s_load_dword s3, s[0:1], 0x10
	s_mov_b32 s15, 0
	s_waitcnt lgkmcnt(0)
	v_cmp_eq_f32_e64 s[4:5], s11, 0
	v_cmp_eq_f32_e64 s[6:7], s3, 1.0
	s_and_b64 s[4:5], s[4:5], s[6:7]
	s_and_b64 vcc, exec, s[4:5]
	s_cbranch_vccnz .LBB140_19
; %bb.1:
	s_load_dwordx2 s[8:9], s[0:1], 0x20
	s_load_dwordx4 s[4:7], s[0:1], 0x28
	s_lshl_b64 s[12:13], s[14:15], 3
	v_lshl_or_b32 v0, s2, 6, v0
	s_waitcnt lgkmcnt(0)
	s_add_u32 s8, s8, s12
	s_addc_u32 s9, s9, s13
	s_load_dwordx2 s[8:9], s[8:9], 0x0
	s_lshl_b64 s[4:5], s[4:5], 2
	v_cmp_neq_f32_e64 s[12:13], s11, 0
	s_waitcnt lgkmcnt(0)
	s_add_u32 s8, s8, s4
	s_addc_u32 s9, s9, s5
	s_and_b64 vcc, exec, s[12:13]
	v_cmp_gt_i32_e64 s[4:5], s10, v0
	s_cbranch_vccnz .LBB140_6
; %bb.2:
	s_mov_b64 s[16:17], 0
	s_mov_b64 s[12:13], 0
                                        ; implicit-def: $vgpr1
                                        ; implicit-def: $vgpr2_vgpr3
	s_and_saveexec_b64 s[18:19], s[4:5]
	s_cbranch_execz .LBB140_7
; %bb.3:
	v_ashrrev_i32_e32 v2, 31, v0
	v_cmp_eq_f32_e64 s[4:5], s3, 0
	v_mul_lo_u32 v4, s7, v0
	v_mul_lo_u32 v5, s6, v2
	v_mad_u64_u32 v[2:3], s[12:13], s6, v0, 0
	v_mov_b32_e32 v1, 0
	v_add3_u32 v3, v3, v5, v4
	s_and_b64 vcc, exec, s[4:5]
	s_cbranch_vccnz .LBB140_5
; %bb.4:
	v_lshl_add_u64 v[4:5], v[2:3], 2, s[8:9]
	flat_load_dword v1, v[4:5]
	s_waitcnt vmcnt(0) lgkmcnt(0)
	v_mul_f32_e32 v1, s3, v1
.LBB140_5:
	s_mov_b64 s[12:13], exec
	s_or_b64 exec, exec, s[18:19]
	s_and_b64 vcc, exec, s[16:17]
	s_cbranch_vccnz .LBB140_8
	s_branch .LBB140_17
.LBB140_6:
	s_mov_b64 s[12:13], 0
                                        ; implicit-def: $vgpr1
                                        ; implicit-def: $vgpr2_vgpr3
	s_cbranch_execnz .LBB140_8
	s_branch .LBB140_17
.LBB140_7:
	s_or_b64 exec, exec, s[18:19]
	s_and_b64 vcc, exec, s[16:17]
	s_cbranch_vccz .LBB140_17
.LBB140_8:
	v_cmp_gt_i32_e32 vcc, s10, v0
                                        ; implicit-def: $vgpr1
                                        ; implicit-def: $vgpr2_vgpr3
	s_and_saveexec_b64 s[4:5], vcc
	s_cbranch_execz .LBB140_16
; %bb.9:
	v_ashrrev_i32_e32 v1, 31, v0
	s_cmp_lt_i32 s2, 0
	v_mov_b32_e32 v4, 0
	s_cbranch_scc1 .LBB140_12
; %bb.10:
	s_load_dwordx2 s[18:19], s[0:1], 0x40
	s_load_dword s15, s[0:1], 0x50
	s_ashr_i32 s17, s10, 31
	s_mul_hi_u32 s0, s10, s14
	s_mul_i32 s1, s17, s14
	s_mov_b32 s16, s10
	s_add_i32 s0, s0, s1
	s_mul_i32 s10, s10, s14
	s_waitcnt lgkmcnt(0)
	s_mul_i32 s0, s0, s15
	s_mul_hi_u32 s1, s10, s15
	s_add_i32 s1, s1, s0
	s_mul_i32 s0, s10, s15
	s_lshl_b64 s[0:1], s[0:1], 2
	s_add_u32 s0, s18, s0
	s_addc_u32 s1, s19, s1
	v_lshl_add_u64 v[2:3], v[0:1], 2, s[0:1]
	s_add_i32 s2, s2, 1
	s_lshl_b64 s[0:1], s[16:17], 2
	v_mov_b32_e32 v4, 0
.LBB140_11:                             ; =>This Inner Loop Header: Depth=1
	global_load_dword v5, v[2:3], off
	s_add_i32 s2, s2, -1
	v_lshl_add_u64 v[2:3], v[2:3], 0, s[0:1]
	s_cmp_eq_u32 s2, 0
	s_waitcnt vmcnt(0)
	v_add_f32_e32 v4, v4, v5
	s_cbranch_scc0 .LBB140_11
.LBB140_12:
	v_cmp_eq_f32_e64 s[0:1], s3, 0
	s_and_b64 vcc, exec, s[0:1]
	v_mul_lo_u32 v5, s7, v0
	v_mul_lo_u32 v6, s6, v1
	s_cbranch_vccz .LBB140_20
; %bb.13:
	v_mad_u64_u32 v[2:3], s[0:1], s6, v0, 0
	v_mul_f32_e32 v1, s11, v4
	v_add3_u32 v3, v3, v6, v5
	s_cbranch_execnz .LBB140_15
.LBB140_14:
	v_mad_u64_u32 v[2:3], s[0:1], s6, v0, 0
	v_add3_u32 v3, v3, v6, v5
	v_lshl_add_u64 v[0:1], v[2:3], 2, s[8:9]
	flat_load_dword v5, v[0:1]
	s_mov_b32 s2, s11
	s_waitcnt vmcnt(0) lgkmcnt(0)
	v_pk_mul_f32 v[0:1], s[2:3], v[4:5]
	s_nop 0
	v_add_f32_e32 v1, v0, v1
.LBB140_15:
	s_or_b64 s[12:13], s[12:13], exec
.LBB140_16:
	s_or_b64 exec, exec, s[4:5]
.LBB140_17:
	s_and_saveexec_b64 s[0:1], s[12:13]
	s_cbranch_execz .LBB140_19
; %bb.18:
	v_lshl_add_u64 v[2:3], v[2:3], 2, s[8:9]
	flat_store_dword v[2:3], v1
.LBB140_19:
	s_endpgm
.LBB140_20:
                                        ; implicit-def: $vgpr1
                                        ; implicit-def: $vgpr2_vgpr3
	s_branch .LBB140_14
	.section	.rodata,"a",@progbits
	.p2align	6, 0x0
	.amdhsa_kernel _ZL36rocblas_hemvn_kernel_upper_block_sumILi64ElfPKPffEviT1_lS3_lT2_lT0_lPT3_i
		.amdhsa_group_segment_fixed_size 0
		.amdhsa_private_segment_fixed_size 0
		.amdhsa_kernarg_size 336
		.amdhsa_user_sgpr_count 2
		.amdhsa_user_sgpr_dispatch_ptr 0
		.amdhsa_user_sgpr_queue_ptr 0
		.amdhsa_user_sgpr_kernarg_segment_ptr 1
		.amdhsa_user_sgpr_dispatch_id 0
		.amdhsa_user_sgpr_kernarg_preload_length 0
		.amdhsa_user_sgpr_kernarg_preload_offset 0
		.amdhsa_user_sgpr_private_segment_size 0
		.amdhsa_uses_dynamic_stack 0
		.amdhsa_enable_private_segment 0
		.amdhsa_system_sgpr_workgroup_id_x 1
		.amdhsa_system_sgpr_workgroup_id_y 0
		.amdhsa_system_sgpr_workgroup_id_z 1
		.amdhsa_system_sgpr_workgroup_info 0
		.amdhsa_system_vgpr_workitem_id 0
		.amdhsa_next_free_vgpr 7
		.amdhsa_next_free_sgpr 20
		.amdhsa_accum_offset 8
		.amdhsa_reserve_vcc 1
		.amdhsa_float_round_mode_32 0
		.amdhsa_float_round_mode_16_64 0
		.amdhsa_float_denorm_mode_32 3
		.amdhsa_float_denorm_mode_16_64 3
		.amdhsa_dx10_clamp 1
		.amdhsa_ieee_mode 1
		.amdhsa_fp16_overflow 0
		.amdhsa_tg_split 0
		.amdhsa_exception_fp_ieee_invalid_op 0
		.amdhsa_exception_fp_denorm_src 0
		.amdhsa_exception_fp_ieee_div_zero 0
		.amdhsa_exception_fp_ieee_overflow 0
		.amdhsa_exception_fp_ieee_underflow 0
		.amdhsa_exception_fp_ieee_inexact 0
		.amdhsa_exception_int_div_zero 0
	.end_amdhsa_kernel
	.section	.text._ZL36rocblas_hemvn_kernel_upper_block_sumILi64ElfPKPffEviT1_lS3_lT2_lT0_lPT3_i,"axG",@progbits,_ZL36rocblas_hemvn_kernel_upper_block_sumILi64ElfPKPffEviT1_lS3_lT2_lT0_lPT3_i,comdat
.Lfunc_end140:
	.size	_ZL36rocblas_hemvn_kernel_upper_block_sumILi64ElfPKPffEviT1_lS3_lT2_lT0_lPT3_i, .Lfunc_end140-_ZL36rocblas_hemvn_kernel_upper_block_sumILi64ElfPKPffEviT1_lS3_lT2_lT0_lPT3_i
                                        ; -- End function
	.set _ZL36rocblas_hemvn_kernel_upper_block_sumILi64ElfPKPffEviT1_lS3_lT2_lT0_lPT3_i.num_vgpr, 7
	.set _ZL36rocblas_hemvn_kernel_upper_block_sumILi64ElfPKPffEviT1_lS3_lT2_lT0_lPT3_i.num_agpr, 0
	.set _ZL36rocblas_hemvn_kernel_upper_block_sumILi64ElfPKPffEviT1_lS3_lT2_lT0_lPT3_i.numbered_sgpr, 20
	.set _ZL36rocblas_hemvn_kernel_upper_block_sumILi64ElfPKPffEviT1_lS3_lT2_lT0_lPT3_i.num_named_barrier, 0
	.set _ZL36rocblas_hemvn_kernel_upper_block_sumILi64ElfPKPffEviT1_lS3_lT2_lT0_lPT3_i.private_seg_size, 0
	.set _ZL36rocblas_hemvn_kernel_upper_block_sumILi64ElfPKPffEviT1_lS3_lT2_lT0_lPT3_i.uses_vcc, 1
	.set _ZL36rocblas_hemvn_kernel_upper_block_sumILi64ElfPKPffEviT1_lS3_lT2_lT0_lPT3_i.uses_flat_scratch, 0
	.set _ZL36rocblas_hemvn_kernel_upper_block_sumILi64ElfPKPffEviT1_lS3_lT2_lT0_lPT3_i.has_dyn_sized_stack, 0
	.set _ZL36rocblas_hemvn_kernel_upper_block_sumILi64ElfPKPffEviT1_lS3_lT2_lT0_lPT3_i.has_recursion, 0
	.set _ZL36rocblas_hemvn_kernel_upper_block_sumILi64ElfPKPffEviT1_lS3_lT2_lT0_lPT3_i.has_indirect_call, 0
	.section	.AMDGPU.csdata,"",@progbits
; Kernel info:
; codeLenInByte = 592
; TotalNumSgprs: 26
; NumVgprs: 7
; NumAgprs: 0
; TotalNumVgprs: 7
; ScratchSize: 0
; MemoryBound: 0
; FloatMode: 240
; IeeeMode: 1
; LDSByteSize: 0 bytes/workgroup (compile time only)
; SGPRBlocks: 3
; VGPRBlocks: 0
; NumSGPRsForWavesPerEU: 26
; NumVGPRsForWavesPerEU: 7
; AccumOffset: 8
; Occupancy: 8
; WaveLimiterHint : 1
; COMPUTE_PGM_RSRC2:SCRATCH_EN: 0
; COMPUTE_PGM_RSRC2:USER_SGPR: 2
; COMPUTE_PGM_RSRC2:TRAP_HANDLER: 0
; COMPUTE_PGM_RSRC2:TGID_X_EN: 1
; COMPUTE_PGM_RSRC2:TGID_Y_EN: 0
; COMPUTE_PGM_RSRC2:TGID_Z_EN: 1
; COMPUTE_PGM_RSRC2:TIDIG_COMP_CNT: 0
; COMPUTE_PGM_RSRC3_GFX90A:ACCUM_OFFSET: 1
; COMPUTE_PGM_RSRC3_GFX90A:TG_SPLIT: 0
	.section	.text._ZL26rocblas_hemvn_kernel_upperILb0ELi64ELi4ELi33ELi32ELi16EifPKPKfPfEviT6_lT7_lT5_lS6_lS7_lS5_lT8_i,"axG",@progbits,_ZL26rocblas_hemvn_kernel_upperILb0ELi64ELi4ELi33ELi32ELi16EifPKPKfPfEviT6_lT7_lT5_lS6_lS7_lS5_lT8_i,comdat
	.globl	_ZL26rocblas_hemvn_kernel_upperILb0ELi64ELi4ELi33ELi32ELi16EifPKPKfPfEviT6_lT7_lT5_lS6_lS7_lS5_lT8_i ; -- Begin function _ZL26rocblas_hemvn_kernel_upperILb0ELi64ELi4ELi33ELi32ELi16EifPKPKfPfEviT6_lT7_lT5_lS6_lS7_lS5_lT8_i
	.p2align	8
	.type	_ZL26rocblas_hemvn_kernel_upperILb0ELi64ELi4ELi33ELi32ELi16EifPKPKfPfEviT6_lT7_lT5_lS6_lS7_lS5_lT8_i,@function
_ZL26rocblas_hemvn_kernel_upperILb0ELi64ELi4ELi33ELi32ELi16EifPKPKfPfEviT6_lT7_lT5_lS6_lS7_lS5_lT8_i: ; @_ZL26rocblas_hemvn_kernel_upperILb0ELi64ELi4ELi33ELi32ELi16EifPKPKfPfEviT6_lT7_lT5_lS6_lS7_lS5_lT8_i
; %bb.0:
	s_load_dwordx2 s[4:5], s[0:1], 0x7c
	s_add_u32 s8, s0, 0x70
	s_mov_b32 s24, s3
	s_addc_u32 s9, s1, 0
	s_waitcnt lgkmcnt(0)
	s_and_b32 s3, s5, 0xffff
	s_lshr_b32 s5, s4, 16
	s_and_b32 s4, s4, 0xffff
	s_mul_i32 s4, s5, s4
	s_mul_i32 s4, s4, s3
	s_cmpk_lg_i32 s4, 0x100
	s_cbranch_scc1 .LBB141_4
; %bb.1:
	s_load_dwordx2 s[26:27], s[0:1], 0x0
	s_load_dword s3, s[0:1], 0x50
	s_waitcnt lgkmcnt(0)
	v_cmp_eq_f32_e64 s[4:5], s27, 0
	v_cmp_eq_f32_e64 s[6:7], s3, 1.0
	s_and_b64 s[6:7], s[4:5], s[6:7]
	s_and_b64 vcc, exec, s[6:7]
	s_cbranch_vccnz .LBB141_4
; %bb.2:
	s_and_b64 vcc, exec, s[4:5]
	s_cbranch_vccz .LBB141_5
; %bb.3:
	s_cbranch_execz .LBB141_6
.LBB141_4:
	s_endpgm
.LBB141_5:
.LBB141_6:
	s_load_dwordx4 s[4:7], s[0:1], 0x10
	s_load_dword s3, s[8:9], 0x0
	s_load_dwordx4 s[12:15], s[0:1], 0x30
	s_mov_b32 s25, 0
	s_lshl_b64 s[8:9], s[24:25], 3
	s_waitcnt lgkmcnt(0)
	s_add_u32 s4, s4, s8
	s_addc_u32 s5, s5, s9
	s_add_u32 s8, s12, s8
	s_addc_u32 s9, s13, s9
	s_load_dwordx2 s[10:11], s[8:9], 0x0
	s_load_dword s25, s[0:1], 0x40
	s_lshl_b64 s[8:9], s[14:15], 2
	v_and_b32_e32 v18, 0x3ff, v0
	s_load_dwordx2 s[4:5], s[4:5], 0x0
	s_waitcnt lgkmcnt(0)
	s_add_u32 s8, s10, s8
	s_addc_u32 s9, s11, s9
	s_ashr_i32 s27, s26, 31
	s_lshr_b32 s11, s27, 26
	s_lshl_b32 s28, s2, 6
	s_add_i32 s11, s26, s11
	s_andn2_b32 s11, s11, 63
	v_add_u32_e32 v16, s28, v18
	v_bfe_u32 v17, v0, 10, 10
	s_add_i32 s10, s3, -1
	s_sub_i32 s33, s26, s11
	v_mul_lo_u32 v0, s25, v16
	s_cmp_eq_u32 s2, s10
	v_ashrrev_i32_e32 v1, 31, v0
	s_cselect_b32 s18, s33, 0
	v_lshl_add_u64 v[6:7], v[0:1], 2, s[8:9]
	v_cmp_eq_u32_e64 s[14:15], 0, v17
	s_and_saveexec_b64 s[8:9], s[14:15]
	s_cbranch_execz .LBB141_10
; %bb.7:
	s_cmp_eq_u32 s18, 0
	s_cselect_b64 s[10:11], -1, 0
	v_cmp_gt_i32_e32 vcc, s18, v18
	s_or_b64 s[12:13], s[10:11], vcc
	v_mov_b32_e32 v0, 0
	s_and_saveexec_b64 s[10:11], s[12:13]
	s_cbranch_execz .LBB141_9
; %bb.8:
	flat_load_dword v0, v[6:7]
.LBB141_9:
	s_or_b64 exec, exec, s[10:11]
	v_lshlrev_b32_e32 v1, 2, v18
	s_waitcnt vmcnt(0) lgkmcnt(0)
	ds_write_b32 v1, v0 offset:4544
.LBB141_10:
	s_or_b64 exec, exec, s[8:9]
	s_lshl_b64 s[6:7], s[6:7], 2
	s_load_dword s22, s[0:1], 0x20
	s_add_u32 s6, s4, s6
	s_addc_u32 s7, s5, s7
	s_ashr_i32 s29, s28, 31
	v_lshl_add_u32 v14, v17, 6, v18
	s_lshl_b64 s[4:5], s[28:29], 2
	v_and_b32_e32 v2, 31, v18
	v_lshrrev_b32_e32 v15, 5, v14
	s_add_u32 s4, s6, s4
	s_addc_u32 s5, s7, s5
	s_waitcnt lgkmcnt(0)
	v_mad_u64_u32 v[4:5], s[6:7], s22, v15, v[2:3]
	v_ashrrev_i32_e32 v5, 31, v4
	v_lshl_add_u64 v[0:1], v[4:5], 2, s[4:5]
	s_mul_i32 s4, s22, s28
	s_ashr_i32 s5, s4, 31
	s_cmp_eq_u32 s18, 0
	s_cselect_b64 s[20:21], -1, 0
	s_cmp_lg_u32 s18, 0
	s_cselect_b64 s[34:35], -1, 0
	v_lshl_add_u64 v[10:11], s[4:5], 2, v[0:1]
	s_and_b64 vcc, exec, s[34:35]
	v_cmp_gt_i32_e64 s[4:5], s18, v2
	v_lshlrev_b32_e32 v0, 2, v2
	s_cbranch_vccz .LBB141_20
; %bb.11:
	v_sub_co_u32_e32 v8, vcc, v10, v0
	s_ashr_i32 s19, s18, 31
	s_nop 0
	v_subbrev_co_u32_e32 v9, vcc, 0, v11, vcc
	v_lshl_add_u64 v[8:9], s[18:19], 2, v[8:9]
	v_lshl_add_u64 v[8:9], v[8:9], 0, -4
	v_mov_b32_e32 v3, 0
	v_cndmask_b32_e64 v9, v9, v11, s[4:5]
	v_cndmask_b32_e64 v8, v8, v10, s[4:5]
	v_cmp_gt_i32_e32 vcc, s18, v15
	v_mov_b32_e32 v12, 0
	s_and_saveexec_b64 s[6:7], vcc
	s_cbranch_execz .LBB141_13
; %bb.12:
	flat_load_dword v12, v[8:9]
.LBB141_13:
	s_or_b64 exec, exec, s[6:7]
	s_movk_i32 s6, 0x84
	v_mad_u32_u24 v13, v15, s6, v0
	s_waitcnt vmcnt(0) lgkmcnt(0)
	ds_write_b32 v13, v12
	v_add_u32_e32 v12, 8, v15
	v_mul_u32_u24_e32 v1, 0x84, v15
	v_cmp_gt_i32_e32 vcc, s18, v12
	s_and_saveexec_b64 s[6:7], vcc
	s_cbranch_execz .LBB141_15
; %bb.14:
	s_lshl_b32 s8, s22, 3
	s_ashr_i32 s9, s8, 31
	v_lshl_add_u64 v[12:13], s[8:9], 2, v[8:9]
	flat_load_dword v3, v[12:13]
.LBB141_15:
	s_or_b64 exec, exec, s[6:7]
	v_add_u32_e32 v1, v1, v0
	s_waitcnt vmcnt(0) lgkmcnt(0)
	ds_write_b32 v1, v3 offset:1056
	v_add_u32_e32 v3, 16, v15
	v_cmp_gt_i32_e32 vcc, s18, v3
	v_mov_b32_e32 v3, 0
	v_mov_b32_e32 v12, 0
	s_and_saveexec_b64 s[6:7], vcc
	s_cbranch_execz .LBB141_17
; %bb.16:
	s_lshl_b32 s8, s22, 4
	s_ashr_i32 s9, s8, 31
	v_lshl_add_u64 v[12:13], s[8:9], 2, v[8:9]
	flat_load_dword v12, v[12:13]
.LBB141_17:
	s_or_b64 exec, exec, s[6:7]
	s_waitcnt vmcnt(0) lgkmcnt(0)
	ds_write_b32 v1, v12 offset:2112
	v_add_u32_e32 v12, 24, v15
	v_cmp_gt_i32_e32 vcc, s18, v12
	s_and_saveexec_b64 s[6:7], vcc
	s_cbranch_execz .LBB141_19
; %bb.18:
	s_mul_i32 s8, s22, 24
	s_ashr_i32 s9, s8, 31
	v_lshl_add_u64 v[12:13], s[8:9], 2, v[8:9]
	flat_load_dword v3, v[12:13]
.LBB141_19:
	s_or_b64 exec, exec, s[6:7]
	s_waitcnt vmcnt(0) lgkmcnt(0)
	ds_write_b32 v1, v3 offset:3168
	v_mov_b32_e32 v1, 0
	v_lshl_add_u64 v[8:9], v[8:9], 0, v[0:1]
	s_lshl_b64 s[6:7], s[18:19], 2
	v_mov_b32_e32 v1, s7
	v_subrev_co_u32_e32 v8, vcc, s6, v8
	s_nop 1
	v_subb_co_u32_e32 v9, vcc, v9, v1, vcc
	v_lshl_add_u64 v[8:9], v[8:9], 0, 4
	v_cndmask_b32_e64 v9, v9, v11, s[4:5]
	v_cndmask_b32_e64 v8, v8, v10, s[4:5]
	s_branch .LBB141_22
.LBB141_20:
                                        ; implicit-def: $vgpr8_vgpr9
	s_cbranch_execz .LBB141_22
; %bb.21:
	s_lshl_b32 s4, s22, 3
	s_ashr_i32 s5, s4, 31
	s_ashr_i32 s23, s22, 31
	v_lshl_add_u64 v[8:9], s[4:5], 2, v[10:11]
	s_lshl_b64 s[4:5], s[22:23], 5
	v_lshl_add_u64 v[12:13], v[8:9], 0, s[4:5]
	v_lshl_add_u64 v[20:21], v[12:13], 0, s[4:5]
	flat_load_dword v1, v[10:11]
	flat_load_dword v3, v[8:9]
	;; [unrolled: 1-line block ×4, first 2 shown]
	v_mul_u32_u24_e32 v8, 0x84, v15
	v_lshl_add_u32 v8, v2, 2, v8
	s_waitcnt vmcnt(0) lgkmcnt(0)
	ds_write_b32 v8, v1
	ds_write_b32 v8, v3 offset:1056
	ds_write_b32 v8, v19 offset:2112
	;; [unrolled: 1-line block ×3, first 2 shown]
	v_mov_b64_e32 v[8:9], v[10:11]
.LBB141_22:
	v_lshlrev_b32_e32 v20, 2, v15
	v_lshl_or_b32 v1, v2, 7, v0
	v_cmp_gt_u32_e64 s[6:7], v20, v2
	v_lshl_add_u32 v10, v20, 2, v1
	s_waitcnt lgkmcnt(0)
	s_barrier
	s_and_saveexec_b64 s[4:5], s[6:7]
	s_cbranch_execz .LBB141_24
; %bb.23:
	s_movk_i32 s8, 0x210
	v_mad_u32_u24 v3, v15, s8, v0
	ds_read_b32 v3, v3
	s_waitcnt lgkmcnt(0)
	ds_write_b32 v10, v3
.LBB141_24:
	s_or_b64 exec, exec, s[4:5]
	v_or_b32_e32 v3, 1, v20
	v_cmp_ge_u32_e64 s[8:9], v20, v2
	s_and_saveexec_b64 s[4:5], s[8:9]
	s_cbranch_execz .LBB141_26
; %bb.25:
	s_movk_i32 s10, 0x84
	v_mad_u32_u24 v11, v3, s10, v0
	ds_read_b32 v11, v11
	s_waitcnt lgkmcnt(0)
	ds_write_b32 v10, v11 offset:4
.LBB141_26:
	s_or_b64 exec, exec, s[4:5]
	v_or_b32_e32 v11, 2, v20
	v_cmp_gt_u32_e64 s[10:11], v11, v2
	s_and_saveexec_b64 s[4:5], s[10:11]
	s_cbranch_execz .LBB141_28
; %bb.27:
	s_movk_i32 s12, 0x84
	v_mad_u32_u24 v11, v11, s12, v0
	ds_read_b32 v11, v11
	s_waitcnt lgkmcnt(0)
	ds_write_b32 v10, v11 offset:8
.LBB141_28:
	s_or_b64 exec, exec, s[4:5]
	v_or_b32_e32 v12, 3, v20
	v_cmp_gt_u32_e64 s[12:13], v12, v2
	v_cmp_le_u32_e32 vcc, v12, v2
                                        ; implicit-def: $vgpr11
	s_and_saveexec_b64 s[4:5], vcc
	s_xor_b64 s[4:5], exec, s[4:5]
; %bb.29:
	v_mul_u32_u24_e32 v11, 0x84, v12
                                        ; implicit-def: $vgpr12
                                        ; implicit-def: $vgpr10
; %bb.30:
	s_andn2_saveexec_b64 s[4:5], s[4:5]
	s_cbranch_execz .LBB141_32
; %bb.31:
	s_movk_i32 s16, 0x84
	v_mad_u32_u24 v11, v12, s16, v0
	ds_read_b32 v13, v11
	v_mul_u32_u24_e32 v11, 0x84, v12
	s_waitcnt lgkmcnt(0)
	ds_write_b32 v10, v13 offset:12
.LBB141_32:
	s_or_b64 exec, exec, s[4:5]
	s_movk_i32 s4, 0x210
	v_mad_u32_u24 v10, v15, s4, v0
	s_movk_i32 s4, 0x84
	v_mad_u32_u24 v12, v3, s4, v0
	s_waitcnt lgkmcnt(0)
	s_barrier
	ds_read2_b32 v[24:25], v12 offset1:33
	v_lshlrev_b32_e32 v26, 2, v20
	ds_read_b32 v12, v10
	ds_read_b128 v[28:31], v26 offset:4544
	v_add_u32_e32 v23, v0, v11
	ds_read_b32 v11, v23
	s_waitcnt lgkmcnt(3)
	v_mov_b32_e32 v13, v24
	v_mov_b32_e32 v19, 0
	s_waitcnt lgkmcnt(1)
	v_pk_mul_f32 v[12:13], v[12:13], v[28:29]
	v_cmp_gt_u32_e64 s[4:5], 32, v14
	v_add_f32_e32 v10, 0, v12
	v_add_f32_e32 v12, v10, v13
	v_mov_b32_e32 v10, v25
	s_waitcnt lgkmcnt(0)
	v_pk_mul_f32 v[10:11], v[10:11], v[30:31]
	s_nop 0
	v_add_f32_e32 v10, v12, v10
	v_add_f32_e32 v10, v10, v11
	v_mul_u32_u24_e32 v11, 33, v2
	v_lshlrev_b32_e32 v21, 2, v11
	v_lshl_add_u32 v22, v15, 2, v21
	s_barrier
	ds_write_b32 v22, v10
	s_waitcnt lgkmcnt(0)
	s_barrier
	s_and_saveexec_b64 s[16:17], s[4:5]
	s_cbranch_execz .LBB141_34
; %bb.33:
	ds_read2_b32 v[10:11], v1 offset1:1
	ds_read2_b32 v[12:13], v1 offset0:2 offset1:3
	ds_read2_b32 v[24:25], v1 offset0:4 offset1:5
	;; [unrolled: 1-line block ×3, first 2 shown]
	s_waitcnt lgkmcnt(3)
	v_add_f32_e32 v1, v10, v11
	s_waitcnt lgkmcnt(2)
	v_add_f32_e32 v1, v1, v12
	v_add_f32_e32 v1, v1, v13
	s_waitcnt lgkmcnt(1)
	v_add_f32_e32 v1, v1, v24
	;; [unrolled: 3-line block ×3, first 2 shown]
	v_add_f32_e32 v19, v1, v29
.LBB141_34:
	s_or_b64 exec, exec, s[16:17]
	s_lshl_b32 s30, s22, 5
	s_ashr_i32 s31, s30, 31
	v_lshl_add_u64 v[10:11], s[30:31], 2, v[8:9]
	s_mov_b64 s[16:17], 0x80
	v_lshl_add_u64 v[8:9], v[10:11], 0, s[16:17]
	s_and_b64 vcc, exec, s[34:35]
	s_barrier
	s_cbranch_vccz .LBB141_44
; %bb.35:
	v_sub_co_u32_e32 v12, vcc, v10, v0
	s_ashr_i32 s19, s18, 31
	s_nop 0
	v_subbrev_co_u32_e32 v13, vcc, 0, v11, vcc
	v_or_b32_e32 v1, 32, v2
	v_lshl_add_u64 v[12:13], s[18:19], 2, v[12:13]
	v_lshl_add_u64 v[12:13], v[12:13], 0, -4
	v_cmp_gt_i32_e32 vcc, s18, v1
	s_sub_i32 s23, s18, 32
	v_mov_b32_e32 v24, 0
	v_cndmask_b32_e32 v13, v13, v9, vcc
	v_cndmask_b32_e32 v12, v12, v8, vcc
	v_cmp_gt_i32_e64 s[16:17], s23, v15
	v_mov_b32_e32 v25, 0
	s_and_saveexec_b64 s[36:37], s[16:17]
	s_cbranch_execz .LBB141_37
; %bb.36:
	flat_load_dword v25, v[12:13]
.LBB141_37:
	s_or_b64 exec, exec, s[36:37]
	s_movk_i32 s16, 0x84
	v_mad_u32_u24 v27, v15, s16, v0
	s_waitcnt vmcnt(0) lgkmcnt(0)
	ds_write_b32 v27, v25
	v_add_u32_e32 v25, 8, v15
	v_mul_u32_u24_e32 v1, 0x84, v15
	v_cmp_gt_i32_e64 s[16:17], s23, v25
	s_and_saveexec_b64 s[36:37], s[16:17]
	s_cbranch_execz .LBB141_39
; %bb.38:
	s_lshl_b32 s16, s22, 3
	s_ashr_i32 s17, s16, 31
	v_lshl_add_u64 v[24:25], s[16:17], 2, v[12:13]
	flat_load_dword v24, v[24:25]
.LBB141_39:
	s_or_b64 exec, exec, s[36:37]
	v_add_u32_e32 v1, v1, v0
	s_waitcnt vmcnt(0) lgkmcnt(0)
	ds_write_b32 v1, v24 offset:1056
	v_add_u32_e32 v24, 16, v15
	v_cmp_gt_i32_e64 s[16:17], s23, v24
	v_mov_b32_e32 v24, 0
	v_mov_b32_e32 v25, 0
	s_and_saveexec_b64 s[36:37], s[16:17]
	s_cbranch_execz .LBB141_41
; %bb.40:
	s_lshl_b32 s16, s22, 4
	s_ashr_i32 s17, s16, 31
	v_lshl_add_u64 v[28:29], s[16:17], 2, v[12:13]
	flat_load_dword v25, v[28:29]
.LBB141_41:
	s_or_b64 exec, exec, s[36:37]
	s_waitcnt vmcnt(0) lgkmcnt(0)
	ds_write_b32 v1, v25 offset:2112
	v_add_u32_e32 v25, 24, v15
	v_cmp_gt_i32_e64 s[16:17], s23, v25
	s_and_saveexec_b64 s[36:37], s[16:17]
	s_cbranch_execz .LBB141_43
; %bb.42:
	s_mul_i32 s16, s22, 24
	s_ashr_i32 s17, s16, 31
	v_lshl_add_u64 v[24:25], s[16:17], 2, v[12:13]
	flat_load_dword v24, v[24:25]
.LBB141_43:
	s_or_b64 exec, exec, s[36:37]
	s_waitcnt vmcnt(0) lgkmcnt(0)
	ds_write_b32 v1, v24 offset:3168
	v_mov_b32_e32 v1, 0
	v_lshl_add_u64 v[12:13], v[12:13], 0, v[0:1]
	s_lshl_b64 s[16:17], s[18:19], 2
	v_mov_b32_e32 v1, s17
	v_subrev_co_u32_e64 v12, s[16:17], s16, v12
	s_nop 1
	v_subb_co_u32_e64 v13, s[16:17], v13, v1, s[16:17]
	s_mov_b64 s[16:17], 0x84
	s_nop 0
	v_lshl_add_u64 v[12:13], v[12:13], 0, s[16:17]
	v_cndmask_b32_e32 v13, v13, v9, vcc
	v_cndmask_b32_e32 v12, v12, v8, vcc
	v_mul_u32_u24_e32 v1, 0x210, v15
	s_branch .LBB141_46
.LBB141_44:
                                        ; implicit-def: $vgpr12_vgpr13
	v_mul_u32_u24_e32 v1, 0x210, v15
	s_cbranch_execz .LBB141_46
; %bb.45:
	s_lshl_b32 s16, s22, 3
	s_ashr_i32 s17, s16, 31
	s_ashr_i32 s23, s22, 31
	v_lshl_add_u64 v[12:13], s[16:17], 2, v[10:11]
	s_lshl_b64 s[16:17], s[22:23], 5
	v_lshl_add_u64 v[24:25], v[12:13], 0, s[16:17]
	v_lshl_add_u64 v[28:29], v[24:25], 0, s[16:17]
	flat_load_dword v27, v[10:11] offset:128
	flat_load_dword v30, v[12:13] offset:128
	flat_load_dword v31, v[24:25] offset:128
	flat_load_dword v32, v[28:29] offset:128
	s_movk_i32 s16, 0x84
	v_mad_u32_u24 v10, v15, s16, v0
	v_mov_b64_e32 v[12:13], v[8:9]
	s_waitcnt vmcnt(0) lgkmcnt(0)
	ds_write_b32 v10, v27
	ds_write_b32 v10, v30 offset:1056
	ds_write_b32 v10, v31 offset:2112
	;; [unrolled: 1-line block ×3, first 2 shown]
.LBB141_46:
	v_mul_u32_u24_e32 v3, 0x84, v3
	v_add_u32_e32 v24, v0, v1
	v_lshl_add_u32 v1, v20, 2, v21
	s_waitcnt lgkmcnt(0)
	s_barrier
	s_and_saveexec_b64 s[16:17], s[6:7]
	s_cbranch_execz .LBB141_50
; %bb.47:
	ds_read_b32 v8, v24
	s_waitcnt lgkmcnt(0)
	ds_write_b32 v1, v8
	s_or_b64 exec, exec, s[16:17]
	v_add_u32_e32 v25, v0, v3
	s_and_saveexec_b64 s[6:7], s[8:9]
	s_cbranch_execnz .LBB141_51
.LBB141_48:
	s_or_b64 exec, exec, s[6:7]
	s_and_saveexec_b64 s[6:7], s[10:11]
	s_cbranch_execz .LBB141_52
.LBB141_49:
	ds_read_b32 v3, v25 offset:132
	s_waitcnt lgkmcnt(0)
	ds_write_b32 v1, v3 offset:8
	s_or_b64 exec, exec, s[6:7]
	v_add_u32_e32 v26, 0x11c0, v26
	s_and_saveexec_b64 s[6:7], s[12:13]
	s_cbranch_execnz .LBB141_53
	s_branch .LBB141_54
.LBB141_50:
	s_or_b64 exec, exec, s[16:17]
	v_add_u32_e32 v25, v0, v3
	s_and_saveexec_b64 s[6:7], s[8:9]
	s_cbranch_execz .LBB141_48
.LBB141_51:
	ds_read_b32 v3, v25
	s_waitcnt lgkmcnt(0)
	ds_write_b32 v1, v3 offset:4
	s_or_b64 exec, exec, s[6:7]
	s_and_saveexec_b64 s[6:7], s[10:11]
	s_cbranch_execnz .LBB141_49
.LBB141_52:
	s_or_b64 exec, exec, s[6:7]
	v_add_u32_e32 v26, 0x11c0, v26
	s_and_saveexec_b64 s[6:7], s[12:13]
	s_cbranch_execz .LBB141_54
.LBB141_53:
	ds_read_b32 v3, v23
	s_waitcnt lgkmcnt(0)
	ds_write_b32 v1, v3 offset:12
.LBB141_54:
	s_or_b64 exec, exec, s[6:7]
	s_waitcnt lgkmcnt(0)
	s_barrier
	ds_read2_b32 v[32:33], v25 offset1:33
	ds_read_b32 v28, v24
	ds_read_b128 v[8:11], v26 offset:128
	ds_read_b32 v31, v23
	v_cmp_eq_u32_e64 s[6:7], 1, v15
	s_waitcnt lgkmcnt(3)
	v_mov_b32_e32 v29, v32
	v_mov_b32_e32 v30, v33
	s_waitcnt lgkmcnt(1)
	v_pk_mul_f32 v[8:9], v[28:29], v[8:9]
	s_waitcnt lgkmcnt(0)
	v_add_f32_e32 v1, 0, v8
	v_add_f32_e32 v1, v1, v9
	v_pk_mul_f32 v[8:9], v[30:31], v[10:11]
	s_barrier
	v_add_f32_e32 v1, v1, v8
	v_add_f32_e32 v1, v1, v9
	ds_write_b32 v22, v1
	s_waitcnt lgkmcnt(0)
	s_barrier
	s_and_saveexec_b64 s[8:9], s[6:7]
	s_cbranch_execz .LBB141_56
; %bb.55:
	ds_read2_b32 v[8:9], v21 offset1:1
	ds_read2_b32 v[10:11], v21 offset0:2 offset1:3
	ds_read2_b32 v[28:29], v21 offset0:4 offset1:5
	ds_read2_b32 v[30:31], v21 offset0:6 offset1:7
	s_waitcnt lgkmcnt(3)
	v_add_f32_e32 v1, v8, v9
	s_waitcnt lgkmcnt(2)
	v_add_f32_e32 v1, v1, v10
	v_add_f32_e32 v1, v1, v11
	s_waitcnt lgkmcnt(1)
	v_add_f32_e32 v1, v1, v28
	v_add_f32_e32 v1, v1, v29
	s_waitcnt lgkmcnt(0)
	v_add_f32_e32 v1, v1, v30
	v_add_f32_e32 v19, v1, v31
.LBB141_56:
	s_or_b64 exec, exec, s[8:9]
	s_movk_i32 s8, 0xff80
	s_mov_b32 s9, -1
	v_lshl_add_u64 v[10:11], v[12:13], 0, s[8:9]
	s_and_b64 vcc, exec, s[34:35]
	s_barrier
	s_cbranch_vccz .LBB141_66
; %bb.57:
	v_sub_co_u32_e32 v12, vcc, v10, v0
	s_ashr_i32 s19, s18, 31
	s_nop 0
	v_subbrev_co_u32_e32 v13, vcc, 0, v11, vcc
	v_lshl_add_u64 v[12:13], s[18:19], 2, v[12:13]
	v_lshl_add_u64 v[12:13], v[12:13], 0, -4
	v_cmp_gt_i32_e32 vcc, s18, v2
	s_sub_i32 s12, s18, 32
	v_mov_b32_e32 v8, 0
	v_cndmask_b32_e32 v3, v13, v11, vcc
	v_cndmask_b32_e32 v2, v12, v10, vcc
	v_cmp_gt_i32_e64 s[8:9], s12, v15
	v_mov_b32_e32 v9, 0
	s_and_saveexec_b64 s[10:11], s[8:9]
	s_cbranch_execz .LBB141_59
; %bb.58:
	flat_load_dword v9, v[2:3]
.LBB141_59:
	s_or_b64 exec, exec, s[10:11]
	s_movk_i32 s8, 0x84
	v_mad_u32_u24 v12, v15, s8, v0
	s_waitcnt vmcnt(0) lgkmcnt(0)
	ds_write_b32 v12, v9
	v_add_u32_e32 v12, 8, v15
	v_mul_u32_u24_e32 v1, 0x84, v15
	v_cmp_gt_i32_e64 s[8:9], s12, v12
	s_and_saveexec_b64 s[10:11], s[8:9]
	s_cbranch_execz .LBB141_61
; %bb.60:
	s_lshl_b32 s8, s22, 3
	s_ashr_i32 s9, s8, 31
	v_lshl_add_u64 v[8:9], s[8:9], 2, v[2:3]
	flat_load_dword v8, v[8:9]
.LBB141_61:
	s_or_b64 exec, exec, s[10:11]
	v_add_u32_e32 v1, v1, v0
	v_add_u32_e32 v13, 16, v15
	s_waitcnt vmcnt(0) lgkmcnt(0)
	ds_write_b32 v1, v8 offset:1056
	v_cmp_gt_i32_e64 s[8:9], s12, v13
	v_mov_b32_e32 v8, 0
	v_mov_b32_e32 v9, 0
	s_and_saveexec_b64 s[10:11], s[8:9]
	s_cbranch_execz .LBB141_63
; %bb.62:
	s_lshl_b32 s8, s22, 4
	s_ashr_i32 s9, s8, 31
	v_lshl_add_u64 v[28:29], s[8:9], 2, v[2:3]
	flat_load_dword v9, v[28:29]
.LBB141_63:
	s_or_b64 exec, exec, s[10:11]
	v_add_u32_e32 v27, 24, v15
	v_cmp_gt_i32_e64 s[8:9], s12, v27
	s_waitcnt vmcnt(0) lgkmcnt(0)
	ds_write_b32 v1, v9 offset:2112
	s_and_saveexec_b64 s[10:11], s[8:9]
	s_cbranch_execz .LBB141_65
; %bb.64:
	s_mul_i32 s8, s22, 24
	s_ashr_i32 s9, s8, 31
	v_lshl_add_u64 v[8:9], s[8:9], 2, v[2:3]
	flat_load_dword v8, v[8:9]
.LBB141_65:
	s_or_b64 exec, exec, s[10:11]
	s_waitcnt vmcnt(0) lgkmcnt(0)
	ds_write_b32 v1, v8 offset:3168
	v_mov_b32_e32 v1, 0
	v_lshl_add_u64 v[2:3], v[2:3], 0, v[0:1]
	s_lshl_b64 s[8:9], s[18:19], 2
	v_mov_b32_e32 v1, s9
	v_subrev_co_u32_e64 v2, s[8:9], s8, v2
	s_nop 1
	v_subb_co_u32_e64 v3, s[8:9], v3, v1, s[8:9]
	v_lshl_add_u64 v[2:3], v[2:3], 0, 4
	v_cndmask_b32_e32 v9, v3, v11, vcc
	v_cndmask_b32_e32 v8, v2, v10, vcc
	s_branch .LBB141_68
.LBB141_66:
                                        ; implicit-def: $vgpr8_vgpr9
                                        ; implicit-def: $vgpr12
                                        ; implicit-def: $vgpr13
                                        ; implicit-def: $vgpr27
	s_cbranch_execz .LBB141_68
; %bb.67:
	s_lshl_b32 s8, s22, 3
	s_ashr_i32 s9, s8, 31
	s_ashr_i32 s23, s22, 31
	v_lshl_add_u64 v[2:3], s[8:9], 2, v[10:11]
	s_lshl_b64 s[8:9], s[22:23], 5
	v_lshl_add_u64 v[8:9], v[2:3], 0, s[8:9]
	v_lshl_add_u64 v[12:13], v[8:9], 0, s[8:9]
	flat_load_dword v1, v[10:11]
	flat_load_dword v28, v[2:3]
	;; [unrolled: 1-line block ×4, first 2 shown]
	s_movk_i32 s8, 0x84
	v_add_u32_e32 v12, 8, v15
	v_add_u32_e32 v13, 16, v15
	;; [unrolled: 1-line block ×3, first 2 shown]
	v_mad_u32_u24 v0, v15, s8, v0
	v_mov_b64_e32 v[8:9], v[10:11]
	s_waitcnt vmcnt(0) lgkmcnt(0)
	ds_write_b32 v0, v1
	ds_write_b32 v0, v28 offset:1056
	ds_write_b32 v0, v29 offset:2112
	;; [unrolled: 1-line block ×3, first 2 shown]
.LBB141_68:
	v_add_u32_e32 v0, v21, v20
	s_waitcnt lgkmcnt(0)
	s_barrier
	ds_read_b32 v10, v0
	ds_read_b32 v28, v20 offset:4544
	v_lshlrev_b32_e32 v0, 2, v12
	v_lshlrev_b32_e32 v2, 2, v13
	v_add_u32_e32 v1, v21, v0
	v_add_u32_e32 v3, v21, v2
	v_lshlrev_b32_e32 v13, 2, v27
	v_add_u32_e32 v15, v21, v13
	ds_read_b32 v11, v1
	ds_read_b32 v30, v3
	ds_read_b32 v12, v24
	ds_read_b32 v33, v13 offset:4544
	ds_read_b32 v32, v2 offset:4544
	;; [unrolled: 1-line block ×3, first 2 shown]
	ds_read_b32 v31, v15
	ds_read_b128 v[0:3], v26 offset:128
	ds_read_b32 v13, v23
	s_waitcnt lgkmcnt(3)
	v_pk_mul_f32 v[26:27], v[10:11], v[28:29]
	ds_read2_b32 v[10:11], v25 offset1:33
	v_add_f32_e32 v15, 0, v26
	s_waitcnt lgkmcnt(3)
	v_pk_mul_f32 v[28:29], v[30:31], v[32:33]
	v_add_f32_e32 v15, v15, v27
	v_add_f32_e32 v15, v15, v28
	;; [unrolled: 1-line block ×3, first 2 shown]
	s_waitcnt lgkmcnt(0)
	s_barrier
	ds_write_b32 v22, v15
	s_waitcnt lgkmcnt(0)
	s_barrier
	s_and_saveexec_b64 s[8:9], s[6:7]
	s_cbranch_execz .LBB141_70
; %bb.69:
	ds_read2_b32 v[24:25], v21 offset1:1
	ds_read2_b32 v[26:27], v21 offset0:2 offset1:3
	ds_read2_b32 v[28:29], v21 offset0:4 offset1:5
	;; [unrolled: 1-line block ×3, first 2 shown]
	s_waitcnt lgkmcnt(3)
	v_add_f32_e32 v15, v19, v24
	v_add_f32_e32 v15, v15, v25
	s_waitcnt lgkmcnt(2)
	v_add_f32_e32 v15, v15, v26
	v_add_f32_e32 v15, v15, v27
	;; [unrolled: 3-line block ×4, first 2 shown]
.LBB141_70:
	s_or_b64 exec, exec, s[8:9]
	v_fma_f32 v0, v12, v0, 0
	v_fmac_f32_e32 v0, v10, v1
	v_fmac_f32_e32 v0, v11, v2
	;; [unrolled: 1-line block ×3, first 2 shown]
	s_barrier
	ds_write_b32 v22, v0
	s_waitcnt lgkmcnt(0)
	s_barrier
	s_and_saveexec_b64 s[6:7], s[4:5]
	s_cbranch_execz .LBB141_72
; %bb.71:
	ds_read2_b32 v[0:1], v21 offset1:1
	ds_read2_b32 v[2:3], v21 offset0:2 offset1:3
	ds_read2_b32 v[10:11], v21 offset0:4 offset1:5
	;; [unrolled: 1-line block ×3, first 2 shown]
	s_waitcnt lgkmcnt(3)
	v_add_f32_e32 v0, v19, v0
	v_add_f32_e32 v0, v0, v1
	s_waitcnt lgkmcnt(2)
	v_add_f32_e32 v0, v0, v2
	v_add_f32_e32 v0, v0, v3
	s_waitcnt lgkmcnt(1)
	v_add_f32_e32 v0, v0, v10
	v_add_f32_e32 v0, v0, v11
	s_waitcnt lgkmcnt(0)
	v_add_f32_e32 v0, v0, v12
	v_add_f32_e32 v19, v0, v13
.LBB141_72:
	s_or_b64 exec, exec, s[6:7]
	s_load_dwordx2 s[0:1], s[0:1], 0x60
	s_mul_hi_u32 s4, s26, s24
	s_mul_i32 s27, s27, s24
	s_add_i32 s4, s4, s27
	s_mul_i32 s6, s26, s24
	s_mul_i32 s4, s4, s3
	s_mul_hi_u32 s5, s6, s3
	s_add_i32 s5, s5, s4
	s_mul_i32 s4, s6, s3
	s_lshl_b64 s[4:5], s[4:5], 2
	s_waitcnt lgkmcnt(0)
	s_add_u32 s4, s0, s4
	s_addc_u32 s5, s1, s5
	s_mul_hi_i32 s1, s26, s2
	s_mul_i32 s0, s26, s2
	s_lshl_b64 s[0:1], s[0:1], 2
	s_add_u32 s6, s4, s0
	s_addc_u32 s7, s5, s1
	s_add_i32 s8, s2, 1
	s_cmp_ge_u32 s8, s3
	v_lshlrev_b32_e32 v86, 2, v18
	s_barrier
	s_cbranch_scc1 .LBB141_129
; %bb.73:
	s_mul_i32 s0, s25, s28
	v_mov_b32_e32 v3, 0x10c0
	s_ashr_i32 s1, s0, 31
	v_lshl_add_u32 v88, v17, 4, v3
	v_lshrrev_b32_e32 v3, 2, v14
	s_lshl_b64 s[0:1], s[0:1], 2
	v_and_b32_e32 v2, 15, v18
	s_movk_i32 s10, 0x10c
	v_and_b32_e32 v3, 0x7ffc, v3
	v_lshlrev_b32_e32 v87, 2, v17
	v_mov_b32_e32 v0, s1
	v_subrev_co_u32_e32 v20, vcc, s0, v6
	v_mad_u32_u24 v89, v2, s10, v3
	v_and_b32_e32 v3, 48, v18
	v_subb_co_u32_e32 v21, vcc, v7, v0, vcc
	v_mad_u64_u32 v[0:1], s[0:1], s22, v87, v[18:19]
	v_lshlrev_b32_e32 v3, 2, v3
	v_ashrrev_i32_e32 v1, 31, v0
	s_lshl_b32 s28, s25, 6
	s_lshl_b32 s4, s22, 4
	v_mad_u32_u24 v90, v2, s10, v3
	v_or_b32_e32 v3, 60, v86
	s_ashr_i32 s23, s22, 31
	s_lshl_b32 s26, s22, 1
	s_mul_i32 s34, s22, 3
	s_mul_i32 s25, s25, s8
	s_lshl_b64 s[12:13], s[30:31], 2
	s_add_i32 s19, s3, -2
	v_mul_u32_u24_e32 v10, 0x10c, v2
	s_ashr_i32 s5, s4, 31
	v_mad_u32_u24 v91, v2, s10, v3
	s_ashr_i32 s27, s26, 31
	s_ashr_i32 s35, s34, 31
	s_lshl_b64 s[16:17], s[22:23], 2
	s_lshl_b32 s8, s25, 6
	v_lshlrev_b64 v[2:3], 2, v[0:1]
	s_lshl_b64 s[36:37], s[22:23], 3
	s_add_u32 s38, s36, s12
	v_mad_i64_i32 v[28:29], s[24:25], v4, -4, v[2:3]
	v_lshl_add_u64 v[2:3], s[30:31], 0, v[0:1]
	s_addc_u32 s39, s37, s13
	s_lshl_b64 s[10:11], s[4:5], 4
	v_lshlrev_b64 v[2:3], 2, v[2:3]
	v_lshlrev_b64 v[6:7], 2, v[4:5]
	v_mad_i64_i32 v[4:5], s[24:25], s22, 12, v[2:3]
	s_add_u32 s40, s16, s12
	s_addc_u32 s41, s17, s13
	s_lshl_b64 s[24:25], s[26:27], 2
	s_add_u32 s26, s12, s24
	s_addc_u32 s27, s13, s25
	v_lshl_add_u64 v[34:35], v[8:9], 0, s[26:27]
	s_lshl_b64 s[26:27], s[34:35], 2
	s_add_u32 s34, s12, s26
	s_addc_u32 s35, s13, s27
	v_lshl_add_u64 v[36:37], v[8:9], 0, s[34:35]
	s_lshl_b64 s[34:35], s[4:5], 2
	s_add_u32 s42, s38, s34
	s_addc_u32 s43, s39, s35
	s_add_u32 s30, s30, s4
	s_addc_u32 s31, s31, s5
	v_lshl_add_u64 v[0:1], s[30:31], 0, v[0:1]
	v_lshlrev_b64 v[0:1], 2, v[0:1]
	v_mad_i64_i32 v[0:1], s[30:31], s22, 12, v[0:1]
	s_add_u32 s30, s40, s34
	s_addc_u32 s31, s41, s35
	v_lshl_add_u64 v[42:43], v[8:9], 0, s[30:31]
	s_add_u32 s30, s12, s34
	s_addc_u32 s31, s13, s35
	s_add_u32 s34, s30, s24
	s_addc_u32 s35, s31, s25
	v_lshl_add_u64 v[44:45], v[8:9], 0, s[30:31]
	s_add_u32 s30, s30, s26
	s_addc_u32 s31, s31, s27
	v_lshl_add_u64 v[48:49], v[8:9], 0, s[30:31]
	s_lshl_b64 s[30:31], s[4:5], 3
	v_lshl_add_u64 v[46:47], v[8:9], 0, s[34:35]
	s_add_u32 s34, s38, s30
	s_mul_i32 s44, s22, 12
	s_addc_u32 s35, s39, s31
	s_mul_hi_i32 s29, s22, 12
	v_lshl_add_u64 v[50:51], v[8:9], 0, s[34:35]
	s_add_u32 s34, s44, s30
	s_addc_u32 s35, s29, s31
	v_lshl_add_u64 v[22:23], v[8:9], 0, s[12:13]
	s_add_u32 s12, s30, s12
	s_addc_u32 s13, s31, s13
	s_add_u32 s30, s12, s16
	s_addc_u32 s31, s13, s17
	v_lshl_add_u64 v[40:41], v[8:9], 0, v[0:1]
	v_lshl_add_u64 v[0:1], s[34:35], 0, v[2:3]
	s_add_u32 s34, s12, s24
	s_addc_u32 s35, s13, s25
	v_lshl_add_u64 v[26:27], v[8:9], 0, s[38:39]
	s_add_u32 s38, s12, s26
	s_addc_u32 s39, s13, s27
	s_mul_i32 s29, s22, 0xc0
	v_lshl_add_u64 v[32:33], v[8:9], 0, s[40:41]
	s_mul_hi_i32 s40, s4, 12
	s_add_u32 s36, s29, s36
	s_addc_u32 s37, s40, s37
	v_lshl_add_u64 v[52:53], v[8:9], 0, v[0:1]
	v_lshl_add_u64 v[0:1], s[36:37], 0, v[2:3]
	s_add_u32 s22, s22, s4
	v_lshl_add_u64 v[54:55], v[8:9], 0, v[0:1]
	s_addc_u32 s5, s23, s5
	v_mad_u64_u32 v[0:1], s[22:23], s22, 12, v[2:3]
	v_lshl_add_u64 v[30:31], v[8:9], 0, v[4:5]
	v_mov_b32_e32 v4, v1
	v_mad_u64_u32 v[4:5], s[22:23], s5, 12, v[4:5]
	v_mov_b32_e32 v1, v4
	v_lshl_add_u64 v[56:57], v[8:9], 0, v[0:1]
	v_mad_i64_i32 v[0:1], s[4:5], s4, 12, v[2:3]
	v_lshl_add_u64 v[2:3], v[0:1], 0, s[16:17]
	s_movk_i32 s9, 0x430
	v_and_b32_e32 v11, 0x1fff0, v14
	v_sub_co_u32_e32 v24, vcc, 0, v6
	v_lshl_add_u64 v[58:59], v[8:9], 0, v[2:3]
	v_lshl_add_u64 v[60:61], v[8:9], 0, v[0:1]
	;; [unrolled: 1-line block ×4, first 2 shown]
	v_cmp_gt_u32_e64 s[0:1], 64, v14
	v_subb_co_u32_e32 v25, vcc, 0, v7, vcc
	v_lshl_add_u64 v[38:39], v[8:9], 0, s[42:43]
	v_add_u32_e32 v92, v10, v11
	v_lshl_add_u64 v[62:63], v[8:9], 0, v[2:3]
	v_lshl_add_u64 v[64:65], v[8:9], 0, v[0:1]
	;; [unrolled: 1-line block ×6, first 2 shown]
	v_add_u32_e32 v93, 0x10c0, v86
	v_add_u32_e32 v94, 0x11c0, v86
	v_mad_u32_u24 v95, v17, s9, v86
	v_or_b32_e32 v96, 1, v87
	v_or_b32_e32 v97, 2, v87
	;; [unrolled: 1-line block ×3, first 2 shown]
	v_add_u32_e32 v99, 16, v87
	v_add_u32_e32 v100, 17, v87
	;; [unrolled: 1-line block ×13, first 2 shown]
	s_cmp_eq_u32 s19, s2
	s_cselect_b32 s22, s33, 0
	s_and_saveexec_b64 s[4:5], s[14:15]
	s_cbranch_execz .LBB141_78
	s_branch .LBB141_75
.LBB141_74:                             ;   in Loop: Header=BB141_78 Depth=1
	s_mov_b32 s2, s4
	s_cmp_eq_u32 s19, s2
	s_cselect_b32 s22, s33, 0
	s_and_saveexec_b64 s[4:5], s[14:15]
	s_cbranch_execz .LBB141_78
.LBB141_75:
	s_cmp_eq_u32 s22, 0
	s_cselect_b64 s[12:13], -1, 0
	v_cmp_gt_i32_e32 vcc, s22, v18
	s_or_b64 s[16:17], s[12:13], vcc
	v_mov_b32_e32 v0, 0
	s_and_saveexec_b64 s[12:13], s[16:17]
	s_cbranch_execz .LBB141_77
; %bb.76:
	s_ashr_i32 s9, s8, 31
	v_lshl_add_u64 v[0:1], s[8:9], 2, v[20:21]
	flat_load_dword v0, v[0:1]
.LBB141_77:
	s_or_b64 exec, exec, s[12:13]
	s_waitcnt vmcnt(0) lgkmcnt(0)
	ds_write_b32 v93, v0
.LBB141_78:                             ; =>This Inner Loop Header: Depth=1
	s_or_b64 exec, exec, s[4:5]
	s_cmp_eq_u32 s22, 0
	s_cselect_b64 s[12:13], -1, 0
	s_cmp_lg_u32 s22, 0
	s_cselect_b64 s[16:17], -1, 0
	v_lshl_add_u64 v[0:1], v[22:23], 0, v[28:29]
	s_mov_b64 s[4:5], -1
	s_and_b64 vcc, exec, s[16:17]
	s_waitcnt lgkmcnt(0)
	s_barrier
                                        ; implicit-def: $vgpr113
                                        ; implicit-def: $vgpr114
                                        ; implicit-def: $vgpr111
                                        ; implicit-def: $vgpr112
	s_cbranch_vccz .LBB141_88
; %bb.79:                               ;   in Loop: Header=BB141_78 Depth=1
	v_cmp_gt_i32_e32 vcc, s22, v87
	v_mov_b32_e32 v111, 0
	v_mov_b32_e32 v112, 0
	s_and_saveexec_b64 s[4:5], vcc
	s_cbranch_execz .LBB141_81
; %bb.80:                               ;   in Loop: Header=BB141_78 Depth=1
	flat_load_dword v112, v[0:1]
.LBB141_81:                             ;   in Loop: Header=BB141_78 Depth=1
	s_or_b64 exec, exec, s[4:5]
	v_cmp_gt_i32_e32 vcc, s22, v96
	s_and_saveexec_b64 s[4:5], vcc
	s_cbranch_execz .LBB141_83
; %bb.82:                               ;   in Loop: Header=BB141_78 Depth=1
	v_lshl_add_u64 v[2:3], v[32:33], 0, v[28:29]
	flat_load_dword v111, v[2:3]
.LBB141_83:                             ;   in Loop: Header=BB141_78 Depth=1
	s_or_b64 exec, exec, s[4:5]
	v_cmp_gt_i32_e32 vcc, s22, v97
	v_mov_b32_e32 v113, 0
	v_mov_b32_e32 v114, 0
	s_and_saveexec_b64 s[4:5], vcc
	s_cbranch_execz .LBB141_85
; %bb.84:                               ;   in Loop: Header=BB141_78 Depth=1
	v_lshl_add_u64 v[2:3], v[34:35], 0, v[28:29]
	flat_load_dword v114, v[2:3]
.LBB141_85:                             ;   in Loop: Header=BB141_78 Depth=1
	s_or_b64 exec, exec, s[4:5]
	v_cmp_gt_i32_e32 vcc, s22, v98
	s_and_saveexec_b64 s[4:5], vcc
	s_cbranch_execz .LBB141_87
; %bb.86:                               ;   in Loop: Header=BB141_78 Depth=1
	v_lshl_add_u64 v[2:3], v[36:37], 0, v[28:29]
	flat_load_dword v113, v[2:3]
.LBB141_87:                             ;   in Loop: Header=BB141_78 Depth=1
	s_or_b64 exec, exec, s[4:5]
	s_mov_b64 s[4:5], 0
.LBB141_88:                             ;   in Loop: Header=BB141_78 Depth=1
	s_and_b64 vcc, exec, s[4:5]
	s_cbranch_vccz .LBB141_90
; %bb.89:                               ;   in Loop: Header=BB141_78 Depth=1
	s_waitcnt vmcnt(0) lgkmcnt(0)
	flat_load_dword v112, v[0:1]
	v_lshl_add_u64 v[0:1], v[32:33], 0, v[28:29]
	flat_load_dword v111, v[0:1]
	v_lshl_add_u64 v[0:1], v[26:27], 0, v[28:29]
	;; [unrolled: 2-line block ×3, first 2 shown]
	flat_load_dword v113, v[0:1]
.LBB141_90:                             ;   in Loop: Header=BB141_78 Depth=1
	ds_read_b32 v4, v94
	ds_read_b128 v[0:3], v88
	s_andn2_b64 vcc, exec, s[16:17]
                                        ; implicit-def: $vgpr117
                                        ; implicit-def: $vgpr118
                                        ; implicit-def: $vgpr115
                                        ; implicit-def: $vgpr116
	s_waitcnt vmcnt(0) lgkmcnt(0)
	v_mul_f32_e32 v5, v112, v4
	v_mul_f32_e32 v6, v111, v4
	;; [unrolled: 1-line block ×4, first 2 shown]
	ds_write2_b32 v95, v5, v6 offset1:67
	ds_write2_b32 v95, v7, v4 offset0:134 offset1:201
	s_waitcnt lgkmcnt(0)
	s_barrier
	ds_read2_b32 v[78:79], v92 offset1:1
	ds_read2_b32 v[76:77], v92 offset0:2 offset1:3
	v_cndmask_b32_e64 v6, 0, 1, s[16:17]
	v_lshl_add_u64 v[4:5], v[44:45], 0, v[28:29]
	v_cmp_ne_u32_e64 s[4:5], 1, v6
	s_mov_b64 s[16:17], -1
	s_waitcnt lgkmcnt(0)
	s_barrier
	s_cbranch_vccnz .LBB141_100
; %bb.91:                               ;   in Loop: Header=BB141_78 Depth=1
	v_cmp_gt_i32_e32 vcc, s22, v99
	v_mov_b32_e32 v115, 0
	v_mov_b32_e32 v116, 0
	s_and_saveexec_b64 s[16:17], vcc
	s_cbranch_execz .LBB141_93
; %bb.92:                               ;   in Loop: Header=BB141_78 Depth=1
	flat_load_dword v116, v[4:5]
.LBB141_93:                             ;   in Loop: Header=BB141_78 Depth=1
	s_or_b64 exec, exec, s[16:17]
	v_cmp_gt_i32_e32 vcc, s22, v100
	s_and_saveexec_b64 s[16:17], vcc
	s_cbranch_execz .LBB141_95
; %bb.94:                               ;   in Loop: Header=BB141_78 Depth=1
	v_lshl_add_u64 v[6:7], v[42:43], 0, v[28:29]
	flat_load_dword v115, v[6:7]
.LBB141_95:                             ;   in Loop: Header=BB141_78 Depth=1
	s_or_b64 exec, exec, s[16:17]
	v_cmp_gt_i32_e32 vcc, s22, v101
	v_mov_b32_e32 v117, 0
	v_mov_b32_e32 v118, 0
	s_and_saveexec_b64 s[16:17], vcc
	s_cbranch_execz .LBB141_97
; %bb.96:                               ;   in Loop: Header=BB141_78 Depth=1
	v_lshl_add_u64 v[6:7], v[46:47], 0, v[28:29]
	flat_load_dword v118, v[6:7]
.LBB141_97:                             ;   in Loop: Header=BB141_78 Depth=1
	s_or_b64 exec, exec, s[16:17]
	v_cmp_gt_i32_e32 vcc, s22, v102
	s_and_saveexec_b64 s[16:17], vcc
	s_cbranch_execz .LBB141_99
; %bb.98:                               ;   in Loop: Header=BB141_78 Depth=1
	v_lshl_add_u64 v[6:7], v[48:49], 0, v[28:29]
	flat_load_dword v117, v[6:7]
.LBB141_99:                             ;   in Loop: Header=BB141_78 Depth=1
	s_or_b64 exec, exec, s[16:17]
	s_mov_b64 s[16:17], 0
.LBB141_100:                            ;   in Loop: Header=BB141_78 Depth=1
	s_and_b64 vcc, exec, s[16:17]
	s_cbranch_vccz .LBB141_102
; %bb.101:                              ;   in Loop: Header=BB141_78 Depth=1
	s_waitcnt vmcnt(0) lgkmcnt(0)
	flat_load_dword v116, v[4:5]
	v_lshl_add_u64 v[4:5], v[42:43], 0, v[28:29]
	flat_load_dword v115, v[4:5]
	v_lshl_add_u64 v[4:5], v[38:39], 0, v[28:29]
	flat_load_dword v118, v[4:5]
	v_lshl_add_u64 v[4:5], v[40:41], 0, v[24:25]
	flat_load_dword v117, v[4:5]
.LBB141_102:                            ;   in Loop: Header=BB141_78 Depth=1
	ds_read_b32 v8, v94
	ds_read_b128 v[4:7], v88 offset:64
	s_and_b64 vcc, exec, s[4:5]
	s_mov_b64 s[16:17], -1
                                        ; implicit-def: $vgpr121
                                        ; implicit-def: $vgpr122
                                        ; implicit-def: $vgpr119
                                        ; implicit-def: $vgpr120
	s_waitcnt vmcnt(0) lgkmcnt(0)
	v_mul_f32_e32 v9, v116, v8
	v_mul_f32_e32 v10, v115, v8
	;; [unrolled: 1-line block ×4, first 2 shown]
	ds_write2_b32 v95, v9, v10 offset1:67
	ds_write2_b32 v95, v11, v8 offset0:134 offset1:201
	s_waitcnt lgkmcnt(0)
	s_barrier
	ds_read2_b32 v[14:15], v92 offset1:1
	ds_read2_b32 v[12:13], v92 offset0:2 offset1:3
	v_lshl_add_u64 v[8:9], v[68:69], 0, v[28:29]
	s_waitcnt lgkmcnt(0)
	s_barrier
	s_cbranch_vccnz .LBB141_112
; %bb.103:                              ;   in Loop: Header=BB141_78 Depth=1
	v_cmp_gt_i32_e32 vcc, s22, v103
	v_mov_b32_e32 v119, 0
	v_mov_b32_e32 v120, 0
	s_and_saveexec_b64 s[16:17], vcc
	s_cbranch_execz .LBB141_105
; %bb.104:                              ;   in Loop: Header=BB141_78 Depth=1
	flat_load_dword v120, v[8:9]
.LBB141_105:                            ;   in Loop: Header=BB141_78 Depth=1
	s_or_b64 exec, exec, s[16:17]
	v_cmp_gt_i32_e32 vcc, s22, v104
	s_and_saveexec_b64 s[16:17], vcc
	s_cbranch_execz .LBB141_107
; %bb.106:                              ;   in Loop: Header=BB141_78 Depth=1
	v_lshl_add_u64 v[10:11], v[66:67], 0, v[28:29]
	flat_load_dword v119, v[10:11]
.LBB141_107:                            ;   in Loop: Header=BB141_78 Depth=1
	s_or_b64 exec, exec, s[16:17]
	v_cmp_gt_i32_e32 vcc, s22, v105
	v_mov_b32_e32 v121, 0
	v_mov_b32_e32 v122, 0
	s_and_saveexec_b64 s[16:17], vcc
	s_cbranch_execz .LBB141_109
; %bb.108:                              ;   in Loop: Header=BB141_78 Depth=1
	v_lshl_add_u64 v[10:11], v[70:71], 0, v[28:29]
	flat_load_dword v122, v[10:11]
.LBB141_109:                            ;   in Loop: Header=BB141_78 Depth=1
	s_or_b64 exec, exec, s[16:17]
	v_cmp_gt_i32_e32 vcc, s22, v106
	s_and_saveexec_b64 s[16:17], vcc
	s_cbranch_execz .LBB141_111
; %bb.110:                              ;   in Loop: Header=BB141_78 Depth=1
	v_lshl_add_u64 v[10:11], v[72:73], 0, v[28:29]
	flat_load_dword v121, v[10:11]
.LBB141_111:                            ;   in Loop: Header=BB141_78 Depth=1
	s_or_b64 exec, exec, s[16:17]
	s_mov_b64 s[16:17], 0
.LBB141_112:                            ;   in Loop: Header=BB141_78 Depth=1
	s_and_b64 vcc, exec, s[16:17]
	s_cbranch_vccz .LBB141_114
; %bb.113:                              ;   in Loop: Header=BB141_78 Depth=1
	s_waitcnt vmcnt(0) lgkmcnt(0)
	flat_load_dword v120, v[8:9]
	v_lshl_add_u64 v[8:9], v[66:67], 0, v[28:29]
	flat_load_dword v119, v[8:9]
	v_lshl_add_u64 v[8:9], v[50:51], 0, v[28:29]
	flat_load_dword v122, v[8:9]
	v_lshl_add_u64 v[8:9], v[52:53], 0, v[24:25]
	flat_load_dword v121, v[8:9]
.LBB141_114:                            ;   in Loop: Header=BB141_78 Depth=1
	ds_read_b32 v75, v94
	ds_read_b128 v[8:11], v88 offset:128
	v_lshl_add_u64 v[84:85], v[60:61], 0, v[24:25]
	s_and_b64 vcc, exec, s[4:5]
	s_mov_b64 s[4:5], -1
	s_waitcnt vmcnt(0) lgkmcnt(0)
	v_mul_f32_e32 v80, v120, v75
	v_mul_f32_e32 v81, v119, v75
	;; [unrolled: 1-line block ×4, first 2 shown]
	ds_write2_b32 v95, v80, v81 offset1:67
	ds_write2_b32 v95, v82, v75 offset0:134 offset1:201
	s_waitcnt lgkmcnt(0)
	s_barrier
	ds_read2_b32 v[82:83], v92 offset1:1
	ds_read2_b32 v[80:81], v92 offset0:2 offset1:3
	s_waitcnt lgkmcnt(0)
	s_barrier
                                        ; implicit-def: $vgpr125
                                        ; implicit-def: $vgpr126
                                        ; implicit-def: $vgpr123
                                        ; implicit-def: $vgpr124
	s_cbranch_vccnz .LBB141_124
; %bb.115:                              ;   in Loop: Header=BB141_78 Depth=1
	v_cmp_gt_i32_e32 vcc, s22, v107
	v_mov_b32_e32 v123, 0
	v_mov_b32_e32 v124, 0
	s_and_saveexec_b64 s[4:5], vcc
	s_cbranch_execz .LBB141_117
; %bb.116:                              ;   in Loop: Header=BB141_78 Depth=1
	flat_load_dword v124, v[84:85]
.LBB141_117:                            ;   in Loop: Header=BB141_78 Depth=1
	s_or_b64 exec, exec, s[4:5]
	v_cmp_gt_i32_e32 vcc, s22, v108
	s_and_saveexec_b64 s[4:5], vcc
	s_cbranch_execz .LBB141_119
; %bb.118:                              ;   in Loop: Header=BB141_78 Depth=1
	v_lshl_add_u64 v[126:127], v[58:59], 0, v[24:25]
	flat_load_dword v123, v[126:127]
.LBB141_119:                            ;   in Loop: Header=BB141_78 Depth=1
	s_or_b64 exec, exec, s[4:5]
	v_cmp_gt_i32_e32 vcc, s22, v109
	v_mov_b32_e32 v125, 0
	v_mov_b32_e32 v126, 0
	s_and_saveexec_b64 s[4:5], vcc
	s_cbranch_execz .LBB141_121
; %bb.120:                              ;   in Loop: Header=BB141_78 Depth=1
	v_lshl_add_u64 v[126:127], v[62:63], 0, v[24:25]
	flat_load_dword v126, v[126:127]
.LBB141_121:                            ;   in Loop: Header=BB141_78 Depth=1
	s_or_b64 exec, exec, s[4:5]
	v_cmp_gt_i32_e32 vcc, s22, v110
	s_and_saveexec_b64 s[4:5], vcc
	s_cbranch_execz .LBB141_123
; %bb.122:                              ;   in Loop: Header=BB141_78 Depth=1
	v_lshl_add_u64 v[128:129], v[64:65], 0, v[24:25]
	flat_load_dword v125, v[128:129]
.LBB141_123:                            ;   in Loop: Header=BB141_78 Depth=1
	s_or_b64 exec, exec, s[4:5]
	s_mov_b64 s[4:5], 0
.LBB141_124:                            ;   in Loop: Header=BB141_78 Depth=1
	s_and_b64 vcc, exec, s[4:5]
	s_cbranch_vccz .LBB141_126
; %bb.125:                              ;   in Loop: Header=BB141_78 Depth=1
	s_waitcnt vmcnt(0) lgkmcnt(0)
	flat_load_dword v124, v[84:85]
	v_lshl_add_u64 v[84:85], v[58:59], 0, v[24:25]
	flat_load_dword v123, v[84:85]
	v_lshl_add_u64 v[84:85], v[54:55], 0, v[24:25]
	;; [unrolled: 2-line block ×3, first 2 shown]
	flat_load_dword v125, v[84:85]
.LBB141_126:                            ;   in Loop: Header=BB141_78 Depth=1
	v_add_f32_e32 v75, 0, v82
	v_add_f32_e32 v75, v75, v83
	;; [unrolled: 1-line block ×3, first 2 shown]
	ds_read_b32 v80, v94
	v_add_f32_e32 v14, 0, v14
	v_add_f32_e32 v14, v14, v15
	;; [unrolled: 1-line block ×5, first 2 shown]
	ds_read_b128 v[12:15], v88 offset:192
	s_waitcnt vmcnt(0) lgkmcnt(0)
	v_mul_f32_e32 v81, v124, v80
	v_mul_f32_e32 v83, v123, v80
	ds_write2_b32 v95, v81, v83 offset1:67
	v_mul_f32_e32 v81, v126, v80
	v_mul_f32_e32 v80, v125, v80
	ds_write2_b32 v95, v81, v80 offset0:134 offset1:201
	s_waitcnt lgkmcnt(0)
	s_barrier
	ds_read2_b32 v[80:81], v92 offset1:1
	v_add_f32_e32 v78, 0, v78
	v_add_f32_e32 v83, v78, v79
	ds_read2_b32 v[78:79], v92 offset0:2 offset1:3
	v_add_f32_e32 v76, v83, v76
	v_add_f32_e32 v76, v76, v77
	s_waitcnt lgkmcnt(1)
	v_add_f32_e32 v77, 0, v80
	v_cmp_gt_i32_e32 vcc, s22, v18
	v_add_f32_e32 v77, v77, v81
	s_or_b64 s[4:5], s[12:13], vcc
	s_waitcnt lgkmcnt(0)
	v_add_f32_e32 v77, v77, v78
	s_and_b64 s[12:13], s[0:1], s[4:5]
	v_add_f32_e32 v77, v77, v79
	s_barrier
	ds_write2_b32 v89, v76, v82 offset1:16
	ds_write2_b32 v89, v75, v77 offset0:32 offset1:48
	s_waitcnt lgkmcnt(0)
	s_barrier
	s_and_saveexec_b64 s[4:5], s[12:13]
	s_cbranch_execz .LBB141_128
; %bb.127:                              ;   in Loop: Header=BB141_78 Depth=1
	ds_read2_b32 v[76:77], v90 offset1:1
	ds_read2_b32 v[78:79], v90 offset0:2 offset1:3
	ds_read2_b32 v[80:81], v90 offset0:4 offset1:5
	;; [unrolled: 1-line block ×4, first 2 shown]
	s_waitcnt lgkmcnt(4)
	v_add_f32_e32 v75, v76, v77
	s_waitcnt lgkmcnt(3)
	v_add_f32_e32 v75, v75, v78
	v_add_f32_e32 v75, v75, v79
	s_waitcnt lgkmcnt(2)
	v_add_f32_e32 v75, v75, v80
	;; [unrolled: 3-line block ×3, first 2 shown]
	v_add_f32_e32 v75, v75, v83
	ds_read2_b32 v[76:77], v90 offset0:10 offset1:11
	ds_read2_b32 v[78:79], v90 offset0:12 offset1:13
	ds_read_b32 v80, v90 offset:56
	s_waitcnt lgkmcnt(3)
	v_add_f32_e32 v75, v75, v84
	v_add_f32_e32 v75, v75, v85
	s_waitcnt lgkmcnt(2)
	v_add_f32_e32 v75, v75, v76
	ds_read_b32 v76, v91
	v_add_f32_e32 v75, v75, v77
	s_waitcnt lgkmcnt(2)
	v_add_f32_e32 v75, v75, v78
	v_add_f32_e32 v75, v75, v79
	s_waitcnt lgkmcnt(1)
	v_add_f32_e32 v75, v75, v80
	s_waitcnt lgkmcnt(0)
	v_add_f32_e32 v78, v75, v76
	v_ashrrev_i32_e32 v75, 31, v74
	v_lshl_add_u64 v[76:77], v[74:75], 2, s[6:7]
	global_store_dword v[76:77], v78, off
.LBB141_128:                            ;   in Loop: Header=BB141_78 Depth=1
	s_or_b64 exec, exec, s[4:5]
	v_fmac_f32_e32 v19, v112, v0
	v_fmac_f32_e32 v19, v111, v1
	;; [unrolled: 1-line block ×15, first 2 shown]
	s_add_i32 s4, s2, 1
	s_add_i32 s8, s8, s28
	;; [unrolled: 1-line block ×3, first 2 shown]
	v_fmac_f32_e32 v19, v125, v15
	v_add_u32_e32 v74, 64, v74
	v_lshl_add_u64 v[26:27], v[26:27], 0, s[10:11]
	v_lshl_add_u64 v[30:31], v[30:31], 0, s[10:11]
	;; [unrolled: 1-line block ×23, first 2 shown]
	s_cmp_ge_u32 s2, s3
	v_lshl_add_u64 v[64:65], v[64:65], 0, s[10:11]
	s_barrier
	s_cbranch_scc0 .LBB141_74
.LBB141_129:
	s_movk_i32 s0, 0x10c
	v_cmp_gt_i32_e32 vcc, s18, v18
	v_mad_u32_u24 v0, v17, s0, v86
	s_or_b64 s[0:1], s[20:21], vcc
	s_and_b64 s[0:1], s[14:15], s[0:1]
	ds_write_b32 v0, v19
	s_waitcnt lgkmcnt(0)
	s_barrier
	s_and_saveexec_b64 s[2:3], s[0:1]
	s_cbranch_execz .LBB141_4
; %bb.130:
	ds_read2_b32 v[0:1], v86 offset1:67
	ds_read2_b32 v[2:3], v86 offset0:134 offset1:201
	v_ashrrev_i32_e32 v17, 31, v16
	s_waitcnt lgkmcnt(1)
	v_add_f32_e32 v0, v0, v1
	s_waitcnt lgkmcnt(0)
	v_add_f32_e32 v0, v0, v2
	v_add_f32_e32 v2, v0, v3
	v_lshl_add_u64 v[0:1], v[16:17], 2, s[6:7]
	global_store_dword v[0:1], v2, off
	s_endpgm
	.section	.rodata,"a",@progbits
	.p2align	6, 0x0
	.amdhsa_kernel _ZL26rocblas_hemvn_kernel_upperILb0ELi64ELi4ELi33ELi32ELi16EifPKPKfPfEviT6_lT7_lT5_lS6_lS7_lS5_lT8_i
		.amdhsa_group_segment_fixed_size 4800
		.amdhsa_private_segment_fixed_size 0
		.amdhsa_kernarg_size 368
		.amdhsa_user_sgpr_count 2
		.amdhsa_user_sgpr_dispatch_ptr 0
		.amdhsa_user_sgpr_queue_ptr 0
		.amdhsa_user_sgpr_kernarg_segment_ptr 1
		.amdhsa_user_sgpr_dispatch_id 0
		.amdhsa_user_sgpr_kernarg_preload_length 0
		.amdhsa_user_sgpr_kernarg_preload_offset 0
		.amdhsa_user_sgpr_private_segment_size 0
		.amdhsa_uses_dynamic_stack 0
		.amdhsa_enable_private_segment 0
		.amdhsa_system_sgpr_workgroup_id_x 1
		.amdhsa_system_sgpr_workgroup_id_y 0
		.amdhsa_system_sgpr_workgroup_id_z 1
		.amdhsa_system_sgpr_workgroup_info 0
		.amdhsa_system_vgpr_workitem_id 1
		.amdhsa_next_free_vgpr 130
		.amdhsa_next_free_sgpr 45
		.amdhsa_accum_offset 132
		.amdhsa_reserve_vcc 1
		.amdhsa_float_round_mode_32 0
		.amdhsa_float_round_mode_16_64 0
		.amdhsa_float_denorm_mode_32 3
		.amdhsa_float_denorm_mode_16_64 3
		.amdhsa_dx10_clamp 1
		.amdhsa_ieee_mode 1
		.amdhsa_fp16_overflow 0
		.amdhsa_tg_split 0
		.amdhsa_exception_fp_ieee_invalid_op 0
		.amdhsa_exception_fp_denorm_src 0
		.amdhsa_exception_fp_ieee_div_zero 0
		.amdhsa_exception_fp_ieee_overflow 0
		.amdhsa_exception_fp_ieee_underflow 0
		.amdhsa_exception_fp_ieee_inexact 0
		.amdhsa_exception_int_div_zero 0
	.end_amdhsa_kernel
	.section	.text._ZL26rocblas_hemvn_kernel_upperILb0ELi64ELi4ELi33ELi32ELi16EifPKPKfPfEviT6_lT7_lT5_lS6_lS7_lS5_lT8_i,"axG",@progbits,_ZL26rocblas_hemvn_kernel_upperILb0ELi64ELi4ELi33ELi32ELi16EifPKPKfPfEviT6_lT7_lT5_lS6_lS7_lS5_lT8_i,comdat
.Lfunc_end141:
	.size	_ZL26rocblas_hemvn_kernel_upperILb0ELi64ELi4ELi33ELi32ELi16EifPKPKfPfEviT6_lT7_lT5_lS6_lS7_lS5_lT8_i, .Lfunc_end141-_ZL26rocblas_hemvn_kernel_upperILb0ELi64ELi4ELi33ELi32ELi16EifPKPKfPfEviT6_lT7_lT5_lS6_lS7_lS5_lT8_i
                                        ; -- End function
	.set _ZL26rocblas_hemvn_kernel_upperILb0ELi64ELi4ELi33ELi32ELi16EifPKPKfPfEviT6_lT7_lT5_lS6_lS7_lS5_lT8_i.num_vgpr, 130
	.set _ZL26rocblas_hemvn_kernel_upperILb0ELi64ELi4ELi33ELi32ELi16EifPKPKfPfEviT6_lT7_lT5_lS6_lS7_lS5_lT8_i.num_agpr, 0
	.set _ZL26rocblas_hemvn_kernel_upperILb0ELi64ELi4ELi33ELi32ELi16EifPKPKfPfEviT6_lT7_lT5_lS6_lS7_lS5_lT8_i.numbered_sgpr, 45
	.set _ZL26rocblas_hemvn_kernel_upperILb0ELi64ELi4ELi33ELi32ELi16EifPKPKfPfEviT6_lT7_lT5_lS6_lS7_lS5_lT8_i.num_named_barrier, 0
	.set _ZL26rocblas_hemvn_kernel_upperILb0ELi64ELi4ELi33ELi32ELi16EifPKPKfPfEviT6_lT7_lT5_lS6_lS7_lS5_lT8_i.private_seg_size, 0
	.set _ZL26rocblas_hemvn_kernel_upperILb0ELi64ELi4ELi33ELi32ELi16EifPKPKfPfEviT6_lT7_lT5_lS6_lS7_lS5_lT8_i.uses_vcc, 1
	.set _ZL26rocblas_hemvn_kernel_upperILb0ELi64ELi4ELi33ELi32ELi16EifPKPKfPfEviT6_lT7_lT5_lS6_lS7_lS5_lT8_i.uses_flat_scratch, 0
	.set _ZL26rocblas_hemvn_kernel_upperILb0ELi64ELi4ELi33ELi32ELi16EifPKPKfPfEviT6_lT7_lT5_lS6_lS7_lS5_lT8_i.has_dyn_sized_stack, 0
	.set _ZL26rocblas_hemvn_kernel_upperILb0ELi64ELi4ELi33ELi32ELi16EifPKPKfPfEviT6_lT7_lT5_lS6_lS7_lS5_lT8_i.has_recursion, 0
	.set _ZL26rocblas_hemvn_kernel_upperILb0ELi64ELi4ELi33ELi32ELi16EifPKPKfPfEviT6_lT7_lT5_lS6_lS7_lS5_lT8_i.has_indirect_call, 0
	.section	.AMDGPU.csdata,"",@progbits
; Kernel info:
; codeLenInByte = 6484
; TotalNumSgprs: 51
; NumVgprs: 130
; NumAgprs: 0
; TotalNumVgprs: 130
; ScratchSize: 0
; MemoryBound: 0
; FloatMode: 240
; IeeeMode: 1
; LDSByteSize: 4800 bytes/workgroup (compile time only)
; SGPRBlocks: 6
; VGPRBlocks: 16
; NumSGPRsForWavesPerEU: 51
; NumVGPRsForWavesPerEU: 130
; AccumOffset: 132
; Occupancy: 3
; WaveLimiterHint : 1
; COMPUTE_PGM_RSRC2:SCRATCH_EN: 0
; COMPUTE_PGM_RSRC2:USER_SGPR: 2
; COMPUTE_PGM_RSRC2:TRAP_HANDLER: 0
; COMPUTE_PGM_RSRC2:TGID_X_EN: 1
; COMPUTE_PGM_RSRC2:TGID_Y_EN: 0
; COMPUTE_PGM_RSRC2:TGID_Z_EN: 1
; COMPUTE_PGM_RSRC2:TIDIG_COMP_CNT: 1
; COMPUTE_PGM_RSRC3_GFX90A:ACCUM_OFFSET: 32
; COMPUTE_PGM_RSRC3_GFX90A:TG_SPLIT: 0
	.section	.text._ZL36rocblas_hemvn_kernel_upper_block_sumILi64EifPKPffEviT1_lS3_lT2_lT0_lPT3_i,"axG",@progbits,_ZL36rocblas_hemvn_kernel_upper_block_sumILi64EifPKPffEviT1_lS3_lT2_lT0_lPT3_i,comdat
	.globl	_ZL36rocblas_hemvn_kernel_upper_block_sumILi64EifPKPffEviT1_lS3_lT2_lT0_lPT3_i ; -- Begin function _ZL36rocblas_hemvn_kernel_upper_block_sumILi64EifPKPffEviT1_lS3_lT2_lT0_lPT3_i
	.p2align	8
	.type	_ZL36rocblas_hemvn_kernel_upper_block_sumILi64EifPKPffEviT1_lS3_lT2_lT0_lPT3_i,@function
_ZL36rocblas_hemvn_kernel_upper_block_sumILi64EifPKPffEviT1_lS3_lT2_lT0_lPT3_i: ; @_ZL36rocblas_hemvn_kernel_upper_block_sumILi64EifPKPffEviT1_lS3_lT2_lT0_lPT3_i
; %bb.0:
	s_mov_b32 s12, s3
	s_load_dwordx2 s[8:9], s[0:1], 0x0
	s_load_dword s3, s[0:1], 0x10
	s_mov_b32 s13, 0
	s_waitcnt lgkmcnt(0)
	v_cmp_eq_f32_e64 s[4:5], s9, 0
	v_cmp_eq_f32_e64 s[6:7], s3, 1.0
	s_and_b64 s[4:5], s[4:5], s[6:7]
	s_and_b64 vcc, exec, s[4:5]
	s_cbranch_vccnz .LBB142_19
; %bb.1:
	s_load_dwordx4 s[4:7], s[0:1], 0x20
	s_load_dword s18, s[0:1], 0x30
	s_lshl_b64 s[10:11], s[12:13], 3
	v_lshl_or_b32 v0, s2, 6, v0
	s_waitcnt lgkmcnt(0)
	s_add_u32 s4, s4, s10
	s_addc_u32 s5, s5, s11
	s_load_dwordx2 s[4:5], s[4:5], 0x0
	s_lshl_b64 s[6:7], s[6:7], 2
	v_cmp_neq_f32_e64 s[10:11], s9, 0
	s_waitcnt lgkmcnt(0)
	s_add_u32 s6, s4, s6
	s_addc_u32 s7, s5, s7
	s_and_b64 vcc, exec, s[10:11]
	v_cmp_gt_i32_e64 s[4:5], s8, v0
	s_cbranch_vccnz .LBB142_6
; %bb.2:
	s_mov_b64 s[14:15], 0
	s_mov_b64 s[10:11], 0
                                        ; implicit-def: $vgpr4
                                        ; implicit-def: $vgpr2_vgpr3
	s_and_saveexec_b64 s[16:17], s[4:5]
	s_cbranch_execz .LBB142_7
; %bb.3:
	v_cmp_eq_f32_e64 s[4:5], s3, 0
	v_mul_lo_u32 v2, s18, v0
	v_mov_b32_e32 v4, 0
	v_ashrrev_i32_e32 v3, 31, v2
	s_and_b64 vcc, exec, s[4:5]
	s_cbranch_vccnz .LBB142_5
; %bb.4:
	v_lshl_add_u64 v[4:5], v[2:3], 2, s[6:7]
	flat_load_dword v1, v[4:5]
	s_waitcnt vmcnt(0) lgkmcnt(0)
	v_mul_f32_e32 v4, s3, v1
.LBB142_5:
	s_mov_b64 s[10:11], exec
	s_or_b64 exec, exec, s[16:17]
	s_and_b64 vcc, exec, s[14:15]
	s_cbranch_vccnz .LBB142_8
	s_branch .LBB142_17
.LBB142_6:
	s_mov_b64 s[10:11], 0
                                        ; implicit-def: $vgpr4
                                        ; implicit-def: $vgpr2_vgpr3
	s_cbranch_execnz .LBB142_8
	s_branch .LBB142_17
.LBB142_7:
	s_or_b64 exec, exec, s[16:17]
	s_and_b64 vcc, exec, s[14:15]
	s_cbranch_vccz .LBB142_17
.LBB142_8:
	v_cmp_gt_i32_e32 vcc, s8, v0
                                        ; implicit-def: $vgpr4
                                        ; implicit-def: $vgpr2_vgpr3
	s_and_saveexec_b64 s[4:5], vcc
	s_cbranch_execz .LBB142_16
; %bb.9:
	s_cmp_lt_i32 s2, 0
	v_mov_b32_e32 v1, 0
	s_cbranch_scc1 .LBB142_12
; %bb.10:
	s_load_dwordx2 s[16:17], s[0:1], 0x40
	s_load_dword s13, s[0:1], 0x50
	s_ashr_i32 s15, s8, 31
	s_mul_hi_u32 s0, s8, s12
	s_mul_i32 s1, s15, s12
	s_mov_b32 s14, s8
	s_add_i32 s0, s0, s1
	s_mul_i32 s8, s8, s12
	s_waitcnt lgkmcnt(0)
	s_mul_i32 s0, s0, s13
	s_mul_hi_u32 s1, s8, s13
	s_add_i32 s1, s1, s0
	s_mul_i32 s0, s8, s13
	s_lshl_b64 s[0:1], s[0:1], 2
	s_add_u32 s0, s16, s0
	s_addc_u32 s1, s17, s1
	v_mov_b32_e32 v1, 0
	v_lshl_add_u64 v[2:3], v[0:1], 2, s[0:1]
	s_add_i32 s2, s2, 1
	s_lshl_b64 s[0:1], s[14:15], 2
.LBB142_11:                             ; =>This Inner Loop Header: Depth=1
	global_load_dword v4, v[2:3], off
	s_add_i32 s2, s2, -1
	v_lshl_add_u64 v[2:3], v[2:3], 0, s[0:1]
	s_cmp_eq_u32 s2, 0
	s_waitcnt vmcnt(0)
	v_add_f32_e32 v1, v1, v4
	s_cbranch_scc0 .LBB142_11
.LBB142_12:
	v_cmp_eq_f32_e64 s[0:1], s3, 0
	v_mul_lo_u32 v2, s18, v0
	s_and_b64 vcc, exec, s[0:1]
	v_ashrrev_i32_e32 v3, 31, v2
	s_cbranch_vccz .LBB142_20
; %bb.13:
	v_mul_f32_e32 v4, s9, v1
	s_cbranch_execnz .LBB142_15
.LBB142_14:
	v_lshl_add_u64 v[4:5], v[2:3], 2, s[6:7]
	flat_load_dword v5, v[4:5]
	s_mov_b32 s2, s9
	v_mov_b32_e32 v4, v1
	s_waitcnt vmcnt(0) lgkmcnt(0)
	v_pk_mul_f32 v[0:1], s[2:3], v[4:5]
	s_nop 0
	v_add_f32_e32 v4, v0, v1
.LBB142_15:
	s_or_b64 s[10:11], s[10:11], exec
.LBB142_16:
	s_or_b64 exec, exec, s[4:5]
.LBB142_17:
	s_and_saveexec_b64 s[0:1], s[10:11]
	s_cbranch_execz .LBB142_19
; %bb.18:
	v_lshl_add_u64 v[0:1], v[2:3], 2, s[6:7]
	flat_store_dword v[0:1], v4
.LBB142_19:
	s_endpgm
.LBB142_20:
                                        ; implicit-def: $vgpr4
	s_branch .LBB142_14
	.section	.rodata,"a",@progbits
	.p2align	6, 0x0
	.amdhsa_kernel _ZL36rocblas_hemvn_kernel_upper_block_sumILi64EifPKPffEviT1_lS3_lT2_lT0_lPT3_i
		.amdhsa_group_segment_fixed_size 0
		.amdhsa_private_segment_fixed_size 0
		.amdhsa_kernarg_size 336
		.amdhsa_user_sgpr_count 2
		.amdhsa_user_sgpr_dispatch_ptr 0
		.amdhsa_user_sgpr_queue_ptr 0
		.amdhsa_user_sgpr_kernarg_segment_ptr 1
		.amdhsa_user_sgpr_dispatch_id 0
		.amdhsa_user_sgpr_kernarg_preload_length 0
		.amdhsa_user_sgpr_kernarg_preload_offset 0
		.amdhsa_user_sgpr_private_segment_size 0
		.amdhsa_uses_dynamic_stack 0
		.amdhsa_enable_private_segment 0
		.amdhsa_system_sgpr_workgroup_id_x 1
		.amdhsa_system_sgpr_workgroup_id_y 0
		.amdhsa_system_sgpr_workgroup_id_z 1
		.amdhsa_system_sgpr_workgroup_info 0
		.amdhsa_system_vgpr_workitem_id 0
		.amdhsa_next_free_vgpr 6
		.amdhsa_next_free_sgpr 19
		.amdhsa_accum_offset 8
		.amdhsa_reserve_vcc 1
		.amdhsa_float_round_mode_32 0
		.amdhsa_float_round_mode_16_64 0
		.amdhsa_float_denorm_mode_32 3
		.amdhsa_float_denorm_mode_16_64 3
		.amdhsa_dx10_clamp 1
		.amdhsa_ieee_mode 1
		.amdhsa_fp16_overflow 0
		.amdhsa_tg_split 0
		.amdhsa_exception_fp_ieee_invalid_op 0
		.amdhsa_exception_fp_denorm_src 0
		.amdhsa_exception_fp_ieee_div_zero 0
		.amdhsa_exception_fp_ieee_overflow 0
		.amdhsa_exception_fp_ieee_underflow 0
		.amdhsa_exception_fp_ieee_inexact 0
		.amdhsa_exception_int_div_zero 0
	.end_amdhsa_kernel
	.section	.text._ZL36rocblas_hemvn_kernel_upper_block_sumILi64EifPKPffEviT1_lS3_lT2_lT0_lPT3_i,"axG",@progbits,_ZL36rocblas_hemvn_kernel_upper_block_sumILi64EifPKPffEviT1_lS3_lT2_lT0_lPT3_i,comdat
.Lfunc_end142:
	.size	_ZL36rocblas_hemvn_kernel_upper_block_sumILi64EifPKPffEviT1_lS3_lT2_lT0_lPT3_i, .Lfunc_end142-_ZL36rocblas_hemvn_kernel_upper_block_sumILi64EifPKPffEviT1_lS3_lT2_lT0_lPT3_i
                                        ; -- End function
	.set _ZL36rocblas_hemvn_kernel_upper_block_sumILi64EifPKPffEviT1_lS3_lT2_lT0_lPT3_i.num_vgpr, 6
	.set _ZL36rocblas_hemvn_kernel_upper_block_sumILi64EifPKPffEviT1_lS3_lT2_lT0_lPT3_i.num_agpr, 0
	.set _ZL36rocblas_hemvn_kernel_upper_block_sumILi64EifPKPffEviT1_lS3_lT2_lT0_lPT3_i.numbered_sgpr, 19
	.set _ZL36rocblas_hemvn_kernel_upper_block_sumILi64EifPKPffEviT1_lS3_lT2_lT0_lPT3_i.num_named_barrier, 0
	.set _ZL36rocblas_hemvn_kernel_upper_block_sumILi64EifPKPffEviT1_lS3_lT2_lT0_lPT3_i.private_seg_size, 0
	.set _ZL36rocblas_hemvn_kernel_upper_block_sumILi64EifPKPffEviT1_lS3_lT2_lT0_lPT3_i.uses_vcc, 1
	.set _ZL36rocblas_hemvn_kernel_upper_block_sumILi64EifPKPffEviT1_lS3_lT2_lT0_lPT3_i.uses_flat_scratch, 0
	.set _ZL36rocblas_hemvn_kernel_upper_block_sumILi64EifPKPffEviT1_lS3_lT2_lT0_lPT3_i.has_dyn_sized_stack, 0
	.set _ZL36rocblas_hemvn_kernel_upper_block_sumILi64EifPKPffEviT1_lS3_lT2_lT0_lPT3_i.has_recursion, 0
	.set _ZL36rocblas_hemvn_kernel_upper_block_sumILi64EifPKPffEviT1_lS3_lT2_lT0_lPT3_i.has_indirect_call, 0
	.section	.AMDGPU.csdata,"",@progbits
; Kernel info:
; codeLenInByte = 532
; TotalNumSgprs: 25
; NumVgprs: 6
; NumAgprs: 0
; TotalNumVgprs: 6
; ScratchSize: 0
; MemoryBound: 0
; FloatMode: 240
; IeeeMode: 1
; LDSByteSize: 0 bytes/workgroup (compile time only)
; SGPRBlocks: 3
; VGPRBlocks: 0
; NumSGPRsForWavesPerEU: 25
; NumVGPRsForWavesPerEU: 6
; AccumOffset: 8
; Occupancy: 8
; WaveLimiterHint : 1
; COMPUTE_PGM_RSRC2:SCRATCH_EN: 0
; COMPUTE_PGM_RSRC2:USER_SGPR: 2
; COMPUTE_PGM_RSRC2:TRAP_HANDLER: 0
; COMPUTE_PGM_RSRC2:TGID_X_EN: 1
; COMPUTE_PGM_RSRC2:TGID_Y_EN: 0
; COMPUTE_PGM_RSRC2:TGID_Z_EN: 1
; COMPUTE_PGM_RSRC2:TIDIG_COMP_CNT: 0
; COMPUTE_PGM_RSRC3_GFX90A:ACCUM_OFFSET: 1
; COMPUTE_PGM_RSRC3_GFX90A:TG_SPLIT: 0
	.section	.text._ZL50rocblas_symv_kernel_lower_double_buffered_diagonalILi32ELi4E24rocblas_internal_val_ptrIfEPKPKfPKPfEvbiT1_lT2_lllSA_lllS9_lT3_llli,"axG",@progbits,_ZL50rocblas_symv_kernel_lower_double_buffered_diagonalILi32ELi4E24rocblas_internal_val_ptrIfEPKPKfPKPfEvbiT1_lT2_lllSA_lllS9_lT3_llli,comdat
	.globl	_ZL50rocblas_symv_kernel_lower_double_buffered_diagonalILi32ELi4E24rocblas_internal_val_ptrIfEPKPKfPKPfEvbiT1_lT2_lllSA_lllS9_lT3_llli ; -- Begin function _ZL50rocblas_symv_kernel_lower_double_buffered_diagonalILi32ELi4E24rocblas_internal_val_ptrIfEPKPKfPKPfEvbiT1_lT2_lllSA_lllS9_lT3_llli
	.p2align	8
	.type	_ZL50rocblas_symv_kernel_lower_double_buffered_diagonalILi32ELi4E24rocblas_internal_val_ptrIfEPKPKfPKPfEvbiT1_lT2_lllSA_lllS9_lT3_llli,@function
_ZL50rocblas_symv_kernel_lower_double_buffered_diagonalILi32ELi4E24rocblas_internal_val_ptrIfEPKPKfPKPfEvbiT1_lT2_lllSA_lllS9_lT3_llli: ; @_ZL50rocblas_symv_kernel_lower_double_buffered_diagonalILi32ELi4E24rocblas_internal_val_ptrIfEPKPKfPKPfEvbiT1_lT2_lllSA_lllS9_lT3_llli
; %bb.0:
	s_mov_b32 s18, s3
	s_load_dword s3, s[0:1], 0x0
	s_load_dwordx8 s[4:11], s[0:1], 0x8
	s_load_dwordx2 s[16:17], s[0:1], 0x28
	s_mov_b64 s[22:23], -1
                                        ; implicit-def: $sgpr28
	s_waitcnt lgkmcnt(0)
	s_bitcmp1_b32 s3, 0
	s_cselect_b64 s[12:13], -1, 0
	s_xor_b64 s[20:21], s[12:13], -1
	s_and_b64 vcc, exec, s[20:21]
	s_cbranch_vccnz .LBB143_7
; %bb.1:
	s_load_dwordx4 s[12:15], s[0:1], 0x58
	s_andn2_b64 vcc, exec, s[22:23]
	s_cbranch_vccz .LBB143_8
.LBB143_2:
	s_andn2_b64 vcc, exec, s[20:21]
	s_cbranch_vccnz .LBB143_4
.LBB143_3:
	s_waitcnt lgkmcnt(0)
	s_mul_i32 s3, s15, s18
	s_mul_hi_u32 s4, s14, s18
	s_add_i32 s5, s4, s3
	s_mul_i32 s4, s14, s18
	s_lshl_b64 s[4:5], s[4:5], 2
	s_add_u32 s4, s12, s4
	s_addc_u32 s5, s13, s5
	s_load_dword s12, s[4:5], 0x0
.LBB143_4:
	s_waitcnt lgkmcnt(0)
	v_cmp_eq_f32_e64 s[22:23], s28, 0
	v_cmp_eq_f32_e64 s[4:5], s12, 1.0
	s_and_b64 s[4:5], s[22:23], s[4:5]
	s_and_b64 vcc, exec, s[4:5]
	s_cbranch_vccnz .LBB143_42
; %bb.5:
	v_cmp_neq_f32_e64 s[26:27], s28, 0
	s_mov_b32 s19, 0
	s_and_b64 vcc, exec, s[26:27]
	s_cbranch_vccnz .LBB143_9
; %bb.6:
	s_mov_b64 s[4:5], 0
	s_branch .LBB143_10
.LBB143_7:
	s_mul_i32 s3, s7, s18
	s_mul_hi_u32 s7, s6, s18
	s_add_i32 s7, s7, s3
	s_mul_i32 s6, s6, s18
	s_lshl_b64 s[6:7], s[6:7], 2
	s_add_u32 s6, s4, s6
	s_addc_u32 s7, s5, s7
	s_load_dword s28, s[6:7], 0x0
	s_load_dwordx4 s[12:15], s[0:1], 0x58
	s_cbranch_execnz .LBB143_2
.LBB143_8:
	s_waitcnt lgkmcnt(0)
	s_mov_b32 s28, s4
	s_andn2_b64 vcc, exec, s[20:21]
	s_cbranch_vccz .LBB143_3
	s_branch .LBB143_4
.LBB143_9:
	s_mov_b64 s[4:5], -1
.LBB143_10:
	s_load_dwordx2 s[24:25], s[0:1], 0x68
	s_mov_b64 s[20:21], 0
	s_andn2_b64 vcc, exec, s[4:5]
	s_mov_b64 s[14:15], 0
	s_cbranch_vccnz .LBB143_12
; %bb.11:
	s_lshl_b64 s[4:5], s[18:19], 3
	s_add_u32 s4, s8, s4
	s_addc_u32 s5, s9, s5
	s_load_dwordx2 s[4:5], s[4:5], 0x0
	s_lshl_b64 s[6:7], s[10:11], 2
	s_waitcnt lgkmcnt(0)
	s_add_u32 s14, s4, s6
	s_addc_u32 s15, s5, s7
.LBB143_12:
	s_load_dwordx4 s[4:7], s[0:1], 0x38
	s_load_dwordx2 s[8:9], s[0:1], 0x48
	s_andn2_b64 vcc, exec, s[26:27]
	s_cbranch_vccnz .LBB143_14
; %bb.13:
	s_lshl_b64 s[10:11], s[18:19], 3
	s_waitcnt lgkmcnt(0)
	s_add_u32 s4, s4, s10
	s_addc_u32 s5, s5, s11
	s_load_dwordx2 s[4:5], s[4:5], 0x0
	s_lshl_b64 s[6:7], s[6:7], 2
	s_waitcnt lgkmcnt(0)
	s_add_u32 s20, s4, s6
	s_addc_u32 s21, s5, s7
.LBB143_14:
	s_waitcnt lgkmcnt(0)
	s_load_dwordx4 s[4:7], s[0:1], 0x70
	s_lshl_b64 s[0:1], s[18:19], 3
	s_add_u32 s0, s24, s0
	s_addc_u32 s1, s25, s1
	s_load_dwordx2 s[0:1], s[0:1], 0x0
	s_waitcnt lgkmcnt(0)
	s_lshl_b64 s[4:5], s[4:5], 2
	v_bfe_u32 v5, v0, 10, 10
	v_and_b32_e32 v4, 0x3ff, v0
	s_add_u32 s3, s0, s4
	s_addc_u32 s4, s1, s5
	s_lshl_b32 s10, s2, 5
	s_ashr_i32 s11, s10, 31
	s_mul_i32 s0, s6, s11
	s_mul_hi_u32 s1, s6, s10
	s_add_i32 s0, s1, s0
	s_mul_i32 s1, s7, s10
	s_add_i32 s1, s0, s1
	s_mul_i32 s0, s6, s10
	s_lshl_b64 s[0:1], s[0:1], 2
	s_add_u32 s2, s3, s0
	s_addc_u32 s3, s4, s1
	s_mov_b64 s[4:5], -1
	s_andn2_b64 vcc, exec, s[22:23]
	v_cmp_eq_u32_e64 s[0:1], 0, v5
	s_cbranch_vccnz .LBB143_18
; %bb.15:
	s_and_saveexec_b64 s[4:5], s[0:1]
	s_cbranch_execz .LBB143_17
; %bb.16:
	v_mad_u64_u32 v[0:1], s[0:1], s6, v4, 0
	v_mov_b32_e32 v2, v1
	v_mad_u64_u32 v[2:3], s[0:1], s7, v4, v[2:3]
	v_mov_b32_e32 v1, v2
	v_lshl_add_u64 v[0:1], v[0:1], 2, s[2:3]
	flat_load_dword v2, v[0:1]
	s_waitcnt vmcnt(0) lgkmcnt(0)
	v_mul_f32_e32 v2, s12, v2
	flat_store_dword v[0:1], v2
.LBB143_17:
	s_or_b64 exec, exec, s[4:5]
	s_mov_b64 s[4:5], 0
.LBB143_18:
	s_andn2_b64 vcc, exec, s[4:5]
	s_cbranch_vccnz .LBB143_42
; %bb.19:
	v_mov_b32_e32 v6, 0
	v_cmp_eq_u32_e64 s[0:1], 0, v5
	s_and_saveexec_b64 s[4:5], s[0:1]
	s_cbranch_execz .LBB143_23
; %bb.20:
	v_cmp_eq_f32_e64 s[18:19], s12, 0
	v_mov_b32_e32 v6, 0
	s_and_b64 vcc, exec, s[18:19]
	s_cbranch_vccnz .LBB143_22
; %bb.21:
	v_mad_u64_u32 v[0:1], s[18:19], s6, v4, 0
	v_mov_b32_e32 v2, v1
	v_mad_u64_u32 v[2:3], s[18:19], s7, v4, v[2:3]
	v_mov_b32_e32 v1, v2
	v_lshl_add_u64 v[0:1], v[0:1], 2, s[2:3]
	flat_load_dword v0, v[0:1]
	s_waitcnt vmcnt(0) lgkmcnt(0)
	v_mul_f32_e32 v6, s12, v0
.LBB143_22:
	s_mul_i32 s13, s8, s11
	s_mul_hi_u32 s18, s8, s10
	s_add_i32 s13, s18, s13
	s_mul_i32 s18, s9, s10
	s_add_i32 s19, s13, s18
	s_mul_i32 s18, s8, s10
	s_lshl_b64 s[18:19], s[18:19], 2
	s_add_u32 s18, s20, s18
	s_addc_u32 s19, s21, s19
	v_mad_u64_u32 v[0:1], s[20:21], s8, v4, 0
	v_mov_b32_e32 v2, v1
	v_mad_u64_u32 v[2:3], s[8:9], s9, v4, v[2:3]
	v_mov_b32_e32 v1, v2
	v_lshl_add_u64 v[0:1], v[0:1], 2, s[18:19]
	flat_load_dword v0, v[0:1]
	v_lshlrev_b32_e32 v1, 2, v4
	s_waitcnt vmcnt(0) lgkmcnt(0)
	ds_write_b32 v1, v0 offset:5120
.LBB143_23:
	s_or_b64 exec, exec, s[4:5]
	s_add_u32 s4, s16, 1
	s_addc_u32 s5, s17, 0
	s_mul_i32 s8, s4, s11
	s_mul_hi_u32 s9, s4, s10
	s_add_i32 s8, s9, s8
	s_mul_i32 s5, s5, s10
	s_add_i32 s5, s8, s5
	s_mul_i32 s4, s4, s10
	v_mad_u64_u32 v[0:1], s[8:9], s16, v5, 0
	s_lshl_b64 s[4:5], s[4:5], 2
	v_mov_b32_e32 v2, v1
	s_add_u32 s4, s14, s4
	v_mad_u64_u32 v[2:3], s[8:9], s17, v5, v[2:3]
	s_addc_u32 s5, s15, s5
	v_mov_b32_e32 v1, v2
	v_lshl_add_u64 v[2:3], v[0:1], 2, s[4:5]
	v_lshlrev_b32_e32 v0, 2, v4
	v_mov_b32_e32 v1, 0
	v_lshl_add_u64 v[8:9], v[2:3], 0, v[0:1]
	s_lshl_b64 s[4:5], s[16:17], 4
	v_lshl_add_u64 v[10:11], v[8:9], 0, s[4:5]
	v_lshl_add_u64 v[12:13], v[10:11], 0, s[4:5]
	;; [unrolled: 1-line block ×3, first 2 shown]
	flat_load_dword v14, v[8:9]
	flat_load_dword v15, v[10:11]
	;; [unrolled: 1-line block ×4, first 2 shown]
	v_lshlrev_b32_e32 v7, 7, v5
	v_add_u32_e32 v8, 0x200, v7
	v_add_u32_e32 v9, 0x400, v7
	;; [unrolled: 1-line block ×7, first 2 shown]
	v_cmp_lt_u32_e32 vcc, 15, v4
	s_waitcnt vmcnt(0) lgkmcnt(0)
	ds_write_b32 v1, v14
	ds_write_b32 v7, v15
	;; [unrolled: 1-line block ×4, first 2 shown]
	s_and_saveexec_b64 s[8:9], vcc
	s_cbranch_execz .LBB143_25
; %bb.24:
	s_lshl_b64 s[10:11], s[16:17], 2
	v_lshl_add_u64 v[2:3], v[2:3], 0, s[4:5]
	v_lshl_add_u64 v[10:11], s[10:11], 2, v[2:3]
	;; [unrolled: 1-line block ×4, first 2 shown]
	flat_load_dword v16, v[2:3]
	flat_load_dword v17, v[10:11]
	;; [unrolled: 1-line block ×4, first 2 shown]
	s_waitcnt vmcnt(0) lgkmcnt(0)
	ds_write2st64_b32 v1, v16, v17 offset0:8 offset1:10
	ds_write2st64_b32 v1, v18, v19 offset0:12 offset1:14
.LBB143_25:
	s_or_b64 exec, exec, s[8:9]
	v_cmp_ge_u32_e32 vcc, v4, v5
	v_lshlrev_b32_e32 v10, 7, v4
	s_waitcnt lgkmcnt(0)
	s_barrier
	s_and_saveexec_b64 s[4:5], vcc
	s_xor_b64 s[4:5], exec, s[4:5]
; %bb.26:
	v_lshlrev_b32_e32 v10, 7, v4
; %bb.27:
	s_or_saveexec_b64 s[4:5], s[4:5]
	v_lshlrev_b32_e32 v2, 5, v5
	v_lshlrev_b32_e32 v3, 2, v5
	s_xor_b64 exec, exec, s[4:5]
	s_cbranch_execz .LBB143_29
; %bb.28:
	v_mul_u32_u24_e32 v11, 0x7c, v4
	v_add3_u32 v11, v0, v11, v3
	ds_read_b32 v11, v11
	v_lshl_add_u32 v12, v2, 2, v0
	s_waitcnt lgkmcnt(0)
	ds_write_b32 v12, v11
.LBB143_29:
	s_or_b64 exec, exec, s[4:5]
	v_sub_u32_e32 v11, v4, v5
	v_sub_u32_e32 v12, 0, v11
	v_max_i32_e32 v11, v11, v12
	v_cmp_gt_u32_e32 vcc, 4, v11
	v_lshl_add_u32 v10, v5, 2, v10
	s_and_saveexec_b64 s[4:5], vcc
	s_cbranch_execnz .LBB143_43
; %bb.30:
	s_or_b64 exec, exec, s[4:5]
	v_cmp_gt_u32_e32 vcc, 8, v11
	s_and_saveexec_b64 s[4:5], vcc
	s_cbranch_execnz .LBB143_44
.LBB143_31:
	s_or_b64 exec, exec, s[4:5]
	v_cmp_gt_u32_e32 vcc, 12, v11
	s_and_saveexec_b64 s[4:5], vcc
	s_cbranch_execnz .LBB143_45
.LBB143_32:
	s_or_b64 exec, exec, s[4:5]
	v_cmp_gt_u32_e32 vcc, 16, v11
	s_and_saveexec_b64 s[4:5], vcc
	s_cbranch_execnz .LBB143_46
.LBB143_33:
	s_or_b64 exec, exec, s[4:5]
	v_cmp_gt_u32_e32 vcc, 20, v11
	s_and_saveexec_b64 s[4:5], vcc
	s_cbranch_execnz .LBB143_47
.LBB143_34:
	s_or_b64 exec, exec, s[4:5]
	v_cmp_gt_u32_e32 vcc, 24, v11
	s_and_saveexec_b64 s[4:5], vcc
	s_cbranch_execz .LBB143_36
.LBB143_35:
	ds_read_b32 v12, v10 offset:96
	s_waitcnt lgkmcnt(0)
	ds_write_b32 v1, v12 offset:3072
.LBB143_36:
	s_or_b64 exec, exec, s[4:5]
	v_cmp_lt_u32_e32 vcc, 27, v11
	v_add_u32_e32 v11, 28, v5
                                        ; implicit-def: $vgpr12
	s_and_saveexec_b64 s[4:5], vcc
	s_xor_b64 s[4:5], exec, s[4:5]
; %bb.37:
	v_add_u32_e32 v11, 28, v5
	v_lshlrev_b32_e32 v12, 7, v11
                                        ; implicit-def: $vgpr10
; %bb.38:
	s_andn2_saveexec_b64 s[4:5], s[4:5]
	s_cbranch_execz .LBB143_40
; %bb.39:
	ds_read_b32 v10, v10 offset:112
	v_lshlrev_b32_e32 v12, 7, v11
	v_add_u32_e32 v13, v0, v12
	s_waitcnt lgkmcnt(0)
	ds_write_b32 v13, v10
.LBB143_40:
	s_or_b64 exec, exec, s[4:5]
	v_add_u32_e32 v20, 0x1400, v3
	s_waitcnt lgkmcnt(0)
	s_barrier
	ds_read2_b32 v[14:15], v20 offset1:4
	ds_read2_b32 v[16:17], v20 offset0:8 offset1:12
	v_add_u32_e32 v13, v0, v12
	v_lshlrev_b32_e32 v19, 2, v11
	v_lshl_add_u32 v5, v5, 7, v0
	ds_read_b32 v10, v1
	ds_read_b32 v11, v7
	;; [unrolled: 1-line block ×4, first 2 shown]
	ds_read_b32 v12, v5 offset:3072
	ds_read_b32 v18, v3 offset:5216
	ds_read_b32 v13, v13
	ds_read_b32 v19, v19 offset:5120
	s_waitcnt lgkmcnt(6)
	v_pk_mul_f32 v[10:11], v[10:11], v[14:15]
	ds_read2st64_b32 v[14:15], v5 offset0:8 offset1:10
	ds_read2_b32 v[20:21], v20 offset0:16 offset1:20
	v_add_f32_e32 v1, 0, v10
	v_add_f32_e32 v1, v1, v11
	s_waitcnt lgkmcnt(6)
	v_pk_mul_f32 v[8:9], v[8:9], v[16:17]
	v_add_lshl_u32 v2, v2, v4, 2
	v_add_f32_e32 v1, v1, v8
	v_add_f32_e32 v1, v1, v9
	s_waitcnt lgkmcnt(0)
	v_pk_mul_f32 v[8:9], v[14:15], v[20:21]
	s_nop 0
	v_add_f32_e32 v1, v1, v8
	v_add_f32_e32 v1, v1, v9
	v_pk_mul_f32 v[8:9], v[12:13], v[18:19]
	s_nop 0
	v_add_f32_e32 v1, v1, v8
	v_add_f32_e32 v1, v1, v9
	ds_write_b32 v2, v1 offset:4096
	s_waitcnt lgkmcnt(0)
	s_barrier
	s_and_saveexec_b64 s[4:5], s[0:1]
	s_cbranch_execz .LBB143_42
; %bb.41:
	v_add_u32_e32 v2, 0x1000, v0
	ds_read2_b32 v[0:1], v2 offset1:32
	ds_read2_b32 v[2:3], v2 offset0:64 offset1:96
	v_cmp_neq_f32_e64 vcc, s12, 0
	s_waitcnt lgkmcnt(1)
	v_add_f32_e32 v0, 0, v0
	v_add_f32_e32 v0, v0, v1
	s_waitcnt lgkmcnt(0)
	v_add_f32_e32 v0, v0, v2
	v_add_f32_e32 v0, v0, v3
	v_mul_f32_e32 v1, s28, v0
	v_fmac_f32_e32 v6, s28, v0
	v_cndmask_b32_e32 v5, v1, v6, vcc
	v_mad_u64_u32 v[0:1], s[0:1], s6, v4, 0
	v_mov_b32_e32 v2, v1
	v_mad_u64_u32 v[2:3], s[0:1], s7, v4, v[2:3]
	v_mov_b32_e32 v1, v2
	v_lshl_add_u64 v[0:1], v[0:1], 2, s[2:3]
	flat_store_dword v[0:1], v5
.LBB143_42:
	s_endpgm
.LBB143_43:
	ds_read_b32 v12, v10 offset:16
	s_waitcnt lgkmcnt(0)
	ds_write_b32 v7, v12
	s_or_b64 exec, exec, s[4:5]
	v_cmp_gt_u32_e32 vcc, 8, v11
	s_and_saveexec_b64 s[4:5], vcc
	s_cbranch_execz .LBB143_31
.LBB143_44:
	ds_read_b32 v12, v10 offset:32
	s_waitcnt lgkmcnt(0)
	ds_write_b32 v8, v12
	s_or_b64 exec, exec, s[4:5]
	v_cmp_gt_u32_e32 vcc, 12, v11
	s_and_saveexec_b64 s[4:5], vcc
	s_cbranch_execz .LBB143_32
.LBB143_45:
	ds_read_b32 v12, v10 offset:48
	s_waitcnt lgkmcnt(0)
	ds_write_b32 v9, v12
	s_or_b64 exec, exec, s[4:5]
	v_cmp_gt_u32_e32 vcc, 16, v11
	s_and_saveexec_b64 s[4:5], vcc
	s_cbranch_execz .LBB143_33
.LBB143_46:
	ds_read_b32 v12, v10 offset:64
	s_waitcnt lgkmcnt(0)
	ds_write_b32 v1, v12 offset:2048
	s_or_b64 exec, exec, s[4:5]
	v_cmp_gt_u32_e32 vcc, 20, v11
	s_and_saveexec_b64 s[4:5], vcc
	s_cbranch_execz .LBB143_34
.LBB143_47:
	ds_read_b32 v12, v10 offset:80
	s_waitcnt lgkmcnt(0)
	ds_write_b32 v1, v12 offset:2560
	s_or_b64 exec, exec, s[4:5]
	v_cmp_gt_u32_e32 vcc, 24, v11
	s_and_saveexec_b64 s[4:5], vcc
	s_cbranch_execnz .LBB143_35
	s_branch .LBB143_36
	.section	.rodata,"a",@progbits
	.p2align	6, 0x0
	.amdhsa_kernel _ZL50rocblas_symv_kernel_lower_double_buffered_diagonalILi32ELi4E24rocblas_internal_val_ptrIfEPKPKfPKPfEvbiT1_lT2_lllSA_lllS9_lT3_llli
		.amdhsa_group_segment_fixed_size 5248
		.amdhsa_private_segment_fixed_size 0
		.amdhsa_kernarg_size 140
		.amdhsa_user_sgpr_count 2
		.amdhsa_user_sgpr_dispatch_ptr 0
		.amdhsa_user_sgpr_queue_ptr 0
		.amdhsa_user_sgpr_kernarg_segment_ptr 1
		.amdhsa_user_sgpr_dispatch_id 0
		.amdhsa_user_sgpr_kernarg_preload_length 0
		.amdhsa_user_sgpr_kernarg_preload_offset 0
		.amdhsa_user_sgpr_private_segment_size 0
		.amdhsa_uses_dynamic_stack 0
		.amdhsa_enable_private_segment 0
		.amdhsa_system_sgpr_workgroup_id_x 1
		.amdhsa_system_sgpr_workgroup_id_y 0
		.amdhsa_system_sgpr_workgroup_id_z 1
		.amdhsa_system_sgpr_workgroup_info 0
		.amdhsa_system_vgpr_workitem_id 1
		.amdhsa_next_free_vgpr 22
		.amdhsa_next_free_sgpr 29
		.amdhsa_accum_offset 24
		.amdhsa_reserve_vcc 1
		.amdhsa_float_round_mode_32 0
		.amdhsa_float_round_mode_16_64 0
		.amdhsa_float_denorm_mode_32 3
		.amdhsa_float_denorm_mode_16_64 3
		.amdhsa_dx10_clamp 1
		.amdhsa_ieee_mode 1
		.amdhsa_fp16_overflow 0
		.amdhsa_tg_split 0
		.amdhsa_exception_fp_ieee_invalid_op 0
		.amdhsa_exception_fp_denorm_src 0
		.amdhsa_exception_fp_ieee_div_zero 0
		.amdhsa_exception_fp_ieee_overflow 0
		.amdhsa_exception_fp_ieee_underflow 0
		.amdhsa_exception_fp_ieee_inexact 0
		.amdhsa_exception_int_div_zero 0
	.end_amdhsa_kernel
	.section	.text._ZL50rocblas_symv_kernel_lower_double_buffered_diagonalILi32ELi4E24rocblas_internal_val_ptrIfEPKPKfPKPfEvbiT1_lT2_lllSA_lllS9_lT3_llli,"axG",@progbits,_ZL50rocblas_symv_kernel_lower_double_buffered_diagonalILi32ELi4E24rocblas_internal_val_ptrIfEPKPKfPKPfEvbiT1_lT2_lllSA_lllS9_lT3_llli,comdat
.Lfunc_end143:
	.size	_ZL50rocblas_symv_kernel_lower_double_buffered_diagonalILi32ELi4E24rocblas_internal_val_ptrIfEPKPKfPKPfEvbiT1_lT2_lllSA_lllS9_lT3_llli, .Lfunc_end143-_ZL50rocblas_symv_kernel_lower_double_buffered_diagonalILi32ELi4E24rocblas_internal_val_ptrIfEPKPKfPKPfEvbiT1_lT2_lllSA_lllS9_lT3_llli
                                        ; -- End function
	.set _ZL50rocblas_symv_kernel_lower_double_buffered_diagonalILi32ELi4E24rocblas_internal_val_ptrIfEPKPKfPKPfEvbiT1_lT2_lllSA_lllS9_lT3_llli.num_vgpr, 22
	.set _ZL50rocblas_symv_kernel_lower_double_buffered_diagonalILi32ELi4E24rocblas_internal_val_ptrIfEPKPKfPKPfEvbiT1_lT2_lllSA_lllS9_lT3_llli.num_agpr, 0
	.set _ZL50rocblas_symv_kernel_lower_double_buffered_diagonalILi32ELi4E24rocblas_internal_val_ptrIfEPKPKfPKPfEvbiT1_lT2_lllSA_lllS9_lT3_llli.numbered_sgpr, 29
	.set _ZL50rocblas_symv_kernel_lower_double_buffered_diagonalILi32ELi4E24rocblas_internal_val_ptrIfEPKPKfPKPfEvbiT1_lT2_lllSA_lllS9_lT3_llli.num_named_barrier, 0
	.set _ZL50rocblas_symv_kernel_lower_double_buffered_diagonalILi32ELi4E24rocblas_internal_val_ptrIfEPKPKfPKPfEvbiT1_lT2_lllSA_lllS9_lT3_llli.private_seg_size, 0
	.set _ZL50rocblas_symv_kernel_lower_double_buffered_diagonalILi32ELi4E24rocblas_internal_val_ptrIfEPKPKfPKPfEvbiT1_lT2_lllSA_lllS9_lT3_llli.uses_vcc, 1
	.set _ZL50rocblas_symv_kernel_lower_double_buffered_diagonalILi32ELi4E24rocblas_internal_val_ptrIfEPKPKfPKPfEvbiT1_lT2_lllSA_lllS9_lT3_llli.uses_flat_scratch, 0
	.set _ZL50rocblas_symv_kernel_lower_double_buffered_diagonalILi32ELi4E24rocblas_internal_val_ptrIfEPKPKfPKPfEvbiT1_lT2_lllSA_lllS9_lT3_llli.has_dyn_sized_stack, 0
	.set _ZL50rocblas_symv_kernel_lower_double_buffered_diagonalILi32ELi4E24rocblas_internal_val_ptrIfEPKPKfPKPfEvbiT1_lT2_lllSA_lllS9_lT3_llli.has_recursion, 0
	.set _ZL50rocblas_symv_kernel_lower_double_buffered_diagonalILi32ELi4E24rocblas_internal_val_ptrIfEPKPKfPKPfEvbiT1_lT2_lllSA_lllS9_lT3_llli.has_indirect_call, 0
	.section	.AMDGPU.csdata,"",@progbits
; Kernel info:
; codeLenInByte = 1940
; TotalNumSgprs: 35
; NumVgprs: 22
; NumAgprs: 0
; TotalNumVgprs: 22
; ScratchSize: 0
; MemoryBound: 0
; FloatMode: 240
; IeeeMode: 1
; LDSByteSize: 5248 bytes/workgroup (compile time only)
; SGPRBlocks: 4
; VGPRBlocks: 2
; NumSGPRsForWavesPerEU: 35
; NumVGPRsForWavesPerEU: 22
; AccumOffset: 24
; Occupancy: 8
; WaveLimiterHint : 1
; COMPUTE_PGM_RSRC2:SCRATCH_EN: 0
; COMPUTE_PGM_RSRC2:USER_SGPR: 2
; COMPUTE_PGM_RSRC2:TRAP_HANDLER: 0
; COMPUTE_PGM_RSRC2:TGID_X_EN: 1
; COMPUTE_PGM_RSRC2:TGID_Y_EN: 0
; COMPUTE_PGM_RSRC2:TGID_Z_EN: 1
; COMPUTE_PGM_RSRC2:TIDIG_COMP_CNT: 1
; COMPUTE_PGM_RSRC3_GFX90A:ACCUM_OFFSET: 5
; COMPUTE_PGM_RSRC3_GFX90A:TG_SPLIT: 0
	.section	.text._ZL54rocblas_symv_kernel_lower_double_buffered_non_diagonalILi32ELi4ELi4E24rocblas_internal_val_ptrIfEPKPKfPKPfEvbiT2_lT3_lllSA_lllT4_llli,"axG",@progbits,_ZL54rocblas_symv_kernel_lower_double_buffered_non_diagonalILi32ELi4ELi4E24rocblas_internal_val_ptrIfEPKPKfPKPfEvbiT2_lT3_lllSA_lllT4_llli,comdat
	.globl	_ZL54rocblas_symv_kernel_lower_double_buffered_non_diagonalILi32ELi4ELi4E24rocblas_internal_val_ptrIfEPKPKfPKPfEvbiT2_lT3_lllSA_lllT4_llli ; -- Begin function _ZL54rocblas_symv_kernel_lower_double_buffered_non_diagonalILi32ELi4ELi4E24rocblas_internal_val_ptrIfEPKPKfPKPfEvbiT2_lT3_lllSA_lllT4_llli
	.p2align	8
	.type	_ZL54rocblas_symv_kernel_lower_double_buffered_non_diagonalILi32ELi4ELi4E24rocblas_internal_val_ptrIfEPKPKfPKPfEvbiT2_lT3_lllSA_lllT4_llli,@function
_ZL54rocblas_symv_kernel_lower_double_buffered_non_diagonalILi32ELi4ELi4E24rocblas_internal_val_ptrIfEPKPKfPKPfEvbiT2_lT3_lllSA_lllT4_llli: ; @_ZL54rocblas_symv_kernel_lower_double_buffered_non_diagonalILi32ELi4ELi4E24rocblas_internal_val_ptrIfEPKPKfPKPfEvbiT2_lT3_lllSA_lllT4_llli
; %bb.0:
	s_load_dword s5, s[0:1], 0x0
	s_load_dwordx8 s[8:15], s[0:1], 0x8
	s_load_dwordx2 s[16:17], s[0:1], 0x28
	s_waitcnt lgkmcnt(0)
	s_bitcmp0_b32 s5, 0
	s_cbranch_scc0 .LBB144_2
; %bb.1:
	s_mul_i32 s5, s11, s4
	s_mul_hi_u32 s6, s10, s4
	s_add_i32 s7, s6, s5
	s_mul_i32 s6, s10, s4
	s_lshl_b64 s[6:7], s[6:7], 2
	s_add_u32 s6, s8, s6
	s_addc_u32 s7, s9, s7
	s_load_dword s26, s[6:7], 0x0
	s_cbranch_execz .LBB144_3
	s_branch .LBB144_4
.LBB144_2:
                                        ; implicit-def: $sgpr26
.LBB144_3:
	s_waitcnt lgkmcnt(0)
	s_mov_b32 s26, s8
.LBB144_4:
	s_waitcnt lgkmcnt(0)
	v_cmp_eq_f32_e64 s[6:7], s26, 0
	s_and_b64 vcc, exec, s[6:7]
	s_cbranch_vccnz .LBB144_26
; %bb.5:
	s_load_dwordx2 s[6:7], s[0:1], 0x80
	s_waitcnt lgkmcnt(0)
	v_cvt_f32_u32_e32 v1, s7
	s_add_i32 s5, s6, -1
	s_cmp_eq_u32 s2, s5
	v_rcp_iflag_f32_e32 v1, v1
	s_nop 0
	v_mul_f32_e32 v1, 0x4f7ffffe, v1
	v_cvt_u32_f32_e32 v1, v1
	s_nop 0
	v_readfirstlane_b32 s5, v1
	s_cbranch_scc1 .LBB144_26
; %bb.6:
	s_not_b32 s8, s2
	s_add_i32 s6, s6, s8
	s_sub_i32 s8, 0, s7
	s_mul_i32 s8, s8, s5
	s_mul_hi_u32 s8, s5, s8
	s_add_i32 s5, s5, s8
	s_mul_hi_u32 s24, s6, s5
	s_load_dwordx4 s[28:31], s[0:1], 0x38
	s_load_dwordx2 s[8:9], s[0:1], 0x48
	s_mov_b32 s5, 0
	s_lshl_b64 s[4:5], s[4:5], 3
	s_add_u32 s12, s12, s4
	s_addc_u32 s13, s13, s5
	s_load_dwordx2 s[10:11], s[0:1], 0x58
	s_waitcnt lgkmcnt(0)
	s_add_u32 s18, s28, s4
	s_addc_u32 s19, s29, s5
	s_load_dwordx2 s[18:19], s[18:19], 0x0
	v_and_b32_e32 v36, 0x3ff, v0
	s_add_u32 s22, s10, s4
	s_addc_u32 s23, s11, s5
	s_lshl_b64 s[4:5], s[30:31], 2
	s_waitcnt lgkmcnt(0)
	s_add_u32 s10, s18, s4
	s_addc_u32 s11, s19, s5
	s_lshl_b32 s18, s2, 5
	s_ashr_i32 s19, s18, 31
	s_mul_i32 s2, s8, s19
	s_mul_hi_u32 s4, s8, s18
	s_add_i32 s2, s4, s2
	s_mul_i32 s4, s9, s18
	s_add_i32 s5, s2, s4
	s_mul_i32 s4, s8, s18
	s_lshl_b64 s[4:5], s[4:5], 2
	v_bfe_u32 v0, v0, 10, 10
	s_add_u32 s20, s10, s4
	s_addc_u32 s21, s11, s5
	v_cmp_eq_u32_e32 vcc, 0, v0
	s_and_saveexec_b64 s[4:5], vcc
	s_cbranch_execz .LBB144_8
; %bb.7:
	v_mad_u64_u32 v[2:3], s[28:29], s8, v36, 0
	v_mov_b32_e32 v4, v3
	v_mad_u64_u32 v[4:5], s[28:29], s9, v36, v[4:5]
	v_mov_b32_e32 v3, v4
	v_lshl_add_u64 v[2:3], v[2:3], 2, s[20:21]
	flat_load_dword v1, v[2:3]
	v_lshlrev_b32_e32 v2, 2, v36
	s_waitcnt vmcnt(0) lgkmcnt(0)
	ds_write_b32 v2, v1 offset:3072
.LBB144_8:
	s_or_b64 exec, exec, s[4:5]
	s_mul_i32 s2, s24, s7
	s_sub_i32 s2, s6, s2
	s_add_i32 s4, s24, 1
	s_sub_i32 s5, s2, s7
	s_cmp_ge_u32 s2, s7
	s_cselect_b32 s4, s4, s24
	s_cselect_b32 s2, s5, s2
	s_add_i32 s5, s4, 1
	s_cmp_ge_u32 s2, s7
	s_cselect_b32 s2, s5, s4
	s_add_i32 s4, s7, -1
	s_cmp_lg_u32 s3, s4
	s_mov_b32 s27, s2
	s_cbranch_scc1 .LBB144_10
; %bb.9:
	s_mul_i32 s4, s2, s7
	s_sub_i32 s4, s6, s4
	s_add_i32 s27, s4, s2
.LBB144_10:
	s_cmp_eq_u32 s27, 0
	s_cbranch_scc1 .LBB144_26
; %bb.11:
	s_load_dwordx4 s[4:7], s[0:1], 0x60
	s_load_dwordx2 s[24:25], s[22:23], 0x0
	v_lshl_add_u32 v2, v0, 5, v36
	v_and_b32_e32 v6, 15, v36
	v_lshrrev_b32_e32 v37, 4, v2
	s_waitcnt lgkmcnt(0)
	s_lshl_b64 s[0:1], s[4:5], 2
	s_mul_i32 s4, s6, s19
	s_mul_hi_u32 s5, s6, s18
	s_add_u32 s22, s24, s0
	s_addc_u32 s23, s25, s1
	s_add_i32 s0, s5, s4
	s_mul_i32 s1, s7, s18
	s_add_i32 s1, s0, s1
	s_mul_i32 s0, s6, s18
	s_lshl_b64 s[0:1], s[0:1], 2
	s_add_u32 s0, s22, s0
	s_addc_u32 s1, s23, s1
	s_cmp_lt_i32 s27, 1
	s_barrier
	s_cbranch_scc1 .LBB144_18
; %bb.12:
	s_load_dwordx2 s[4:5], s[12:13], 0x0
	s_mul_i32 s12, s3, s2
	s_lshl_b32 s28, s12, 5
	s_lshl_b64 s[2:3], s[14:15], 2
	s_ashr_i32 s29, s28, 31
	s_waitcnt lgkmcnt(0)
	s_add_u32 s4, s4, s2
	s_addc_u32 s5, s5, s3
	s_add_u32 s2, s16, 1
	s_addc_u32 s3, s17, 0
	s_mul_i32 s12, s2, s19
	s_mul_hi_u32 s13, s2, s18
	s_add_i32 s12, s13, s12
	s_mul_i32 s3, s3, s18
	s_add_i32 s3, s12, s3
	s_mul_i32 s2, s2, s18
	s_lshl_b64 s[2:3], s[2:3], 2
	s_add_u32 s2, s4, s2
	s_addc_u32 s3, s5, s3
	s_lshl_b64 s[24:25], s[28:29], 2
	s_add_u32 s4, s2, s24
	v_lshlrev_b32_e32 v1, 2, v37
	v_mov_b32_e32 v7, 0
	s_addc_u32 s5, s3, s25
	v_mad_u64_u32 v[12:13], s[2:3], s16, v1, v[6:7]
	v_mov_b32_e32 v0, v13
	v_mad_u64_u32 v[0:1], s[2:3], s17, v1, v[0:1]
	v_mov_b32_e32 v13, v0
	v_lshl_add_u64 v[4:5], v[12:13], 2, s[4:5]
	s_lshl_b64 s[12:13], s[16:17], 2
	v_lshl_add_u64 v[8:9], v[4:5], 0, s[12:13]
	v_lshl_add_u64 v[14:15], v[8:9], 0, s[12:13]
	;; [unrolled: 1-line block ×3, first 2 shown]
	flat_load_dword v0, v[4:5] offset:128
	flat_load_dword v1, v[8:9] offset:128
	;; [unrolled: 1-line block ×4, first 2 shown]
	s_mul_i32 s2, s6, s29
	s_mul_hi_u32 s3, s6, s28
	s_add_i32 s2, s3, s2
	s_mul_i32 s3, s7, s28
	s_add_i32 s3, s2, s3
	s_mul_i32 s2, s6, s28
	s_lshl_b64 s[14:15], s[8:9], 7
	s_lshl_b64 s[2:3], s[2:3], 2
	s_add_u32 s22, s0, s2
	s_addc_u32 s23, s1, s3
	s_mul_i32 s2, s8, s29
	s_mul_hi_u32 s3, s8, s28
	s_add_i32 s2, s3, s2
	s_mul_i32 s3, s9, s28
	s_add_i32 s3, s2, s3
	s_mul_i32 s2, s8, s28
	s_lshl_b64 s[2:3], s[2:3], 2
	s_add_u32 s28, s20, s2
	s_addc_u32 s29, s21, s3
	v_mov_b32_e32 v4, 0xc00
	v_mad_u64_u32 v[8:9], s[20:21], s6, v36, 0
	v_lshl_add_u32 v41, v37, 4, v4
	v_mov_b32_e32 v4, v9
	v_mov_b32_e32 v3, 0x800
	s_lshl_b64 s[2:3], s[6:7], 7
	v_mad_u64_u32 v[4:5], s[20:21], s7, v36, v[4:5]
	v_lshl_or_b32 v39, v6, 2, v3
	v_lshlrev_b32_e32 v40, 7, v37
	v_lshl_add_u32 v38, v36, 2, v3
	v_mov_b32_e32 v9, v4
	s_cmp_eq_u32 s27, 1
	s_cbranch_scc1 .LBB144_19
; %bb.13:
	s_lshl_b64 s[18:19], s[18:19], 2
	s_add_u32 s18, s24, s18
	s_addc_u32 s19, s25, s19
	s_mul_i32 s20, s8, s19
	s_mul_hi_u32 s21, s8, s18
	s_add_i32 s20, s21, s20
	s_mul_i32 s21, s9, s18
	v_lshlrev_b32_e32 v16, 2, v6
	v_mov_b32_e32 v17, 0
	s_add_i32 s20, s20, s21
	s_mul_i32 s21, s8, s18
	v_lshl_add_u64 v[4:5], s[18:19], 0, v[16:17]
	s_mov_b64 s[18:19], 0xc0
	v_lshl_add_u64 v[14:15], v[4:5], 0, s[18:19]
	v_mad_u64_u32 v[20:21], s[18:19], s8, v14, 0
	s_mov_b64 s[18:19], 0x80
	v_mul_lo_u32 v3, s9, v14
	v_mul_lo_u32 v7, s8, v15
	v_lshl_add_u64 v[4:5], v[4:5], 0, s[18:19]
	v_add3_u32 v21, v21, v7, v3
	v_mul_lo_u32 v3, s9, v4
	v_mul_lo_u32 v5, s8, v5
	v_mad_u64_u32 v[22:23], s[18:19], s8, v4, 0
	v_add3_u32 v23, v23, v5, v3
	v_mad_u64_u32 v[4:5], s[18:19], s16, v37, 0
	v_mov_b32_e32 v14, v5
	v_mad_u64_u32 v[14:15], s[18:19], s17, v37, v[14:15]
	v_mov_b32_e32 v5, v14
	v_lshl_add_u64 v[24:25], v[4:5], 4, v[16:17]
	v_and_b32_e32 v4, 0xfff0, v2
	v_or_b32_e32 v3, 8, v4
	v_mad_u64_u32 v[26:27], s[18:19], s16, v3, v[16:17]
	v_mov_b32_e32 v2, v27
	v_mad_u64_u32 v[2:3], s[18:19], s17, v3, v[2:3]
	v_or_b32_e32 v3, 12, v4
	v_mad_u64_u32 v[28:29], s[18:19], s16, v3, v[16:17]
	v_mov_b32_e32 v27, v2
	v_mov_b32_e32 v2, v29
	v_mad_u64_u32 v[2:3], s[18:19], s17, v3, v[2:3]
	v_or_b32_e32 v3, 4, v4
	v_mad_u64_u32 v[30:31], s[18:19], s16, v3, v[16:17]
	v_mov_b32_e32 v29, v2
	v_mov_b32_e32 v2, v31
	v_mad_u64_u32 v[2:3], s[18:19], s17, v3, v[2:3]
	s_add_i32 s24, s27, -1
	v_mov_b32_e32 v31, v2
	v_mov_b64_e32 v[14:15], s[22:23]
	v_mov_b32_e32 v16, v17
	v_mov_b32_e32 v18, v17
	;; [unrolled: 1-line block ×3, first 2 shown]
.LBB144_14:                             ; =>This Inner Loop Header: Depth=1
	v_lshl_add_u64 v[48:49], s[4:5], 0, v[24:25]
	v_lshl_add_u64 v[44:45], s[10:11], 0, v[22:23]
	v_lshl_add_u64 v[46:47], s[10:11], 0, v[20:21]
	v_lshl_add_u64 v[50:51], s[4:5], 0, v[30:31]
	v_lshl_add_u64 v[52:53], s[4:5], 0, v[26:27]
	v_lshl_add_u64 v[54:55], s[4:5], 0, v[28:29]
	flat_load_dword v32, v[48:49] offset:192
	flat_load_dword v33, v[50:51] offset:192
	;; [unrolled: 1-line block ×4, first 2 shown]
	flat_load_dword v34, v[44:45]
	flat_load_dword v4, v[46:47]
	flat_load_dword v5, v[54:55] offset:256
	flat_load_dword v7, v[52:53] offset:256
	;; [unrolled: 1-line block ×4, first 2 shown]
	ds_read_b128 v[44:47], v41
	v_add_u32_e32 v43, v39, v40
	s_waitcnt lgkmcnt(0)
	s_barrier
	s_waitcnt vmcnt(0)
	v_fma_f32 v48, v0, v44, 0
	v_fmac_f32_e32 v48, v1, v45
	v_fmac_f32_e32 v48, v35, v46
	;; [unrolled: 1-line block ×3, first 2 shown]
	v_fma_f32 v44, v32, v44, 0
	v_fmac_f32_e32 v44, v33, v45
	v_fmac_f32_e32 v44, v42, v46
	;; [unrolled: 1-line block ×3, first 2 shown]
	ds_write2_b32 v43, v48, v44 offset1:16
	s_waitcnt lgkmcnt(0)
	s_barrier
	s_and_saveexec_b64 s[18:19], vcc
	s_cbranch_execz .LBB144_16
; %bb.15:                               ;   in Loop: Header=BB144_14 Depth=1
	ds_read2_b32 v[44:45], v38 offset1:32
	ds_read2_b32 v[46:47], v38 offset0:64 offset1:96
	ds_read2_b32 v[48:49], v38 offset0:128 offset1:160
	;; [unrolled: 1-line block ×3, first 2 shown]
	v_lshl_add_u64 v[14:15], v[14:15], 0, s[2:3]
	s_waitcnt lgkmcnt(3)
	v_add_f32_e32 v43, 0, v44
	v_add_f32_e32 v43, v43, v45
	s_waitcnt lgkmcnt(2)
	v_add_f32_e32 v43, v43, v46
	v_add_f32_e32 v43, v43, v47
	;; [unrolled: 3-line block ×4, first 2 shown]
	v_lshl_add_u64 v[44:45], v[8:9], 2, v[14:15]
	v_mul_f32_e32 v43, s26, v43
	flat_atomic_add_f32 v[44:45], v43
.LBB144_16:                             ;   in Loop: Header=BB144_14 Depth=1
	s_or_b64 exec, exec, s[18:19]
	s_add_u32 s10, s10, s14
	s_addc_u32 s11, s11, s15
	s_add_i32 s24, s24, -1
	v_mul_f32_e32 v44, v34, v35
	v_mov_b32_e32 v35, v4
	s_add_u32 s4, s4, 0x80
	v_pk_mul_f32 v[10:11], v[34:35], v[10:11]
	s_addc_u32 s5, s5, 0
	v_mov_b32_e32 v45, v10
	s_add_u32 s28, s10, s21
	v_mul_f32_e32 v42, v4, v42
	v_mov_b32_e32 v43, v11
	v_pk_fma_f32 v[0:1], v[34:35], v[0:1], v[16:17] op_sel_hi:[0,1,1]
	v_pk_add_f32 v[10:11], v[18:19], v[44:45]
	s_addc_u32 s29, s11, s20
	v_pk_add_f32 v[18:19], v[10:11], v[42:43]
	s_cmp_eq_u32 s24, 0
	v_pk_fma_f32 v[16:17], v[4:5], v[32:33], v[0:1] op_sel_hi:[0,1,1]
	s_cbranch_scc1 .LBB144_20
; %bb.17:                               ;   in Loop: Header=BB144_14 Depth=1
	v_mov_b32_e32 v0, v2
	v_mov_b32_e32 v1, v3
	;; [unrolled: 1-line block ×4, first 2 shown]
	s_branch .LBB144_14
.LBB144_18:
	v_mov_b32_e32 v1, 0
	v_mov_b32_e32 v0, v1
	;; [unrolled: 1-line block ×4, first 2 shown]
	s_branch .LBB144_24
.LBB144_19:
	s_waitcnt vmcnt(0) lgkmcnt(0)
	v_mov_b32_e32 v3, v10
	v_mov_b64_e32 v[4:5], v[2:3]
	v_mov_b64_e32 v[14:15], s[22:23]
	v_mov_b32_e32 v18, v7
	v_mov_b32_e32 v17, v7
	;; [unrolled: 1-line block ×3, first 2 shown]
	v_mov_b64_e32 v[2:3], v[0:1]
	s_branch .LBB144_21
.LBB144_20:
	v_mov_b32_e32 v10, v5
	v_mov_b32_e32 v35, v7
	;; [unrolled: 1-line block ×5, first 2 shown]
.LBB144_21:
	v_mad_u64_u32 v[20:21], s[10:11], s8, v6, 0
	v_mov_b32_e32 v4, v21
	v_mad_u64_u32 v[22:23], s[10:11], s9, v6, v[4:5]
	v_or_b32_e32 v11, 16, v6
	v_mov_b32_e32 v21, v22
	v_mad_u64_u32 v[22:23], s[10:11], s8, v11, 0
	s_add_u32 s10, s28, s14
	s_addc_u32 s11, s29, s15
	v_lshl_add_u64 v[20:21], v[20:21], 2, s[10:11]
	v_lshl_add_u64 v[12:13], v[12:13], 2, s[4:5]
	flat_load_dword v24, v[20:21]
	v_lshl_add_u64 v[20:21], s[16:17], 2, v[12:13]
	v_mov_b32_e32 v4, v23
	v_lshl_add_u64 v[26:27], v[20:21], 0, s[12:13]
	v_lshl_add_u64 v[28:29], v[26:27], 0, s[12:13]
	flat_load_dword v30, v[12:13] offset:192
	flat_load_dword v31, v[20:21] offset:192
	;; [unrolled: 1-line block ×4, first 2 shown]
	v_mad_u64_u32 v[12:13], s[4:5], s9, v11, v[4:5]
	v_mov_b32_e32 v23, v12
	v_lshl_add_u64 v[12:13], v[22:23], 2, s[10:11]
	flat_load_dword v4, v[12:13]
	ds_read_b128 v[20:23], v41
	v_mov_b32_e32 v19, v7
	v_mov_b32_e32 v32, v5
	v_add_u32_e32 v5, v39, v40
	s_waitcnt lgkmcnt(0)
	v_fma_f32 v7, v0, v20, 0
	v_fmac_f32_e32 v7, v1, v21
	v_fmac_f32_e32 v7, v35, v22
	;; [unrolled: 1-line block ×3, first 2 shown]
	s_barrier
	s_waitcnt vmcnt(0)
	v_mul_f32_e32 v0, v24, v35
	v_fma_f32 v1, v30, v20, 0
	v_fmac_f32_e32 v1, v31, v21
	v_fmac_f32_e32 v1, v25, v22
	;; [unrolled: 1-line block ×3, first 2 shown]
	ds_write2_b32 v5, v7, v1 offset1:16
	s_waitcnt lgkmcnt(0)
	s_barrier
	v_mul_f32_e32 v10, v4, v25
	v_mov_b32_e32 v25, v4
	v_pk_mul_f32 v[12:13], v[24:25], v[32:33]
	v_pk_fma_f32 v[2:3], v[24:25], v[2:3], v[16:17] op_sel_hi:[0,1,1]
	v_mov_b32_e32 v1, v12
	v_mov_b32_e32 v11, v13
	v_pk_add_f32 v[0:1], v[18:19], v[0:1]
	v_pk_fma_f32 v[2:3], v[4:5], v[30:31], v[2:3] op_sel_hi:[0,1,1]
	v_pk_add_f32 v[0:1], v[0:1], v[10:11]
	s_and_saveexec_b64 s[4:5], vcc
	s_cbranch_execz .LBB144_23
; %bb.22:
	ds_read2_b32 v[4:5], v38 offset1:32
	ds_read2_b32 v[10:11], v38 offset0:64 offset1:96
	ds_read2_b32 v[12:13], v38 offset0:128 offset1:160
	;; [unrolled: 1-line block ×3, first 2 shown]
	v_lshl_add_u64 v[14:15], v[14:15], 0, s[2:3]
	s_waitcnt lgkmcnt(3)
	v_add_f32_e32 v4, 0, v4
	v_add_f32_e32 v4, v4, v5
	s_waitcnt lgkmcnt(2)
	v_add_f32_e32 v4, v4, v10
	v_add_f32_e32 v4, v4, v11
	;; [unrolled: 3-line block ×4, first 2 shown]
	v_lshl_add_u64 v[4:5], v[8:9], 2, v[14:15]
	v_mul_f32_e32 v7, s26, v7
	flat_atomic_add_f32 v[4:5], v7
.LBB144_23:
	s_or_b64 exec, exec, s[4:5]
.LBB144_24:
	v_lshlrev_b32_e32 v4, 8, v37
	v_lshl_or_b32 v4, v6, 2, v4
	ds_write2_b32 v4, v2, v3 offset1:16
	ds_write2_b32 v4, v0, v1 offset0:32 offset1:48
	s_waitcnt lgkmcnt(0)
	s_barrier
	s_and_saveexec_b64 s[2:3], vcc
	s_cbranch_execz .LBB144_26
; %bb.25:
	v_add_u32_e32 v2, 1, v36
	v_add_u32_e32 v3, 2, v36
	;; [unrolled: 1-line block ×7, first 2 shown]
	v_lshlrev_b32_e32 v0, 6, v36
	v_and_b32_e32 v2, 15, v2
	v_and_b32_e32 v3, 15, v3
	;; [unrolled: 1-line block ×7, first 2 shown]
	v_lshl_or_b32 v1, v6, 2, v0
	v_lshl_or_b32 v2, v2, 2, v0
	;; [unrolled: 1-line block ×8, first 2 shown]
	ds_read_b32 v1, v1
	ds_read_b32 v2, v2
	;; [unrolled: 1-line block ×8, first 2 shown]
	s_waitcnt lgkmcnt(0)
	v_add_f32_e32 v1, 0, v1
	v_add_f32_e32 v1, v1, v2
	;; [unrolled: 1-line block ×8, first 2 shown]
	v_xor_b32_e32 v2, 8, v6
	v_add_u32_e32 v3, 9, v36
	v_add_u32_e32 v4, 10, v36
	v_add_u32_e32 v5, 11, v36
	v_add_u32_e32 v6, 12, v36
	v_add_u32_e32 v7, 13, v36
	v_add_u32_e32 v8, 14, v36
	v_add_u32_e32 v9, -1, v36
	v_and_b32_e32 v3, 15, v3
	v_and_b32_e32 v4, 15, v4
	v_and_b32_e32 v5, 15, v5
	v_and_b32_e32 v6, 15, v6
	v_and_b32_e32 v7, 15, v7
	v_and_b32_e32 v8, 15, v8
	v_and_b32_e32 v9, 15, v9
	v_lshl_or_b32 v2, v2, 2, v0
	v_lshl_or_b32 v3, v3, 2, v0
	;; [unrolled: 1-line block ×8, first 2 shown]
	ds_read_b32 v2, v2
	ds_read_b32 v3, v3
	;; [unrolled: 1-line block ×8, first 2 shown]
	s_waitcnt lgkmcnt(0)
	v_add_f32_e32 v1, v1, v2
	v_add_f32_e32 v1, v1, v3
	;; [unrolled: 1-line block ×8, first 2 shown]
	v_mad_u64_u32 v[0:1], s[2:3], s6, v36, 0
	v_mov_b32_e32 v2, v1
	v_mad_u64_u32 v[2:3], s[2:3], s7, v36, v[2:3]
	v_mov_b32_e32 v1, v2
	v_lshl_add_u64 v[0:1], v[0:1], 2, s[0:1]
	v_mul_f32_e32 v2, s26, v4
	flat_atomic_add_f32 v[0:1], v2
.LBB144_26:
	s_endpgm
	.section	.rodata,"a",@progbits
	.p2align	6, 0x0
	.amdhsa_kernel _ZL54rocblas_symv_kernel_lower_double_buffered_non_diagonalILi32ELi4ELi4E24rocblas_internal_val_ptrIfEPKPKfPKPfEvbiT2_lT3_lllSA_lllT4_llli
		.amdhsa_group_segment_fixed_size 3200
		.amdhsa_private_segment_fixed_size 0
		.amdhsa_kernarg_size 384
		.amdhsa_user_sgpr_count 2
		.amdhsa_user_sgpr_dispatch_ptr 0
		.amdhsa_user_sgpr_queue_ptr 0
		.amdhsa_user_sgpr_kernarg_segment_ptr 1
		.amdhsa_user_sgpr_dispatch_id 0
		.amdhsa_user_sgpr_kernarg_preload_length 0
		.amdhsa_user_sgpr_kernarg_preload_offset 0
		.amdhsa_user_sgpr_private_segment_size 0
		.amdhsa_uses_dynamic_stack 0
		.amdhsa_enable_private_segment 0
		.amdhsa_system_sgpr_workgroup_id_x 1
		.amdhsa_system_sgpr_workgroup_id_y 1
		.amdhsa_system_sgpr_workgroup_id_z 1
		.amdhsa_system_sgpr_workgroup_info 0
		.amdhsa_system_vgpr_workitem_id 1
		.amdhsa_next_free_vgpr 56
		.amdhsa_next_free_sgpr 32
		.amdhsa_accum_offset 56
		.amdhsa_reserve_vcc 1
		.amdhsa_float_round_mode_32 0
		.amdhsa_float_round_mode_16_64 0
		.amdhsa_float_denorm_mode_32 3
		.amdhsa_float_denorm_mode_16_64 3
		.amdhsa_dx10_clamp 1
		.amdhsa_ieee_mode 1
		.amdhsa_fp16_overflow 0
		.amdhsa_tg_split 0
		.amdhsa_exception_fp_ieee_invalid_op 0
		.amdhsa_exception_fp_denorm_src 0
		.amdhsa_exception_fp_ieee_div_zero 0
		.amdhsa_exception_fp_ieee_overflow 0
		.amdhsa_exception_fp_ieee_underflow 0
		.amdhsa_exception_fp_ieee_inexact 0
		.amdhsa_exception_int_div_zero 0
	.end_amdhsa_kernel
	.section	.text._ZL54rocblas_symv_kernel_lower_double_buffered_non_diagonalILi32ELi4ELi4E24rocblas_internal_val_ptrIfEPKPKfPKPfEvbiT2_lT3_lllSA_lllT4_llli,"axG",@progbits,_ZL54rocblas_symv_kernel_lower_double_buffered_non_diagonalILi32ELi4ELi4E24rocblas_internal_val_ptrIfEPKPKfPKPfEvbiT2_lT3_lllSA_lllT4_llli,comdat
.Lfunc_end144:
	.size	_ZL54rocblas_symv_kernel_lower_double_buffered_non_diagonalILi32ELi4ELi4E24rocblas_internal_val_ptrIfEPKPKfPKPfEvbiT2_lT3_lllSA_lllT4_llli, .Lfunc_end144-_ZL54rocblas_symv_kernel_lower_double_buffered_non_diagonalILi32ELi4ELi4E24rocblas_internal_val_ptrIfEPKPKfPKPfEvbiT2_lT3_lllSA_lllT4_llli
                                        ; -- End function
	.set _ZL54rocblas_symv_kernel_lower_double_buffered_non_diagonalILi32ELi4ELi4E24rocblas_internal_val_ptrIfEPKPKfPKPfEvbiT2_lT3_lllSA_lllT4_llli.num_vgpr, 56
	.set _ZL54rocblas_symv_kernel_lower_double_buffered_non_diagonalILi32ELi4ELi4E24rocblas_internal_val_ptrIfEPKPKfPKPfEvbiT2_lT3_lllSA_lllT4_llli.num_agpr, 0
	.set _ZL54rocblas_symv_kernel_lower_double_buffered_non_diagonalILi32ELi4ELi4E24rocblas_internal_val_ptrIfEPKPKfPKPfEvbiT2_lT3_lllSA_lllT4_llli.numbered_sgpr, 32
	.set _ZL54rocblas_symv_kernel_lower_double_buffered_non_diagonalILi32ELi4ELi4E24rocblas_internal_val_ptrIfEPKPKfPKPfEvbiT2_lT3_lllSA_lllT4_llli.num_named_barrier, 0
	.set _ZL54rocblas_symv_kernel_lower_double_buffered_non_diagonalILi32ELi4ELi4E24rocblas_internal_val_ptrIfEPKPKfPKPfEvbiT2_lT3_lllSA_lllT4_llli.private_seg_size, 0
	.set _ZL54rocblas_symv_kernel_lower_double_buffered_non_diagonalILi32ELi4ELi4E24rocblas_internal_val_ptrIfEPKPKfPKPfEvbiT2_lT3_lllSA_lllT4_llli.uses_vcc, 1
	.set _ZL54rocblas_symv_kernel_lower_double_buffered_non_diagonalILi32ELi4ELi4E24rocblas_internal_val_ptrIfEPKPKfPKPfEvbiT2_lT3_lllSA_lllT4_llli.uses_flat_scratch, 0
	.set _ZL54rocblas_symv_kernel_lower_double_buffered_non_diagonalILi32ELi4ELi4E24rocblas_internal_val_ptrIfEPKPKfPKPfEvbiT2_lT3_lllSA_lllT4_llli.has_dyn_sized_stack, 0
	.set _ZL54rocblas_symv_kernel_lower_double_buffered_non_diagonalILi32ELi4ELi4E24rocblas_internal_val_ptrIfEPKPKfPKPfEvbiT2_lT3_lllSA_lllT4_llli.has_recursion, 0
	.set _ZL54rocblas_symv_kernel_lower_double_buffered_non_diagonalILi32ELi4ELi4E24rocblas_internal_val_ptrIfEPKPKfPKPfEvbiT2_lT3_lllSA_lllT4_llli.has_indirect_call, 0
	.section	.AMDGPU.csdata,"",@progbits
; Kernel info:
; codeLenInByte = 2708
; TotalNumSgprs: 38
; NumVgprs: 56
; NumAgprs: 0
; TotalNumVgprs: 56
; ScratchSize: 0
; MemoryBound: 0
; FloatMode: 240
; IeeeMode: 1
; LDSByteSize: 3200 bytes/workgroup (compile time only)
; SGPRBlocks: 4
; VGPRBlocks: 6
; NumSGPRsForWavesPerEU: 38
; NumVGPRsForWavesPerEU: 56
; AccumOffset: 56
; Occupancy: 8
; WaveLimiterHint : 1
; COMPUTE_PGM_RSRC2:SCRATCH_EN: 0
; COMPUTE_PGM_RSRC2:USER_SGPR: 2
; COMPUTE_PGM_RSRC2:TRAP_HANDLER: 0
; COMPUTE_PGM_RSRC2:TGID_X_EN: 1
; COMPUTE_PGM_RSRC2:TGID_Y_EN: 1
; COMPUTE_PGM_RSRC2:TGID_Z_EN: 1
; COMPUTE_PGM_RSRC2:TIDIG_COMP_CNT: 1
; COMPUTE_PGM_RSRC3_GFX90A:ACCUM_OFFSET: 13
; COMPUTE_PGM_RSRC3_GFX90A:TG_SPLIT: 0
	.section	.text._ZL58rocblas_symv_kernel_lower_double_buffered_diagonal_genericILi32ELi4E24rocblas_internal_val_ptrIfEPKPKfPKPfEvbiT1_lT2_lllSA_lllS9_lT3_lllii,"axG",@progbits,_ZL58rocblas_symv_kernel_lower_double_buffered_diagonal_genericILi32ELi4E24rocblas_internal_val_ptrIfEPKPKfPKPfEvbiT1_lT2_lllSA_lllS9_lT3_lllii,comdat
	.globl	_ZL58rocblas_symv_kernel_lower_double_buffered_diagonal_genericILi32ELi4E24rocblas_internal_val_ptrIfEPKPKfPKPfEvbiT1_lT2_lllSA_lllS9_lT3_lllii ; -- Begin function _ZL58rocblas_symv_kernel_lower_double_buffered_diagonal_genericILi32ELi4E24rocblas_internal_val_ptrIfEPKPKfPKPfEvbiT1_lT2_lllSA_lllS9_lT3_lllii
	.p2align	8
	.type	_ZL58rocblas_symv_kernel_lower_double_buffered_diagonal_genericILi32ELi4E24rocblas_internal_val_ptrIfEPKPKfPKPfEvbiT1_lT2_lllSA_lllS9_lT3_lllii,@function
_ZL58rocblas_symv_kernel_lower_double_buffered_diagonal_genericILi32ELi4E24rocblas_internal_val_ptrIfEPKPKfPKPfEvbiT1_lT2_lllSA_lllS9_lT3_lllii: ; @_ZL58rocblas_symv_kernel_lower_double_buffered_diagonal_genericILi32ELi4E24rocblas_internal_val_ptrIfEPKPKfPKPfEvbiT1_lT2_lllSA_lllS9_lT3_lllii
; %bb.0:
	s_mov_b32 s18, s3
	s_load_dword s3, s[0:1], 0x0
	s_load_dwordx8 s[4:11], s[0:1], 0x8
	s_load_dwordx2 s[16:17], s[0:1], 0x28
	s_mov_b64 s[22:23], -1
                                        ; implicit-def: $sgpr28
	s_waitcnt lgkmcnt(0)
	s_bitcmp1_b32 s3, 0
	s_cselect_b64 s[12:13], -1, 0
	s_xor_b64 s[20:21], s[12:13], -1
	s_and_b64 vcc, exec, s[20:21]
	s_cbranch_vccnz .LBB145_7
; %bb.1:
	s_load_dwordx4 s[12:15], s[0:1], 0x58
	s_andn2_b64 vcc, exec, s[22:23]
	s_cbranch_vccz .LBB145_8
.LBB145_2:
	s_andn2_b64 vcc, exec, s[20:21]
	s_cbranch_vccnz .LBB145_4
.LBB145_3:
	s_waitcnt lgkmcnt(0)
	s_mul_i32 s3, s15, s18
	s_mul_hi_u32 s4, s14, s18
	s_add_i32 s5, s4, s3
	s_mul_i32 s4, s14, s18
	s_lshl_b64 s[4:5], s[4:5], 2
	s_add_u32 s4, s12, s4
	s_addc_u32 s5, s13, s5
	s_load_dword s12, s[4:5], 0x0
.LBB145_4:
	s_waitcnt lgkmcnt(0)
	v_cmp_eq_f32_e64 s[22:23], s28, 0
	v_cmp_eq_f32_e64 s[4:5], s12, 1.0
	s_and_b64 s[4:5], s[22:23], s[4:5]
	s_and_b64 vcc, exec, s[4:5]
	s_cbranch_vccnz .LBB145_73
; %bb.5:
	v_cmp_neq_f32_e64 s[26:27], s28, 0
	s_mov_b32 s19, 0
	s_and_b64 vcc, exec, s[26:27]
	s_cbranch_vccnz .LBB145_9
; %bb.6:
	s_mov_b64 s[4:5], 0
	s_branch .LBB145_10
.LBB145_7:
	s_mul_i32 s3, s7, s18
	s_mul_hi_u32 s7, s6, s18
	s_add_i32 s7, s7, s3
	s_mul_i32 s6, s6, s18
	s_lshl_b64 s[6:7], s[6:7], 2
	s_add_u32 s6, s4, s6
	s_addc_u32 s7, s5, s7
	s_load_dword s28, s[6:7], 0x0
	s_load_dwordx4 s[12:15], s[0:1], 0x58
	s_cbranch_execnz .LBB145_2
.LBB145_8:
	s_waitcnt lgkmcnt(0)
	s_mov_b32 s28, s4
	s_andn2_b64 vcc, exec, s[20:21]
	s_cbranch_vccz .LBB145_3
	s_branch .LBB145_4
.LBB145_9:
	s_mov_b64 s[4:5], -1
.LBB145_10:
	s_load_dwordx2 s[24:25], s[0:1], 0x68
	s_mov_b64 s[20:21], 0
	s_andn2_b64 vcc, exec, s[4:5]
	s_mov_b64 s[14:15], 0
	s_cbranch_vccnz .LBB145_12
; %bb.11:
	s_lshl_b64 s[4:5], s[18:19], 3
	s_add_u32 s4, s8, s4
	s_addc_u32 s5, s9, s5
	s_load_dwordx2 s[4:5], s[4:5], 0x0
	s_lshl_b64 s[6:7], s[10:11], 2
	s_waitcnt lgkmcnt(0)
	s_add_u32 s14, s4, s6
	s_addc_u32 s15, s5, s7
.LBB145_12:
	s_load_dwordx4 s[4:7], s[0:1], 0x38
	s_load_dwordx2 s[10:11], s[0:1], 0x48
	s_andn2_b64 vcc, exec, s[26:27]
	s_cbranch_vccnz .LBB145_14
; %bb.13:
	s_lshl_b64 s[8:9], s[18:19], 3
	s_waitcnt lgkmcnt(0)
	s_add_u32 s4, s4, s8
	s_addc_u32 s5, s5, s9
	s_load_dwordx2 s[4:5], s[4:5], 0x0
	s_lshl_b64 s[6:7], s[6:7], 2
	s_waitcnt lgkmcnt(0)
	s_add_u32 s20, s4, s6
	s_addc_u32 s21, s5, s7
.LBB145_14:
	s_lshl_b64 s[8:9], s[18:19], 3
	s_waitcnt lgkmcnt(0)
	s_load_dwordx4 s[4:7], s[0:1], 0x70
	s_add_u32 s8, s24, s8
	s_addc_u32 s9, s25, s9
	s_load_dwordx2 s[18:19], s[8:9], 0x0
	s_load_dword s13, s[0:1], 0x88
	v_bfe_u32 v7, v0, 10, 10
	s_waitcnt lgkmcnt(0)
	s_lshl_b64 s[4:5], s[4:5], 2
	v_and_b32_e32 v6, 0x3ff, v0
	s_add_u32 s3, s18, s4
	s_addc_u32 s9, s19, s5
	s_lshl_b32 s24, s2, 5
	s_ashr_i32 s25, s24, 31
	s_mul_i32 s4, s6, s25
	s_mul_hi_u32 s5, s6, s24
	s_add_i32 s4, s5, s4
	s_mul_i32 s5, s7, s24
	s_add_i32 s5, s4, s5
	s_mul_i32 s4, s6, s24
	s_lshl_b64 s[4:5], s[4:5], 2
	s_add_u32 s8, s3, s4
	s_addc_u32 s9, s9, s5
	s_mov_b64 s[18:19], -1
	s_andn2_b64 vcc, exec, s[22:23]
	v_cmp_eq_u32_e64 s[4:5], 0, v7
	s_cbranch_vccnz .LBB145_21
; %bb.15:
	s_and_saveexec_b64 s[18:19], s[4:5]
	s_cbranch_execz .LBB145_20
; %bb.16:
	v_cmp_gt_i32_e64 s[4:5], s13, v6
	v_cmp_le_i32_e32 vcc, s13, v6
	s_and_saveexec_b64 s[22:23], vcc
	s_cbranch_execz .LBB145_18
; %bb.17:
	s_load_dword s3, s[0:1], 0x90
	s_waitcnt lgkmcnt(0)
	s_add_i32 s3, s3, -1
	s_cmp_lt_u32 s2, s3
	s_cselect_b64 s[26:27], -1, 0
	s_andn2_b64 s[4:5], s[4:5], exec
	s_and_b64 s[26:27], s[26:27], exec
	s_or_b64 s[4:5], s[4:5], s[26:27]
.LBB145_18:
	s_or_b64 exec, exec, s[22:23]
	s_and_b64 exec, exec, s[4:5]
	s_cbranch_execz .LBB145_20
; %bb.19:
	v_mad_u64_u32 v[0:1], s[4:5], s6, v6, 0
	v_mov_b32_e32 v2, v1
	v_mad_u64_u32 v[2:3], s[4:5], s7, v6, v[2:3]
	v_mov_b32_e32 v1, v2
	v_lshl_add_u64 v[0:1], v[0:1], 2, s[8:9]
	flat_load_dword v2, v[0:1]
	s_waitcnt vmcnt(0) lgkmcnt(0)
	v_mul_f32_e32 v2, s12, v2
	flat_store_dword v[0:1], v2
.LBB145_20:
	s_or_b64 exec, exec, s[18:19]
	s_mov_b64 s[18:19], 0
.LBB145_21:
	s_andn2_b64 vcc, exec, s[18:19]
	s_cbranch_vccnz .LBB145_73
; %bb.22:
	s_mul_i32 s3, s10, s25
	s_mul_hi_u32 s4, s10, s24
	s_add_i32 s3, s4, s3
	s_mul_i32 s4, s11, s24
	s_add_i32 s5, s3, s4
	s_load_dword s3, s[0:1], 0x90
	s_mul_i32 s4, s10, s24
	s_lshl_b64 s[0:1], s[4:5], 2
	s_add_u32 s4, s20, s0
	s_addc_u32 s5, s21, s1
	s_waitcnt lgkmcnt(0)
	s_add_i32 s3, s3, -1
	s_cmp_lg_u32 s2, s3
	s_cselect_b64 s[2:3], -1, 0
	v_mov_b32_e32 v8, 0
	v_cmp_eq_u32_e64 s[0:1], 0, v7
	s_and_b64 vcc, exec, s[2:3]
	s_cbranch_vccz .LBB145_27
; %bb.23:
	s_and_saveexec_b64 s[18:19], s[0:1]
	s_cbranch_execz .LBB145_26
; %bb.24:
	v_mad_u64_u32 v[0:1], s[20:21], s10, v6, 0
	v_mov_b32_e32 v2, v1
	v_mad_u64_u32 v[2:3], s[20:21], s11, v6, v[2:3]
	v_mov_b32_e32 v1, v2
	v_lshl_add_u64 v[0:1], v[0:1], 2, s[4:5]
	flat_load_dword v0, v[0:1]
	v_cmp_eq_f32_e64 s[20:21], s12, 0
	v_lshlrev_b32_e32 v1, 2, v6
	v_mov_b32_e32 v8, 0
	s_and_b64 vcc, exec, s[20:21]
	s_waitcnt vmcnt(0) lgkmcnt(0)
	ds_write_b32 v1, v0 offset:5120
	s_cbranch_vccnz .LBB145_26
; %bb.25:
	v_mad_u64_u32 v[0:1], s[20:21], s6, v6, 0
	v_mov_b32_e32 v2, v1
	v_mad_u64_u32 v[2:3], s[20:21], s7, v6, v[2:3]
	v_mov_b32_e32 v1, v2
	v_lshl_add_u64 v[0:1], v[0:1], 2, s[8:9]
	flat_load_dword v0, v[0:1]
	s_waitcnt vmcnt(0) lgkmcnt(0)
	v_mul_f32_e32 v8, s12, v0
.LBB145_26:
	s_or_b64 exec, exec, s[18:19]
	s_cbranch_execz .LBB145_28
	s_branch .LBB145_36
.LBB145_27:
                                        ; implicit-def: $vgpr8
.LBB145_28:
	v_mov_b32_e32 v8, 0
	s_and_saveexec_b64 s[18:19], s[0:1]
	s_cbranch_execz .LBB145_35
; %bb.29:
	v_cmp_le_i32_e32 vcc, s13, v6
	s_and_saveexec_b64 s[20:21], vcc
	s_xor_b64 s[20:21], exec, s[20:21]
; %bb.30:
	v_lshlrev_b32_e32 v0, 2, v6
	v_mov_b32_e32 v1, 0
	ds_write_b32 v0, v1 offset:5120
; %bb.31:
	s_or_saveexec_b64 s[20:21], s[20:21]
	v_mov_b32_e32 v8, 0
	s_xor_b64 exec, exec, s[20:21]
	s_cbranch_execz .LBB145_34
; %bb.32:
	v_mad_u64_u32 v[0:1], s[22:23], s10, v6, 0
	v_mov_b32_e32 v2, v1
	v_mad_u64_u32 v[2:3], s[10:11], s11, v6, v[2:3]
	v_mov_b32_e32 v1, v2
	v_lshl_add_u64 v[0:1], v[0:1], 2, s[4:5]
	flat_load_dword v0, v[0:1]
	v_cmp_eq_f32_e64 s[4:5], s12, 0
	v_lshlrev_b32_e32 v1, 2, v6
	v_mov_b32_e32 v8, 0
	s_and_b64 vcc, exec, s[4:5]
	s_waitcnt vmcnt(0) lgkmcnt(0)
	ds_write_b32 v1, v0 offset:5120
	s_cbranch_vccnz .LBB145_34
; %bb.33:
	v_mad_u64_u32 v[0:1], s[4:5], s6, v6, 0
	v_mov_b32_e32 v2, v1
	v_mad_u64_u32 v[2:3], s[4:5], s7, v6, v[2:3]
	v_mov_b32_e32 v1, v2
	v_lshl_add_u64 v[0:1], v[0:1], 2, s[8:9]
	flat_load_dword v0, v[0:1]
	s_waitcnt vmcnt(0) lgkmcnt(0)
	v_mul_f32_e32 v8, s12, v0
.LBB145_34:
	s_or_b64 exec, exec, s[20:21]
.LBB145_35:
	s_or_b64 exec, exec, s[18:19]
.LBB145_36:
	s_add_u32 s4, s16, 1
	s_addc_u32 s5, s17, 0
	s_mul_i32 s10, s4, s25
	s_mul_hi_u32 s11, s4, s24
	s_add_i32 s10, s11, s10
	s_mul_i32 s5, s5, s24
	s_add_i32 s5, s10, s5
	s_mul_i32 s4, s4, s24
	v_mad_u64_u32 v[2:3], s[18:19], s16, v7, 0
	s_lshl_b64 s[4:5], s[4:5], 2
	v_mov_b32_e32 v1, 0
	v_mov_b32_e32 v0, v3
	s_add_u32 s10, s14, s4
	v_mad_u64_u32 v[4:5], s[18:19], s17, v7, v[0:1]
	s_addc_u32 s11, s15, s5
	v_mov_b32_e32 v3, v4
	v_lshl_add_u64 v[2:3], v[2:3], 2, s[10:11]
	v_lshlrev_b32_e32 v0, 2, v6
	v_lshl_add_u64 v[2:3], v[2:3], 0, v[0:1]
	v_lshlrev_b32_e32 v1, 7, v7
	v_lshlrev_b32_e32 v11, 5, v7
	s_mov_b64 s[10:11], -1
	s_andn2_b64 vcc, exec, s[2:3]
	v_add_u32_e32 v10, v0, v1
	s_cbranch_vccnz .LBB145_38
; %bb.37:
	s_lshl_b64 s[10:11], s[16:17], 4
	v_lshl_add_u64 v[4:5], v[2:3], 0, s[10:11]
	v_lshl_add_u64 v[12:13], v[4:5], 0, s[10:11]
	;; [unrolled: 1-line block ×7, first 2 shown]
	flat_load_dword v9, v[2:3]
	flat_load_dword v24, v[4:5]
	;; [unrolled: 1-line block ×8, first 2 shown]
	s_mov_b64 s[10:11], 0
	s_waitcnt vmcnt(0) lgkmcnt(0)
	ds_write2st64_b32 v10, v9, v24 offset1:2
	ds_write2st64_b32 v10, v25, v26 offset0:4 offset1:6
	ds_write2st64_b32 v10, v27, v28 offset0:8 offset1:10
	;; [unrolled: 1-line block ×3, first 2 shown]
.LBB145_38:
	s_andn2_b64 vcc, exec, s[10:11]
	v_add_u32_e32 v9, v11, v6
	s_cbranch_vccnz .LBB145_52
; %bb.39:
	v_mov_b32_e32 v4, 0
	v_cmp_gt_i32_e32 vcc, s13, v6
	ds_write2st64_b32 v10, v4, v4 offset1:2
	ds_write2st64_b32 v10, v4, v4 offset0:4 offset1:6
	ds_write2st64_b32 v10, v4, v4 offset0:8 offset1:10
	;; [unrolled: 1-line block ×3, first 2 shown]
	s_and_saveexec_b64 s[10:11], vcc
	s_cbranch_execz .LBB145_51
; %bb.40:
	s_cmp_lt_u32 s13, 4
	s_mov_b32 s22, 0
	s_cbranch_scc1 .LBB145_49
; %bb.41:
	s_lshr_b32 s22, s13, 2
	s_cmp_lt_u32 s13, 8
	s_cbranch_scc1 .LBB145_45
; %bb.42:
	s_and_b32 s18, s22, 0x3ffffffe
	v_lshl_add_u32 v4, v11, 2, v0
	s_mov_b32 s19, s16
	s_mov_b32 s20, s17
	;; [unrolled: 1-line block ×5, first 2 shown]
.LBB145_43:                             ; =>This Inner Loop Header: Depth=1
	s_lshl_b32 s25, s23, 2
	s_lshl_b32 s26, s21, 2
	s_mul_i32 s31, s17, s25
	s_mul_hi_u32 s33, s16, s25
	s_mul_i32 s27, s20, s26
	s_mul_hi_u32 s29, s19, s26
	s_mul_i32 s30, s16, s25
	s_add_i32 s31, s33, s31
	s_mul_i32 s26, s19, s26
	s_add_i32 s27, s29, s27
	v_lshl_add_u64 v[12:13], s[30:31], 2, v[2:3]
	v_lshl_add_u64 v[14:15], s[26:27], 2, v[2:3]
	flat_load_dword v5, v[12:13]
	flat_load_dword v16, v[14:15]
	v_lshl_add_u32 v12, s23, 9, v4
	v_lshl_add_u32 v13, s21, 9, v4
	s_add_i32 s23, s23, 2
	s_add_i32 s21, s21, 2
	s_add_i32 s24, s24, -2
	s_cmp_lg_u32 s24, 0
	s_waitcnt vmcnt(0) lgkmcnt(0)
	ds_write_b32 v12, v5
	ds_write_b32 v13, v16
	s_cbranch_scc1 .LBB145_43
; %bb.44:
	s_cmp_lg_u32 s22, s18
	s_cselect_b64 s[20:21], -1, 0
	s_branch .LBB145_46
.LBB145_45:
	s_mov_b64 s[20:21], -1
	s_mov_b32 s18, 0
.LBB145_46:
	s_and_b64 vcc, exec, s[20:21]
	s_cbranch_vccz .LBB145_49
; %bb.47:
	s_lshl_b32 s19, s18, 9
	v_add3_u32 v12, s19, v1, v0
	s_mov_b32 s19, 0
	v_lshlrev_b32_e32 v4, 2, v7
	v_mov_b32_e32 v5, 0
	v_lshl_add_u64 v[14:15], s[18:19], 4, v[4:5]
	v_mov_b64_e32 v[16:17], s[4:5]
	v_mul_lo_u32 v1, s16, v15
	v_mul_lo_u32 v4, s17, v14
	v_mad_u64_u32 v[14:15], s[4:5], s16, v14, v[16:17]
	v_add3_u32 v15, v4, v15, v1
	v_mov_b32_e32 v1, v5
	v_lshl_add_u64 v[4:5], v[14:15], 0, v[0:1]
	s_sub_i32 s20, s22, s18
	v_lshl_add_u64 v[4:5], s[14:15], 0, v[4:5]
	s_lshl_b64 s[4:5], s[16:17], 4
.LBB145_48:                             ; =>This Inner Loop Header: Depth=1
	flat_load_dword v1, v[4:5]
	s_add_i32 s20, s20, -1
	v_lshl_add_u64 v[4:5], v[4:5], 0, s[4:5]
	s_cmp_lg_u32 s20, 0
	s_waitcnt vmcnt(0) lgkmcnt(0)
	ds_write_b32 v12, v1
	v_add_u32_e32 v12, 0x200, v12
	s_cbranch_scc1 .LBB145_48
.LBB145_49:
	s_and_b32 s4, s13, 3
	v_cmp_gt_u32_e32 vcc, s4, v7
	s_and_b64 exec, exec, vcc
	s_cbranch_execz .LBB145_51
; %bb.50:
	s_lshl_b32 s4, s22, 2
	s_mul_i32 s5, s17, s4
	s_mul_hi_u32 s14, s16, s4
	s_add_i32 s5, s14, s5
	s_mul_i32 s4, s16, s4
	v_lshl_add_u64 v[2:3], s[4:5], 2, v[2:3]
	flat_load_dword v1, v[2:3]
	v_lshlrev_b32_e32 v2, 2, v9
	v_lshl_add_u32 v2, s22, 9, v2
	s_waitcnt vmcnt(0) lgkmcnt(0)
	ds_write_b32 v2, v1
.LBB145_51:
	s_or_b64 exec, exec, s[10:11]
.LBB145_52:
	v_cmp_ge_u32_e32 vcc, v6, v7
	v_lshlrev_b32_e32 v2, 7, v6
	s_waitcnt lgkmcnt(0)
	s_barrier
	s_and_saveexec_b64 s[4:5], vcc
	s_xor_b64 s[4:5], exec, s[4:5]
; %bb.53:
	v_lshlrev_b32_e32 v2, 7, v6
                                        ; implicit-def: $vgpr11
; %bb.54:
	s_or_saveexec_b64 s[4:5], s[4:5]
	v_lshlrev_b32_e32 v1, 2, v7
	s_xor_b64 exec, exec, s[4:5]
	s_cbranch_execz .LBB145_56
; %bb.55:
	v_mul_u32_u24_e32 v3, 0x7c, v6
	v_add3_u32 v3, v0, v3, v1
	ds_read_b32 v3, v3
	v_lshl_add_u32 v4, v11, 2, v0
	s_waitcnt lgkmcnt(0)
	ds_write_b32 v4, v3
.LBB145_56:
	s_or_b64 exec, exec, s[4:5]
	v_sub_u32_e32 v3, v6, v7
	v_sub_u32_e32 v4, 0, v3
	v_max_i32_e32 v4, v3, v4
	v_cmp_gt_u32_e32 vcc, 4, v4
	v_lshl_add_u32 v3, v7, 2, v2
	v_lshl_add_u32 v2, v7, 7, v0
	s_and_saveexec_b64 s[4:5], vcc
	s_cbranch_execnz .LBB145_74
; %bb.57:
	s_or_b64 exec, exec, s[4:5]
	v_cmp_gt_u32_e32 vcc, 8, v4
	s_and_saveexec_b64 s[4:5], vcc
	s_cbranch_execnz .LBB145_75
.LBB145_58:
	s_or_b64 exec, exec, s[4:5]
	v_cmp_gt_u32_e32 vcc, 12, v4
	s_and_saveexec_b64 s[4:5], vcc
	s_cbranch_execnz .LBB145_76
.LBB145_59:
	s_or_b64 exec, exec, s[4:5]
	v_cmp_gt_u32_e32 vcc, 16, v4
	s_and_saveexec_b64 s[4:5], vcc
	s_cbranch_execnz .LBB145_77
.LBB145_60:
	s_or_b64 exec, exec, s[4:5]
	v_cmp_gt_u32_e32 vcc, 20, v4
	s_and_saveexec_b64 s[4:5], vcc
	s_cbranch_execnz .LBB145_78
.LBB145_61:
	s_or_b64 exec, exec, s[4:5]
	v_cmp_gt_u32_e32 vcc, 24, v4
	s_and_saveexec_b64 s[4:5], vcc
	s_cbranch_execz .LBB145_63
.LBB145_62:
	ds_read_b32 v5, v3 offset:96
	s_waitcnt lgkmcnt(0)
	ds_write_b32 v10, v5 offset:3072
.LBB145_63:
	s_or_b64 exec, exec, s[4:5]
	v_cmp_lt_u32_e32 vcc, 27, v4
	v_add_u32_e32 v4, 28, v7
                                        ; implicit-def: $vgpr5
	s_and_saveexec_b64 s[4:5], vcc
	s_xor_b64 s[4:5], exec, s[4:5]
; %bb.64:
	v_add_u32_e32 v4, 28, v7
	v_lshlrev_b32_e32 v5, 7, v4
                                        ; implicit-def: $vgpr3
; %bb.65:
	s_andn2_saveexec_b64 s[4:5], s[4:5]
	s_cbranch_execz .LBB145_67
; %bb.66:
	ds_read_b32 v3, v3 offset:112
	v_lshlrev_b32_e32 v5, 7, v4
	v_add_u32_e32 v7, v0, v5
	s_waitcnt lgkmcnt(0)
	ds_write_b32 v7, v3
.LBB145_67:
	s_or_b64 exec, exec, s[4:5]
	s_waitcnt lgkmcnt(0)
	s_barrier
	ds_read2st64_b32 v[16:17], v2 offset0:2 offset1:4
	ds_read_b32 v10, v10
	v_add_u32_e32 v7, 0x1400, v1
	ds_read2_b32 v[12:13], v7 offset1:4
	ds_read2_b32 v[14:15], v7 offset0:8 offset1:12
	ds_read2st64_b32 v[18:19], v2 offset0:6 offset1:8
	v_add_u32_e32 v3, v0, v5
	s_waitcnt lgkmcnt(0)
	v_mov_b32_e32 v11, v16
	v_lshlrev_b32_e32 v5, 2, v4
	v_pk_mul_f32 v[10:11], v[10:11], v[12:13]
	ds_read_b32 v4, v1 offset:5216
	ds_read_b32 v3, v3
	ds_read_b32 v5, v5 offset:5120
	v_add_f32_e32 v1, 0, v10
	v_add_f32_e32 v1, v1, v11
	v_mov_b32_e32 v10, v17
	v_mov_b32_e32 v11, v18
	v_pk_mul_f32 v[10:11], v[10:11], v[14:15]
	ds_read2st64_b32 v[14:15], v2 offset0:10 offset1:12
	ds_read2_b32 v[12:13], v7 offset0:16 offset1:20
	v_add_f32_e32 v1, v1, v10
	v_add_f32_e32 v1, v1, v11
	v_mov_b32_e32 v10, v19
	s_waitcnt lgkmcnt(0)
	v_mov_b32_e32 v11, v14
	v_pk_mul_f32 v[10:11], v[10:11], v[12:13]
	v_mov_b32_e32 v2, v15
	v_add_f32_e32 v1, v1, v10
	v_add_f32_e32 v1, v1, v11
	v_pk_mul_f32 v[2:3], v[2:3], v[4:5]
	s_nop 0
	v_add_f32_e32 v1, v1, v2
	v_add_f32_e32 v1, v1, v3
	v_lshlrev_b32_e32 v2, 2, v9
	ds_write_b32 v2, v1 offset:4096
	s_waitcnt lgkmcnt(0)
	s_barrier
	s_and_saveexec_b64 s[4:5], s[0:1]
	s_cbranch_execz .LBB145_73
; %bb.68:
	v_add_u32_e32 v2, 0x1000, v0
	ds_read2_b32 v[0:1], v2 offset1:32
	ds_read2_b32 v[2:3], v2 offset0:64 offset1:96
	v_cmp_neq_f32_e64 vcc, s12, 0
	s_mov_b64 s[0:1], -1
	s_waitcnt lgkmcnt(0)
	v_add_f32_e32 v0, 0, v0
	v_add_f32_e32 v0, v0, v1
	;; [unrolled: 1-line block ×4, first 2 shown]
	v_mul_f32_e32 v1, s28, v0
	v_fmac_f32_e32 v8, s28, v0
	v_cndmask_b32_e32 v0, v1, v8, vcc
	s_and_b64 vcc, exec, s[2:3]
	s_cbranch_vccz .LBB145_70
; %bb.69:
	v_mad_u64_u32 v[2:3], s[0:1], s6, v6, 0
	v_mov_b32_e32 v4, v3
	v_mad_u64_u32 v[4:5], s[0:1], s7, v6, v[4:5]
	v_mov_b32_e32 v3, v4
	v_lshl_add_u64 v[2:3], v[2:3], 2, s[8:9]
	flat_store_dword v[2:3], v0
	s_mov_b64 s[0:1], 0
.LBB145_70:
	s_andn2_b64 vcc, exec, s[0:1]
	s_cbranch_vccnz .LBB145_73
; %bb.71:
	v_cmp_gt_i32_e32 vcc, s13, v6
	s_and_b64 exec, exec, vcc
	s_cbranch_execz .LBB145_73
; %bb.72:
	v_mad_u64_u32 v[2:3], s[0:1], s6, v6, 0
	v_mov_b32_e32 v4, v3
	v_mad_u64_u32 v[4:5], s[0:1], s7, v6, v[4:5]
	v_mov_b32_e32 v3, v4
	v_lshl_add_u64 v[2:3], v[2:3], 2, s[8:9]
	flat_store_dword v[2:3], v0
.LBB145_73:
	s_endpgm
.LBB145_74:
	ds_read_b32 v5, v3 offset:16
	s_waitcnt lgkmcnt(0)
	ds_write_b32 v2, v5 offset:512
	s_or_b64 exec, exec, s[4:5]
	v_cmp_gt_u32_e32 vcc, 8, v4
	s_and_saveexec_b64 s[4:5], vcc
	s_cbranch_execz .LBB145_58
.LBB145_75:
	ds_read_b32 v5, v3 offset:32
	s_waitcnt lgkmcnt(0)
	ds_write_b32 v2, v5 offset:1024
	s_or_b64 exec, exec, s[4:5]
	v_cmp_gt_u32_e32 vcc, 12, v4
	s_and_saveexec_b64 s[4:5], vcc
	s_cbranch_execz .LBB145_59
.LBB145_76:
	ds_read_b32 v5, v3 offset:48
	s_waitcnt lgkmcnt(0)
	ds_write_b32 v2, v5 offset:1536
	s_or_b64 exec, exec, s[4:5]
	v_cmp_gt_u32_e32 vcc, 16, v4
	s_and_saveexec_b64 s[4:5], vcc
	s_cbranch_execz .LBB145_60
.LBB145_77:
	ds_read_b32 v5, v3 offset:64
	s_waitcnt lgkmcnt(0)
	ds_write_b32 v10, v5 offset:2048
	s_or_b64 exec, exec, s[4:5]
	v_cmp_gt_u32_e32 vcc, 20, v4
	s_and_saveexec_b64 s[4:5], vcc
	s_cbranch_execz .LBB145_61
.LBB145_78:
	ds_read_b32 v5, v3 offset:80
	s_waitcnt lgkmcnt(0)
	ds_write_b32 v10, v5 offset:2560
	s_or_b64 exec, exec, s[4:5]
	v_cmp_gt_u32_e32 vcc, 24, v4
	s_and_saveexec_b64 s[4:5], vcc
	s_cbranch_execnz .LBB145_62
	s_branch .LBB145_63
	.section	.rodata,"a",@progbits
	.p2align	6, 0x0
	.amdhsa_kernel _ZL58rocblas_symv_kernel_lower_double_buffered_diagonal_genericILi32ELi4E24rocblas_internal_val_ptrIfEPKPKfPKPfEvbiT1_lT2_lllSA_lllS9_lT3_lllii
		.amdhsa_group_segment_fixed_size 5248
		.amdhsa_private_segment_fixed_size 0
		.amdhsa_kernarg_size 400
		.amdhsa_user_sgpr_count 2
		.amdhsa_user_sgpr_dispatch_ptr 0
		.amdhsa_user_sgpr_queue_ptr 0
		.amdhsa_user_sgpr_kernarg_segment_ptr 1
		.amdhsa_user_sgpr_dispatch_id 0
		.amdhsa_user_sgpr_kernarg_preload_length 0
		.amdhsa_user_sgpr_kernarg_preload_offset 0
		.amdhsa_user_sgpr_private_segment_size 0
		.amdhsa_uses_dynamic_stack 0
		.amdhsa_enable_private_segment 0
		.amdhsa_system_sgpr_workgroup_id_x 1
		.amdhsa_system_sgpr_workgroup_id_y 0
		.amdhsa_system_sgpr_workgroup_id_z 1
		.amdhsa_system_sgpr_workgroup_info 0
		.amdhsa_system_vgpr_workitem_id 1
		.amdhsa_next_free_vgpr 31
		.amdhsa_next_free_sgpr 34
		.amdhsa_accum_offset 32
		.amdhsa_reserve_vcc 1
		.amdhsa_float_round_mode_32 0
		.amdhsa_float_round_mode_16_64 0
		.amdhsa_float_denorm_mode_32 3
		.amdhsa_float_denorm_mode_16_64 3
		.amdhsa_dx10_clamp 1
		.amdhsa_ieee_mode 1
		.amdhsa_fp16_overflow 0
		.amdhsa_tg_split 0
		.amdhsa_exception_fp_ieee_invalid_op 0
		.amdhsa_exception_fp_denorm_src 0
		.amdhsa_exception_fp_ieee_div_zero 0
		.amdhsa_exception_fp_ieee_overflow 0
		.amdhsa_exception_fp_ieee_underflow 0
		.amdhsa_exception_fp_ieee_inexact 0
		.amdhsa_exception_int_div_zero 0
	.end_amdhsa_kernel
	.section	.text._ZL58rocblas_symv_kernel_lower_double_buffered_diagonal_genericILi32ELi4E24rocblas_internal_val_ptrIfEPKPKfPKPfEvbiT1_lT2_lllSA_lllS9_lT3_lllii,"axG",@progbits,_ZL58rocblas_symv_kernel_lower_double_buffered_diagonal_genericILi32ELi4E24rocblas_internal_val_ptrIfEPKPKfPKPfEvbiT1_lT2_lllSA_lllS9_lT3_lllii,comdat
.Lfunc_end145:
	.size	_ZL58rocblas_symv_kernel_lower_double_buffered_diagonal_genericILi32ELi4E24rocblas_internal_val_ptrIfEPKPKfPKPfEvbiT1_lT2_lllSA_lllS9_lT3_lllii, .Lfunc_end145-_ZL58rocblas_symv_kernel_lower_double_buffered_diagonal_genericILi32ELi4E24rocblas_internal_val_ptrIfEPKPKfPKPfEvbiT1_lT2_lllSA_lllS9_lT3_lllii
                                        ; -- End function
	.set _ZL58rocblas_symv_kernel_lower_double_buffered_diagonal_genericILi32ELi4E24rocblas_internal_val_ptrIfEPKPKfPKPfEvbiT1_lT2_lllSA_lllS9_lT3_lllii.num_vgpr, 31
	.set _ZL58rocblas_symv_kernel_lower_double_buffered_diagonal_genericILi32ELi4E24rocblas_internal_val_ptrIfEPKPKfPKPfEvbiT1_lT2_lllSA_lllS9_lT3_lllii.num_agpr, 0
	.set _ZL58rocblas_symv_kernel_lower_double_buffered_diagonal_genericILi32ELi4E24rocblas_internal_val_ptrIfEPKPKfPKPfEvbiT1_lT2_lllSA_lllS9_lT3_lllii.numbered_sgpr, 34
	.set _ZL58rocblas_symv_kernel_lower_double_buffered_diagonal_genericILi32ELi4E24rocblas_internal_val_ptrIfEPKPKfPKPfEvbiT1_lT2_lllSA_lllS9_lT3_lllii.num_named_barrier, 0
	.set _ZL58rocblas_symv_kernel_lower_double_buffered_diagonal_genericILi32ELi4E24rocblas_internal_val_ptrIfEPKPKfPKPfEvbiT1_lT2_lllSA_lllS9_lT3_lllii.private_seg_size, 0
	.set _ZL58rocblas_symv_kernel_lower_double_buffered_diagonal_genericILi32ELi4E24rocblas_internal_val_ptrIfEPKPKfPKPfEvbiT1_lT2_lllSA_lllS9_lT3_lllii.uses_vcc, 1
	.set _ZL58rocblas_symv_kernel_lower_double_buffered_diagonal_genericILi32ELi4E24rocblas_internal_val_ptrIfEPKPKfPKPfEvbiT1_lT2_lllSA_lllS9_lT3_lllii.uses_flat_scratch, 0
	.set _ZL58rocblas_symv_kernel_lower_double_buffered_diagonal_genericILi32ELi4E24rocblas_internal_val_ptrIfEPKPKfPKPfEvbiT1_lT2_lllSA_lllS9_lT3_lllii.has_dyn_sized_stack, 0
	.set _ZL58rocblas_symv_kernel_lower_double_buffered_diagonal_genericILi32ELi4E24rocblas_internal_val_ptrIfEPKPKfPKPfEvbiT1_lT2_lllSA_lllS9_lT3_lllii.has_recursion, 0
	.set _ZL58rocblas_symv_kernel_lower_double_buffered_diagonal_genericILi32ELi4E24rocblas_internal_val_ptrIfEPKPKfPKPfEvbiT1_lT2_lllSA_lllS9_lT3_lllii.has_indirect_call, 0
	.section	.AMDGPU.csdata,"",@progbits
; Kernel info:
; codeLenInByte = 2752
; TotalNumSgprs: 40
; NumVgprs: 31
; NumAgprs: 0
; TotalNumVgprs: 31
; ScratchSize: 0
; MemoryBound: 0
; FloatMode: 240
; IeeeMode: 1
; LDSByteSize: 5248 bytes/workgroup (compile time only)
; SGPRBlocks: 4
; VGPRBlocks: 3
; NumSGPRsForWavesPerEU: 40
; NumVGPRsForWavesPerEU: 31
; AccumOffset: 32
; Occupancy: 8
; WaveLimiterHint : 1
; COMPUTE_PGM_RSRC2:SCRATCH_EN: 0
; COMPUTE_PGM_RSRC2:USER_SGPR: 2
; COMPUTE_PGM_RSRC2:TRAP_HANDLER: 0
; COMPUTE_PGM_RSRC2:TGID_X_EN: 1
; COMPUTE_PGM_RSRC2:TGID_Y_EN: 0
; COMPUTE_PGM_RSRC2:TGID_Z_EN: 1
; COMPUTE_PGM_RSRC2:TIDIG_COMP_CNT: 1
; COMPUTE_PGM_RSRC3_GFX90A:ACCUM_OFFSET: 7
; COMPUTE_PGM_RSRC3_GFX90A:TG_SPLIT: 0
	.section	.text._ZL62rocblas_symv_kernel_lower_double_buffered_non_diagonal_genericILi32ELi4ELi4E24rocblas_internal_val_ptrIfEPKPKfPKPfEvbiT2_lT3_lllSA_lllT4_lllii,"axG",@progbits,_ZL62rocblas_symv_kernel_lower_double_buffered_non_diagonal_genericILi32ELi4ELi4E24rocblas_internal_val_ptrIfEPKPKfPKPfEvbiT2_lT3_lllSA_lllT4_lllii,comdat
	.globl	_ZL62rocblas_symv_kernel_lower_double_buffered_non_diagonal_genericILi32ELi4ELi4E24rocblas_internal_val_ptrIfEPKPKfPKPfEvbiT2_lT3_lllSA_lllT4_lllii ; -- Begin function _ZL62rocblas_symv_kernel_lower_double_buffered_non_diagonal_genericILi32ELi4ELi4E24rocblas_internal_val_ptrIfEPKPKfPKPfEvbiT2_lT3_lllSA_lllT4_lllii
	.p2align	8
	.type	_ZL62rocblas_symv_kernel_lower_double_buffered_non_diagonal_genericILi32ELi4ELi4E24rocblas_internal_val_ptrIfEPKPKfPKPfEvbiT2_lT3_lllSA_lllT4_lllii,@function
_ZL62rocblas_symv_kernel_lower_double_buffered_non_diagonal_genericILi32ELi4ELi4E24rocblas_internal_val_ptrIfEPKPKfPKPfEvbiT2_lT3_lllSA_lllT4_lllii: ; @_ZL62rocblas_symv_kernel_lower_double_buffered_non_diagonal_genericILi32ELi4ELi4E24rocblas_internal_val_ptrIfEPKPKfPKPfEvbiT2_lT3_lllSA_lllT4_lllii
; %bb.0:
	s_load_dword s5, s[0:1], 0x0
	s_load_dwordx8 s[8:15], s[0:1], 0x8
	s_load_dwordx2 s[6:7], s[0:1], 0x28
	s_waitcnt lgkmcnt(0)
	s_bitcmp0_b32 s5, 0
	s_cbranch_scc0 .LBB146_2
; %bb.1:
	s_mul_i32 s5, s11, s4
	s_mul_hi_u32 s11, s10, s4
	s_add_i32 s11, s11, s5
	s_mul_i32 s10, s10, s4
	s_lshl_b64 s[10:11], s[10:11], 2
	s_add_u32 s10, s8, s10
	s_addc_u32 s11, s9, s11
	s_load_dword s33, s[10:11], 0x0
	s_cbranch_execz .LBB146_3
	s_branch .LBB146_4
.LBB146_2:
                                        ; implicit-def: $sgpr33
.LBB146_3:
	s_waitcnt lgkmcnt(0)
	s_mov_b32 s33, s8
.LBB146_4:
	s_waitcnt lgkmcnt(0)
	v_cmp_eq_f32_e64 s[8:9], s33, 0
	s_and_b64 vcc, exec, s[8:9]
	s_cbranch_vccnz .LBB146_36
; %bb.5:
	s_load_dwordx2 s[8:9], s[0:1], 0x80
	s_waitcnt lgkmcnt(0)
	v_cvt_f32_u32_e32 v1, s9
	s_add_i32 s24, s8, -1
	s_cmp_eq_u32 s2, s24
	v_rcp_iflag_f32_e32 v1, v1
	s_nop 0
	v_mul_f32_e32 v1, 0x4f7ffffe, v1
	v_cvt_u32_f32_e32 v1, v1
	s_nop 0
	v_readfirstlane_b32 s5, v1
	s_cbranch_scc1 .LBB146_36
; %bb.6:
	s_not_b32 s16, s2
	s_add_i32 s24, s24, s16
	s_sub_i32 s16, 0, s9
	s_mul_i32 s16, s16, s5
	s_mul_hi_u32 s16, s5, s16
	s_add_i32 s5, s5, s16
	s_mul_hi_u32 s25, s24, s5
	s_load_dwordx4 s[20:23], s[0:1], 0x38
	s_load_dwordx2 s[16:17], s[0:1], 0x48
	s_mov_b32 s5, 0
	s_lshl_b64 s[4:5], s[4:5], 3
	s_add_u32 s18, s12, s4
	s_addc_u32 s19, s13, s5
	s_load_dwordx2 s[10:11], s[0:1], 0x58
	s_waitcnt lgkmcnt(0)
	s_add_u32 s12, s20, s4
	s_addc_u32 s13, s21, s5
	s_load_dwordx2 s[12:13], s[12:13], 0x0
	v_and_b32_e32 v33, 0x3ff, v0
	s_add_u32 s20, s10, s4
	s_addc_u32 s21, s11, s5
	s_lshl_b64 s[4:5], s[22:23], 2
	s_waitcnt lgkmcnt(0)
	s_add_u32 s22, s12, s4
	s_addc_u32 s23, s13, s5
	s_lshl_b32 s28, s2, 5
	s_ashr_i32 s29, s28, 31
	s_mul_i32 s4, s16, s29
	s_mul_hi_u32 s5, s16, s28
	s_add_i32 s4, s5, s4
	s_mul_i32 s5, s17, s28
	s_add_i32 s5, s4, s5
	s_mul_i32 s4, s16, s28
	s_lshl_b64 s[4:5], s[4:5], 2
	v_bfe_u32 v0, v0, 10, 10
	s_add_u32 s10, s22, s4
	s_addc_u32 s11, s23, s5
	v_cmp_eq_u32_e64 s[4:5], 0, v0
	s_and_saveexec_b64 s[12:13], s[4:5]
	s_cbranch_execz .LBB146_8
; %bb.7:
	v_mad_u64_u32 v[2:3], s[26:27], s16, v33, 0
	v_mov_b32_e32 v4, v3
	v_mad_u64_u32 v[4:5], s[26:27], s17, v33, v[4:5]
	v_mov_b32_e32 v3, v4
	v_lshl_add_u64 v[2:3], v[2:3], 2, s[10:11]
	flat_load_dword v1, v[2:3]
	v_lshlrev_b32_e32 v2, 2, v33
	s_waitcnt vmcnt(0) lgkmcnt(0)
	ds_write_b32 v2, v1 offset:3072
.LBB146_8:
	s_or_b64 exec, exec, s[12:13]
	s_mul_i32 s12, s25, s9
	s_sub_i32 s12, s24, s12
	s_add_i32 s13, s25, 1
	s_sub_i32 s26, s12, s9
	s_cmp_ge_u32 s12, s9
	s_cselect_b32 s13, s13, s25
	s_cselect_b32 s12, s26, s12
	s_add_i32 s25, s13, 1
	s_cmp_ge_u32 s12, s9
	s_cselect_b32 s25, s25, s13
	s_add_i32 s26, s9, -1
	s_cmp_eq_u32 s3, s26
	s_cselect_b64 s[12:13], -1, 0
	s_cmp_lg_u32 s3, s26
	s_mov_b32 s34, s25
	s_cbranch_scc1 .LBB146_10
; %bb.9:
	s_mul_i32 s9, s25, s9
	s_sub_i32 s9, s24, s9
	s_add_i32 s34, s9, s25
.LBB146_10:
	s_cmp_lg_u32 s3, s26
	s_cselect_b64 s[26:27], -1, 0
	s_cmp_eq_u32 s34, 0
	s_cselect_b64 s[30:31], -1, 0
	s_and_b64 s[26:27], s[26:27], s[30:31]
	s_and_b64 vcc, exec, s[26:27]
	s_cbranch_vccnz .LBB146_36
; %bb.11:
	s_load_dwordx2 s[30:31], s[18:19], 0x0
	s_load_dwordx2 s[26:27], s[20:21], 0x0
	s_mul_i32 s3, s3, s25
	s_lshl_b32 s24, s3, 5
	s_ashr_i32 s25, s24, 31
	s_lshl_b64 s[14:15], s[14:15], 2
	s_waitcnt lgkmcnt(0)
	s_add_u32 s3, s30, s14
	s_addc_u32 s9, s31, s15
	s_add_u32 s14, s6, 1
	s_addc_u32 s15, s7, 0
	s_mul_i32 s18, s14, s29
	s_mul_hi_u32 s19, s14, s28
	s_add_i32 s18, s19, s18
	s_mul_i32 s15, s15, s28
	s_add_i32 s15, s18, s15
	s_mul_i32 s14, s14, s28
	s_lshl_b64 s[14:15], s[14:15], 2
	s_add_u32 s3, s3, s14
	s_addc_u32 s9, s9, s15
	s_lshl_b64 s[30:31], s[24:25], 2
	s_add_u32 s20, s3, s30
	s_addc_u32 s21, s9, s31
	s_mul_i32 s3, s16, s25
	s_mul_hi_u32 s9, s16, s24
	s_add_i32 s3, s9, s3
	s_mul_i32 s9, s17, s24
	s_add_i32 s15, s3, s9
	s_mul_i32 s14, s16, s24
	v_lshl_add_u32 v0, v0, 5, v33
	s_lshl_b64 s[14:15], s[14:15], 2
	v_lshrrev_b32_e32 v38, 4, v0
	s_add_u32 s18, s10, s14
	v_and_b32_e32 v2, 15, v33
	v_lshlrev_b32_e32 v39, 2, v38
	v_mov_b32_e32 v3, 0
	s_addc_u32 s19, s11, s15
	v_mad_u64_u32 v[8:9], s[10:11], s6, v39, v[2:3]
	v_mov_b32_e32 v4, v9
	v_mad_u64_u32 v[4:5], s[10:11], s7, v39, v[4:5]
	s_lshl_b64 s[14:15], s[16:17], 5
	s_add_i32 s3, s8, -2
	v_mov_b32_e32 v9, v4
	s_cmp_ge_u32 s2, s3
	v_mov_b32_e32 v48, v3
	v_mov_b32_e32 v46, v3
	v_mov_b32_e32 v47, v3
	v_mov_b32_e32 v45, v3
	v_mov_b32_e32 v49, v3
	s_barrier
	s_cbranch_scc1 .LBB146_13
; %bb.12:
	v_lshl_add_u64 v[4:5], v[8:9], 2, s[20:21]
	v_lshl_add_u64 v[6:7], s[6:7], 2, v[4:5]
	;; [unrolled: 1-line block ×3, first 2 shown]
	flat_load_dword v46, v[4:5] offset:128
	flat_load_dword v47, v[6:7] offset:128
	;; [unrolled: 1-line block ×3, first 2 shown]
	v_mad_u64_u32 v[4:5], s[8:9], s6, 12, v[4:5]
	v_mov_b32_e32 v6, v5
	v_mad_u64_u32 v[6:7], s[8:9], s7, 12, v[6:7]
	v_mov_b32_e32 v5, v6
	flat_load_dword v49, v[4:5] offset:128
	v_mad_u64_u32 v[4:5], s[8:9], s16, v2, 0
	s_lshl_b64 s[2:3], s[14:15], 2
	v_mov_b32_e32 v6, v5
	s_add_u32 s2, s18, s2
	v_mad_u64_u32 v[6:7], s[8:9], s17, v2, v[6:7]
	s_addc_u32 s3, s19, s3
	v_mov_b32_e32 v5, v6
	v_lshl_add_u64 v[4:5], v[4:5], 2, s[2:3]
	flat_load_dword v48, v[4:5]
.LBB146_13:
	s_load_dwordx4 s[8:11], s[0:1], 0x60
	s_waitcnt lgkmcnt(0)
	s_lshl_b64 s[2:3], s[8:9], 2
	s_mul_i32 s8, s10, s29
	s_mul_hi_u32 s9, s10, s28
	s_add_u32 s26, s26, s2
	s_mul_i32 s35, s11, s28
	s_addc_u32 s27, s27, s3
	s_add_i32 s2, s9, s8
	s_add_i32 s3, s2, s35
	s_mul_i32 s2, s10, s28
	s_lshl_b64 s[2:3], s[2:3], 2
	s_add_u32 s2, s26, s2
	s_mul_i32 s8, s10, s25
	s_mul_hi_u32 s9, s10, s24
	s_addc_u32 s3, s27, s3
	s_add_i32 s8, s9, s8
	s_mul_i32 s9, s11, s24
	s_add_i32 s9, s8, s9
	s_mul_i32 s8, s10, s24
	s_lshl_b64 s[8:9], s[8:9], 2
	s_add_u32 s26, s2, s8
	s_addc_u32 s27, s3, s9
	s_cmp_lt_i32 s34, 1
	s_cbranch_scc1 .LBB146_20
; %bb.14:
	v_mad_u64_u32 v[12:13], s[24:25], s10, v33, 0
	v_mov_b32_e32 v4, v13
	v_mov_b32_e32 v1, 0x800
	;; [unrolled: 1-line block ×3, first 2 shown]
	s_lshl_b64 s[8:9], s[10:11], 7
	v_mad_u64_u32 v[4:5], s[24:25], s11, v33, v[4:5]
	v_lshl_or_b32 v15, v2, 2, v1
	v_lshl_add_u32 v42, v39, 2, v3
	v_lshlrev_b32_e32 v41, 7, v38
	v_lshl_add_u32 v40, v33, 2, v1
	s_cmp_lg_u32 s34, 1
	v_mov_b32_e32 v13, v4
	s_cbranch_scc0 .LBB146_21
; %bb.15:
	s_add_i32 s36, s34, -1
	v_mad_u64_u32 v[4:5], s[34:35], s6, v38, 0
	v_mov_b32_e32 v6, v5
	v_and_b32_e32 v3, 0xfff0, v0
	v_mad_u64_u32 v[6:7], s[34:35], s7, v38, v[6:7]
	v_lshlrev_b32_e32 v16, 2, v2
	v_mov_b32_e32 v17, 0
	v_or_b32_e32 v1, 8, v3
	v_mov_b32_e32 v5, v6
	v_mad_u64_u32 v[6:7], s[34:35], s6, v1, v[16:17]
	v_mov_b32_e32 v0, v7
	v_mad_u64_u32 v[0:1], s[34:35], s7, v1, v[0:1]
	v_or_b32_e32 v1, 12, v3
	v_mad_u64_u32 v[20:21], s[34:35], s6, v1, v[16:17]
	v_mov_b32_e32 v7, v0
	v_mov_b32_e32 v0, v21
	v_mad_u64_u32 v[0:1], s[34:35], s7, v1, v[0:1]
	s_lshl_b64 s[24:25], s[6:7], 2
	v_or_b32_e32 v1, 4, v3
	s_lshl_b64 s[28:29], s[28:29], 2
	v_mad_u64_u32 v[22:23], s[34:35], s6, v1, v[16:17]
	s_add_u32 s28, s30, s28
	v_mov_b32_e32 v21, v0
	v_mov_b32_e32 v0, v23
	s_addc_u32 s29, s31, s29
	v_mad_u64_u32 v[0:1], s[34:35], s7, v1, v[0:1]
	s_mul_i32 s30, s16, s29
	s_mul_hi_u32 s31, s16, s28
	v_mov_b32_e32 v23, v0
	s_add_i32 s30, s31, s30
	s_mul_i32 s31, s17, s28
	s_mul_i32 s38, s16, s28
	v_lshl_add_u64 v[0:1], s[28:29], 0, v[16:17]
	s_mov_b64 s[28:29], 0x100
	v_lshl_add_u64 v[10:11], v[0:1], 0, s[28:29]
	v_mad_u64_u32 v[24:25], s[28:29], s16, v10, 0
	s_mov_b64 s[28:29], 0xc0
	v_mul_lo_u32 v3, s17, v10
	v_mul_lo_u32 v11, s16, v11
	v_lshl_add_u64 v[0:1], v[0:1], 0, s[28:29]
	v_add3_u32 v25, v25, v11, v3
	v_mul_lo_u32 v3, s17, v0
	v_mul_lo_u32 v1, s16, v1
	v_mad_u64_u32 v[26:27], s[28:29], s16, v0, 0
	v_lshl_add_u64 v[4:5], v[4:5], 4, v[16:17]
	s_add_i32 s37, s30, s31
	s_lshl_b64 s[30:31], s[16:17], 7
	v_add3_u32 v27, v27, v1, v3
	v_mov_b64_e32 v[10:11], s[26:27]
	s_mov_b64 s[28:29], s[20:21]
	s_waitcnt vmcnt(0)
	v_mov_b32_e32 v28, v48
	v_mov_b32_e32 v16, v17
	;; [unrolled: 1-line block ×8, first 2 shown]
.LBB146_16:                             ; =>This Inner Loop Header: Depth=1
	v_lshl_add_u64 v[0:1], s[22:23], 0, v[26:27]
	v_lshl_add_u64 v[50:51], s[28:29], 0, v[4:5]
	flat_load_dword v32, v[0:1]
	v_lshl_add_u64 v[52:53], s[28:29], 0, v[22:23]
	v_lshl_add_u64 v[54:55], s[28:29], 0, v[6:7]
	;; [unrolled: 1-line block ×3, first 2 shown]
	flat_load_dword v34, v[50:51] offset:192
	flat_load_dword v35, v[52:53] offset:192
	;; [unrolled: 1-line block ×8, first 2 shown]
	v_lshl_add_u64 v[50:51], s[22:23], 0, v[24:25]
	flat_load_dword v14, v[50:51]
	ds_read_b128 v[50:53], v42
	v_add_u32_e32 v54, v15, v41
	s_waitcnt lgkmcnt(0)
	s_barrier
	v_fma_f32 v55, v30, v50, 0
	v_fmac_f32_e32 v55, v31, v51
	v_fmac_f32_e32 v55, v29, v52
	;; [unrolled: 1-line block ×3, first 2 shown]
	s_waitcnt vmcnt(0)
	v_fma_f32 v50, v34, v50, 0
	v_fmac_f32_e32 v50, v35, v51
	v_fmac_f32_e32 v50, v44, v52
	;; [unrolled: 1-line block ×3, first 2 shown]
	ds_write2_b32 v54, v55, v50 offset1:16
	s_waitcnt lgkmcnt(0)
	s_barrier
	s_and_saveexec_b64 s[34:35], s[4:5]
	s_cbranch_execz .LBB146_18
; %bb.17:                               ;   in Loop: Header=BB146_16 Depth=1
	ds_read2_b32 v[50:51], v40 offset1:32
	ds_read2_b32 v[52:53], v40 offset0:64 offset1:96
	ds_read2_b32 v[54:55], v40 offset0:128 offset1:160
	;; [unrolled: 1-line block ×3, first 2 shown]
	v_lshl_add_u64 v[10:11], v[10:11], 0, s[8:9]
	s_waitcnt lgkmcnt(3)
	v_add_f32_e32 v50, 0, v50
	v_add_f32_e32 v50, v50, v51
	s_waitcnt lgkmcnt(2)
	v_add_f32_e32 v50, v50, v52
	v_add_f32_e32 v50, v50, v53
	;; [unrolled: 3-line block ×4, first 2 shown]
	v_lshl_add_u64 v[50:51], v[12:13], 2, v[10:11]
	v_mul_f32_e32 v52, s33, v52
	flat_atomic_add_f32 v[50:51], v52
.LBB146_18:                             ;   in Loop: Header=BB146_16 Depth=1
	s_or_b64 exec, exec, s[34:35]
	s_add_u32 s28, s28, 0x80
	s_addc_u32 s29, s29, 0
	s_add_i32 s36, s36, -1
	v_mul_f32_e32 v50, v28, v29
	v_mov_b32_e32 v29, v32
	s_add_u32 s22, s22, s30
	v_pk_mul_f32 v[36:37], v[28:29], v[36:37]
	s_addc_u32 s23, s23, s31
	v_mov_b32_e32 v51, v36
	s_add_u32 s34, s22, s38
	v_mul_f32_e32 v52, v32, v44
	v_mov_b32_e32 v53, v37
	v_pk_fma_f32 v[16:17], v[28:29], v[30:31], v[16:17] op_sel_hi:[0,1,1]
	v_pk_add_f32 v[18:19], v[18:19], v[50:51]
	s_addc_u32 s35, s23, s37
	v_pk_add_f32 v[18:19], v[18:19], v[52:53]
	s_cmp_eq_u32 s36, 0
	v_pk_fma_f32 v[16:17], v[32:33], v[34:35], v[16:17] op_sel_hi:[0,1,1]
	s_cbranch_scc1 .LBB146_22
; %bb.19:                               ;   in Loop: Header=BB146_16 Depth=1
	v_mov_b32_e32 v28, v14
	v_mov_b32_e32 v30, v0
	;; [unrolled: 1-line block ×5, first 2 shown]
	s_branch .LBB146_16
.LBB146_20:
	v_mov_b64_e32 v[10:11], s[26:27]
	v_mov_b32_e32 v0, v3
	v_mov_b32_e32 v5, v3
	;; [unrolled: 1-line block ×4, first 2 shown]
	s_waitcnt vmcnt(0)
	v_mov_b32_e32 v14, v48
	s_and_b64 vcc, exec, s[12:13]
	s_cbranch_vccnz .LBB146_27
	s_branch .LBB146_34
.LBB146_21:
                                        ; implicit-def: $vgpr3
                                        ; implicit-def: $vgpr43
                                        ; implicit-def: $vgpr19
                                        ; implicit-def: $vgpr17
                                        ; implicit-def: $sgpr34_sgpr35
                                        ; implicit-def: $vgpr10_vgpr11
                                        ; implicit-def: $vgpr14
                                        ; implicit-def: $sgpr28_sgpr29
                                        ; implicit-def: $sgpr24_sgpr25
                                        ; implicit-def: $vgpr4_vgpr5_vgpr6_vgpr7
	s_cbranch_execnz .LBB146_23
	s_branch .LBB146_24
.LBB146_22:
	v_mov_b64_e32 v[6:7], v[2:3]
	v_mov_b64_e32 v[4:5], v[0:1]
	s_branch .LBB146_24
.LBB146_23:
	v_mov_b32_e32 v16, 0
	s_waitcnt vmcnt(0)
	v_mov_b64_e32 v[4:5], v[46:47]
	s_lshl_b64 s[24:25], s[6:7], 2
	v_mov_b64_e32 v[10:11], s[26:27]
	v_mov_b64_e32 v[6:7], v[48:49]
	s_mov_b64 s[28:29], s[20:21]
	v_mov_b32_e32 v14, v48
	s_mov_b64 s[34:35], s[18:19]
	v_mov_b32_e32 v17, v16
	v_mov_b32_e32 v18, v16
	;; [unrolled: 1-line block ×7, first 2 shown]
.LBB146_24:
	v_or_b32_e32 v22, 16, v2
	v_mad_u64_u32 v[20:21], s[18:19], s16, v22, 0
	v_mov_b32_e32 v6, v21
	v_mad_u64_u32 v[22:23], s[18:19], s17, v22, v[6:7]
	s_lshl_b64 s[18:19], s[14:15], 2
	s_add_u32 s18, s34, s18
	v_mov_b32_e32 v21, v22
	s_addc_u32 s19, s35, s19
	v_lshl_add_u64 v[20:21], v[20:21], 2, s[18:19]
	flat_load_dword v6, v[20:21]
	v_lshl_add_u64 v[20:21], v[8:9], 2, s[28:29]
	v_mad_u64_u32 v[22:23], s[20:21], s6, 12, v[20:21]
	v_mov_b32_e32 v24, v23
	v_mad_u64_u32 v[24:25], s[20:21], s7, 12, v[24:25]
	s_sub_u32 s20, 0, s24
	v_mov_b32_e32 v23, v24
	s_subb_u32 s21, 0, s25
	v_lshl_add_u64 v[24:25], v[22:23], 0, s[20:21]
	v_lshl_add_u64 v[26:27], v[24:25], 0, s[20:21]
	flat_load_dword v32, v[24:25] offset:192
	flat_load_dword v29, v[26:27] offset:192
	flat_load_dword v28, v[20:21] offset:192
	flat_load_dword v31, v[22:23] offset:192
	ds_read_b128 v[20:23], v42
	v_mov_b32_e32 v30, v7
	v_add_u32_e32 v7, v15, v41
	v_mul_f32_e32 v24, v14, v43
	s_add_u32 s20, s28, 0x80
	s_waitcnt lgkmcnt(0)
	v_fma_f32 v34, v0, v20, 0
	v_fmac_f32_e32 v34, v1, v21
	v_fmac_f32_e32 v34, v43, v22
	v_fmac_f32_e32 v34, v3, v23
	s_addc_u32 s21, s29, 0
	s_barrier
	s_waitcnt vmcnt(0)
	v_mov_b32_e32 v15, v6
	v_pk_fma_f32 v[4:5], v[14:15], v[4:5], v[16:17] op_sel_hi:[0,1,1]
	v_mul_f32_e32 v0, v6, v32
	v_fma_f32 v3, v28, v20, 0
	v_pk_mul_f32 v[26:27], v[14:15], v[30:31]
	v_fmac_f32_e32 v3, v29, v21
	v_mov_b32_e32 v25, v26
	v_mov_b32_e32 v1, v27
	v_fmac_f32_e32 v3, v32, v22
	v_pk_add_f32 v[16:17], v[18:19], v[24:25]
	v_pk_fma_f32 v[4:5], v[6:7], v[28:29], v[4:5] op_sel_hi:[0,1,1]
	v_fmac_f32_e32 v3, v31, v23
	v_pk_add_f32 v[0:1], v[16:17], v[0:1]
	ds_write2_b32 v7, v34, v3 offset1:16
	s_waitcnt lgkmcnt(0)
	s_barrier
	s_and_saveexec_b64 s[22:23], s[4:5]
	s_cbranch_execz .LBB146_26
; %bb.25:
	ds_read2_b32 v[16:17], v40 offset1:32
	ds_read2_b32 v[18:19], v40 offset0:64 offset1:96
	ds_read2_b32 v[20:21], v40 offset0:128 offset1:160
	;; [unrolled: 1-line block ×3, first 2 shown]
	v_lshl_add_u64 v[10:11], v[10:11], 0, s[8:9]
	s_waitcnt lgkmcnt(3)
	v_add_f32_e32 v3, 0, v16
	v_add_f32_e32 v3, v3, v17
	s_waitcnt lgkmcnt(2)
	v_add_f32_e32 v3, v3, v18
	v_add_f32_e32 v3, v3, v19
	;; [unrolled: 3-line block ×4, first 2 shown]
	v_lshl_add_u64 v[12:13], v[12:13], 2, v[10:11]
	v_mul_f32_e32 v3, s33, v3
	flat_atomic_add_f32 v[12:13], v3
.LBB146_26:
	s_or_b64 exec, exec, s[22:23]
	v_mov_b32_e32 v3, v1
	s_and_b64 vcc, exec, s[12:13]
	s_cbranch_vccz .LBB146_34
.LBB146_27:
	s_load_dword s12, s[0:1], 0x78
	s_lshl_b64 s[0:1], s[14:15], 2
	s_add_u32 s0, s18, s0
	v_mov_b32_e32 v18, 0
	s_addc_u32 s1, s19, s1
	s_waitcnt lgkmcnt(0)
	v_cmp_gt_i32_e32 vcc, s12, v2
	v_mov_b32_e32 v12, 0
	v_mov_b32_e32 v13, 0
	;; [unrolled: 1-line block ×4, first 2 shown]
	s_and_saveexec_b64 s[8:9], vcc
	s_cbranch_execz .LBB146_29
; %bb.28:
	v_lshl_add_u64 v[14:15], v[8:9], 2, s[20:21]
	v_lshl_add_u64 v[16:17], s[6:7], 2, v[14:15]
	v_lshl_add_u64 v[20:21], s[6:7], 3, v[14:15]
	flat_load_dword v12, v[14:15] offset:128
	flat_load_dword v13, v[16:17] offset:128
	;; [unrolled: 1-line block ×3, first 2 shown]
	v_mad_u64_u32 v[14:15], s[14:15], s6, 12, v[14:15]
	v_mov_b32_e32 v16, v15
	v_mad_u64_u32 v[16:17], s[14:15], s7, 12, v[16:17]
	v_mov_b32_e32 v15, v16
	flat_load_dword v16, v[14:15] offset:128
	v_mad_u64_u32 v[14:15], s[14:15], s16, v2, 0
	v_mov_b32_e32 v20, v15
	v_mad_u64_u32 v[20:21], s[14:15], s17, v2, v[20:21]
	v_mov_b32_e32 v15, v20
	v_lshl_add_u64 v[14:15], v[14:15], 2, s[0:1]
	flat_load_dword v14, v[14:15]
.LBB146_29:
	s_or_b64 exec, exec, s[8:9]
	v_or_b32_e32 v15, 16, v2
	v_cmp_gt_i32_e32 vcc, s12, v15
	v_mov_b32_e32 v19, 0
	v_mov_b32_e32 v1, 0
	;; [unrolled: 1-line block ×3, first 2 shown]
	s_and_saveexec_b64 s[8:9], vcc
	s_cbranch_execz .LBB146_31
; %bb.30:
	v_lshl_add_u64 v[8:9], v[8:9], 2, s[20:21]
	v_lshl_add_u64 v[20:21], s[6:7], 2, v[8:9]
	;; [unrolled: 1-line block ×3, first 2 shown]
	flat_load_dword v18, v[8:9] offset:192
	flat_load_dword v19, v[20:21] offset:192
	;; [unrolled: 1-line block ×3, first 2 shown]
	v_mad_u64_u32 v[8:9], s[14:15], s6, 12, v[8:9]
	v_mov_b32_e32 v6, v9
	s_waitcnt vmcnt(0) lgkmcnt(0)
	v_mad_u64_u32 v[20:21], s[6:7], s7, 12, v[6:7]
	v_mov_b32_e32 v9, v20
	flat_load_dword v17, v[8:9] offset:192
	v_mad_u64_u32 v[8:9], s[6:7], s16, v15, 0
	v_mov_b32_e32 v6, v9
	v_mad_u64_u32 v[20:21], s[6:7], s17, v15, v[6:7]
	v_mov_b32_e32 v9, v20
	v_lshl_add_u64 v[8:9], v[8:9], 2, s[0:1]
	flat_load_dword v6, v[8:9]
.LBB146_31:
	s_or_b64 exec, exec, s[8:9]
	v_lshlrev_b32_e32 v8, 2, v39
	ds_read_b128 v[20:23], v8 offset:3072
	s_waitcnt vmcnt(0) lgkmcnt(0)
	v_pk_fma_f32 v[4:5], v[14:15], v[12:13], v[4:5] op_sel_hi:[0,1,1]
	v_pk_fma_f32 v[4:5], v[6:7], v[18:19], v[4:5] op_sel_hi:[0,1,1]
	v_mov_b32_e32 v15, v6
	v_mul_f32_e32 v8, v14, v7
	v_fma_f32 v18, v18, v20, 0
	v_fmac_f32_e32 v18, v19, v21
	v_mul_f32_e32 v24, v6, v1
	v_fmac_f32_e32 v18, v1, v22
	v_pk_mul_f32 v[14:15], v[14:15], v[16:17]
	v_mov_b32_e32 v1, v3
	v_fma_f32 v3, v12, v20, 0
	v_mov_b32_e32 v9, v14
	v_fmac_f32_e32 v3, v13, v21
	v_lshlrev_b32_e32 v6, 2, v2
	v_pk_add_f32 v[0:1], v[0:1], v[8:9]
	v_mov_b32_e32 v25, v15
	v_fmac_f32_e32 v3, v7, v22
	v_lshl_or_b32 v6, v38, 7, v6
	v_cmp_gt_i32_e32 vcc, s12, v33
	v_fmac_f32_e32 v18, v17, v23
	v_pk_add_f32 v[0:1], v[0:1], v[24:25]
	v_fmac_f32_e32 v3, v16, v23
	v_add_u32_e32 v6, 0x800, v6
	s_and_b64 s[6:7], s[4:5], vcc
	s_barrier
	ds_write2_b32 v6, v3, v18 offset1:16
	s_waitcnt lgkmcnt(0)
	s_barrier
	s_and_saveexec_b64 s[0:1], s[6:7]
	s_cbranch_execz .LBB146_33
; %bb.32:
	v_lshlrev_b32_e32 v3, 2, v33
	v_add_u32_e32 v3, 0x800, v3
	ds_read2_b32 v[6:7], v3 offset1:32
	s_lshl_b64 s[6:7], s[10:11], 7
	v_lshl_add_u64 v[8:9], v[10:11], 0, s[6:7]
	ds_read2_b32 v[10:11], v3 offset0:64 offset1:96
	ds_read2_b32 v[12:13], v3 offset0:128 offset1:160
	s_waitcnt lgkmcnt(2)
	v_add_f32_e32 v6, 0, v6
	v_add_f32_e32 v14, v6, v7
	ds_read2_b32 v[6:7], v3 offset0:192 offset1:224
	s_waitcnt lgkmcnt(2)
	v_add_f32_e32 v3, v14, v10
	v_add_f32_e32 v3, v3, v11
	s_waitcnt lgkmcnt(1)
	v_add_f32_e32 v3, v3, v12
	v_add_f32_e32 v3, v3, v13
	s_waitcnt lgkmcnt(0)
	v_add_f32_e32 v3, v3, v6
	v_add_f32_e32 v3, v3, v7
	v_mad_u64_u32 v[6:7], s[6:7], s10, v33, 0
	v_mov_b32_e32 v10, v7
	v_mad_u64_u32 v[10:11], s[6:7], s11, v33, v[10:11]
	v_mov_b32_e32 v7, v10
	v_lshl_add_u64 v[6:7], v[6:7], 2, v[8:9]
	v_mul_f32_e32 v3, s33, v3
	flat_atomic_add_f32 v[6:7], v3
.LBB146_33:
	s_or_b64 exec, exec, s[0:1]
	v_mov_b32_e32 v3, v1
.LBB146_34:
	v_lshlrev_b32_e32 v1, 8, v38
	v_lshl_or_b32 v1, v2, 2, v1
	ds_write2_b32 v1, v4, v5 offset1:16
	ds_write2_b32 v1, v0, v3 offset0:32 offset1:48
	s_waitcnt lgkmcnt(0)
	s_barrier
	s_and_saveexec_b64 s[0:1], s[4:5]
	s_cbranch_execz .LBB146_36
; %bb.35:
	v_add_u32_e32 v3, 1, v33
	v_add_u32_e32 v4, 2, v33
	;; [unrolled: 1-line block ×7, first 2 shown]
	v_lshlrev_b32_e32 v0, 6, v33
	v_and_b32_e32 v3, 15, v3
	v_and_b32_e32 v4, 15, v4
	;; [unrolled: 1-line block ×7, first 2 shown]
	v_lshl_or_b32 v1, v2, 2, v0
	v_lshl_or_b32 v3, v3, 2, v0
	;; [unrolled: 1-line block ×8, first 2 shown]
	ds_read_b32 v1, v1
	ds_read_b32 v3, v3
	;; [unrolled: 1-line block ×8, first 2 shown]
	s_waitcnt lgkmcnt(0)
	v_add_f32_e32 v1, 0, v1
	v_add_f32_e32 v1, v1, v3
	;; [unrolled: 1-line block ×8, first 2 shown]
	v_add_u32_e32 v3, 9, v33
	v_add_u32_e32 v4, 10, v33
	;; [unrolled: 1-line block ×6, first 2 shown]
	v_add_u32_e32 v9, -1, v33
	v_xor_b32_e32 v2, 8, v2
	v_and_b32_e32 v3, 15, v3
	v_and_b32_e32 v4, 15, v4
	;; [unrolled: 1-line block ×7, first 2 shown]
	v_lshl_or_b32 v2, v2, 2, v0
	v_lshl_or_b32 v3, v3, 2, v0
	;; [unrolled: 1-line block ×8, first 2 shown]
	ds_read_b32 v2, v2
	ds_read_b32 v3, v3
	;; [unrolled: 1-line block ×8, first 2 shown]
	s_waitcnt lgkmcnt(0)
	v_add_f32_e32 v1, v1, v2
	v_add_f32_e32 v1, v1, v3
	;; [unrolled: 1-line block ×8, first 2 shown]
	v_mad_u64_u32 v[0:1], s[0:1], s10, v33, 0
	v_mov_b32_e32 v2, v1
	v_mad_u64_u32 v[2:3], s[0:1], s11, v33, v[2:3]
	v_mov_b32_e32 v1, v2
	v_lshl_add_u64 v[0:1], v[0:1], 2, s[2:3]
	v_mul_f32_e32 v2, s33, v4
	flat_atomic_add_f32 v[0:1], v2
.LBB146_36:
	s_endpgm
	.section	.rodata,"a",@progbits
	.p2align	6, 0x0
	.amdhsa_kernel _ZL62rocblas_symv_kernel_lower_double_buffered_non_diagonal_genericILi32ELi4ELi4E24rocblas_internal_val_ptrIfEPKPKfPKPfEvbiT2_lT3_lllSA_lllT4_lllii
		.amdhsa_group_segment_fixed_size 3200
		.amdhsa_private_segment_fixed_size 0
		.amdhsa_kernarg_size 384
		.amdhsa_user_sgpr_count 2
		.amdhsa_user_sgpr_dispatch_ptr 0
		.amdhsa_user_sgpr_queue_ptr 0
		.amdhsa_user_sgpr_kernarg_segment_ptr 1
		.amdhsa_user_sgpr_dispatch_id 0
		.amdhsa_user_sgpr_kernarg_preload_length 0
		.amdhsa_user_sgpr_kernarg_preload_offset 0
		.amdhsa_user_sgpr_private_segment_size 0
		.amdhsa_uses_dynamic_stack 0
		.amdhsa_enable_private_segment 0
		.amdhsa_system_sgpr_workgroup_id_x 1
		.amdhsa_system_sgpr_workgroup_id_y 1
		.amdhsa_system_sgpr_workgroup_id_z 1
		.amdhsa_system_sgpr_workgroup_info 0
		.amdhsa_system_vgpr_workitem_id 1
		.amdhsa_next_free_vgpr 58
		.amdhsa_next_free_sgpr 39
		.amdhsa_accum_offset 60
		.amdhsa_reserve_vcc 1
		.amdhsa_float_round_mode_32 0
		.amdhsa_float_round_mode_16_64 0
		.amdhsa_float_denorm_mode_32 3
		.amdhsa_float_denorm_mode_16_64 3
		.amdhsa_dx10_clamp 1
		.amdhsa_ieee_mode 1
		.amdhsa_fp16_overflow 0
		.amdhsa_tg_split 0
		.amdhsa_exception_fp_ieee_invalid_op 0
		.amdhsa_exception_fp_denorm_src 0
		.amdhsa_exception_fp_ieee_div_zero 0
		.amdhsa_exception_fp_ieee_overflow 0
		.amdhsa_exception_fp_ieee_underflow 0
		.amdhsa_exception_fp_ieee_inexact 0
		.amdhsa_exception_int_div_zero 0
	.end_amdhsa_kernel
	.section	.text._ZL62rocblas_symv_kernel_lower_double_buffered_non_diagonal_genericILi32ELi4ELi4E24rocblas_internal_val_ptrIfEPKPKfPKPfEvbiT2_lT3_lllSA_lllT4_lllii,"axG",@progbits,_ZL62rocblas_symv_kernel_lower_double_buffered_non_diagonal_genericILi32ELi4ELi4E24rocblas_internal_val_ptrIfEPKPKfPKPfEvbiT2_lT3_lllSA_lllT4_lllii,comdat
.Lfunc_end146:
	.size	_ZL62rocblas_symv_kernel_lower_double_buffered_non_diagonal_genericILi32ELi4ELi4E24rocblas_internal_val_ptrIfEPKPKfPKPfEvbiT2_lT3_lllSA_lllT4_lllii, .Lfunc_end146-_ZL62rocblas_symv_kernel_lower_double_buffered_non_diagonal_genericILi32ELi4ELi4E24rocblas_internal_val_ptrIfEPKPKfPKPfEvbiT2_lT3_lllSA_lllT4_lllii
                                        ; -- End function
	.set _ZL62rocblas_symv_kernel_lower_double_buffered_non_diagonal_genericILi32ELi4ELi4E24rocblas_internal_val_ptrIfEPKPKfPKPfEvbiT2_lT3_lllSA_lllT4_lllii.num_vgpr, 58
	.set _ZL62rocblas_symv_kernel_lower_double_buffered_non_diagonal_genericILi32ELi4ELi4E24rocblas_internal_val_ptrIfEPKPKfPKPfEvbiT2_lT3_lllSA_lllT4_lllii.num_agpr, 0
	.set _ZL62rocblas_symv_kernel_lower_double_buffered_non_diagonal_genericILi32ELi4ELi4E24rocblas_internal_val_ptrIfEPKPKfPKPfEvbiT2_lT3_lllSA_lllT4_lllii.numbered_sgpr, 39
	.set _ZL62rocblas_symv_kernel_lower_double_buffered_non_diagonal_genericILi32ELi4ELi4E24rocblas_internal_val_ptrIfEPKPKfPKPfEvbiT2_lT3_lllSA_lllT4_lllii.num_named_barrier, 0
	.set _ZL62rocblas_symv_kernel_lower_double_buffered_non_diagonal_genericILi32ELi4ELi4E24rocblas_internal_val_ptrIfEPKPKfPKPfEvbiT2_lT3_lllSA_lllT4_lllii.private_seg_size, 0
	.set _ZL62rocblas_symv_kernel_lower_double_buffered_non_diagonal_genericILi32ELi4ELi4E24rocblas_internal_val_ptrIfEPKPKfPKPfEvbiT2_lT3_lllSA_lllT4_lllii.uses_vcc, 1
	.set _ZL62rocblas_symv_kernel_lower_double_buffered_non_diagonal_genericILi32ELi4ELi4E24rocblas_internal_val_ptrIfEPKPKfPKPfEvbiT2_lT3_lllSA_lllT4_lllii.uses_flat_scratch, 0
	.set _ZL62rocblas_symv_kernel_lower_double_buffered_non_diagonal_genericILi32ELi4ELi4E24rocblas_internal_val_ptrIfEPKPKfPKPfEvbiT2_lT3_lllSA_lllT4_lllii.has_dyn_sized_stack, 0
	.set _ZL62rocblas_symv_kernel_lower_double_buffered_non_diagonal_genericILi32ELi4ELi4E24rocblas_internal_val_ptrIfEPKPKfPKPfEvbiT2_lT3_lllSA_lllT4_lllii.has_recursion, 0
	.set _ZL62rocblas_symv_kernel_lower_double_buffered_non_diagonal_genericILi32ELi4ELi4E24rocblas_internal_val_ptrIfEPKPKfPKPfEvbiT2_lT3_lllSA_lllT4_lllii.has_indirect_call, 0
	.section	.AMDGPU.csdata,"",@progbits
; Kernel info:
; codeLenInByte = 3600
; TotalNumSgprs: 45
; NumVgprs: 58
; NumAgprs: 0
; TotalNumVgprs: 58
; ScratchSize: 0
; MemoryBound: 0
; FloatMode: 240
; IeeeMode: 1
; LDSByteSize: 3200 bytes/workgroup (compile time only)
; SGPRBlocks: 5
; VGPRBlocks: 7
; NumSGPRsForWavesPerEU: 45
; NumVGPRsForWavesPerEU: 58
; AccumOffset: 60
; Occupancy: 8
; WaveLimiterHint : 1
; COMPUTE_PGM_RSRC2:SCRATCH_EN: 0
; COMPUTE_PGM_RSRC2:USER_SGPR: 2
; COMPUTE_PGM_RSRC2:TRAP_HANDLER: 0
; COMPUTE_PGM_RSRC2:TGID_X_EN: 1
; COMPUTE_PGM_RSRC2:TGID_Y_EN: 1
; COMPUTE_PGM_RSRC2:TGID_Z_EN: 1
; COMPUTE_PGM_RSRC2:TIDIG_COMP_CNT: 1
; COMPUTE_PGM_RSRC3_GFX90A:ACCUM_OFFSET: 14
; COMPUTE_PGM_RSRC3_GFX90A:TG_SPLIT: 0
	.section	.text._ZL26rocblas_hemvn_kernel_lowerILb0ELi64ELi4ELi33ELi32ELi16ElPKfPKS1_PfEviT6_lT7_lT5_lS6_lS7_lS5_lT8_i,"axG",@progbits,_ZL26rocblas_hemvn_kernel_lowerILb0ELi64ELi4ELi33ELi32ELi16ElPKfPKS1_PfEviT6_lT7_lT5_lS6_lS7_lS5_lT8_i,comdat
	.globl	_ZL26rocblas_hemvn_kernel_lowerILb0ELi64ELi4ELi33ELi32ELi16ElPKfPKS1_PfEviT6_lT7_lT5_lS6_lS7_lS5_lT8_i ; -- Begin function _ZL26rocblas_hemvn_kernel_lowerILb0ELi64ELi4ELi33ELi32ELi16ElPKfPKS1_PfEviT6_lT7_lT5_lS6_lS7_lS5_lT8_i
	.p2align	8
	.type	_ZL26rocblas_hemvn_kernel_lowerILb0ELi64ELi4ELi33ELi32ELi16ElPKfPKS1_PfEviT6_lT7_lT5_lS6_lS7_lS5_lT8_i,@function
_ZL26rocblas_hemvn_kernel_lowerILb0ELi64ELi4ELi33ELi32ELi16ElPKfPKS1_PfEviT6_lT7_lT5_lS6_lS7_lS5_lT8_i: ; @_ZL26rocblas_hemvn_kernel_lowerILb0ELi64ELi4ELi33ELi32ELi16ElPKfPKS1_PfEviT6_lT7_lT5_lS6_lS7_lS5_lT8_i
; %bb.0:
	s_load_dwordx2 s[4:5], s[0:1], 0x84
	s_add_u32 s12, s0, 0x78
	s_mov_b32 s24, s3
	s_addc_u32 s13, s1, 0
	s_waitcnt lgkmcnt(0)
	s_and_b32 s3, s5, 0xffff
	s_lshr_b32 s5, s4, 16
	s_and_b32 s4, s4, 0xffff
	s_mul_i32 s4, s5, s4
	s_mul_i32 s4, s4, s3
	s_cmpk_lg_i32 s4, 0x100
	s_cbranch_scc1 .LBB147_4
; %bb.1:
	s_load_dwordx8 s[4:11], s[0:1], 0x8
	s_load_dwordx4 s[16:19], s[0:1], 0x58
	s_waitcnt lgkmcnt(0)
	s_mul_i32 s3, s7, s24
	s_mul_hi_u32 s7, s6, s24
	s_mul_i32 s6, s6, s24
	s_add_i32 s7, s7, s3
	s_lshl_b64 s[6:7], s[6:7], 2
	s_add_u32 s4, s4, s6
	s_addc_u32 s5, s5, s7
	s_mul_i32 s14, s19, s24
	s_load_dword s3, s[4:5], 0x0
	s_mul_hi_u32 s4, s18, s24
	s_add_i32 s5, s4, s14
	s_mul_i32 s4, s18, s24
	s_lshl_b64 s[4:5], s[4:5], 2
	s_add_u32 s4, s16, s4
	s_addc_u32 s5, s17, s5
	s_load_dword s6, s[4:5], 0x0
	s_waitcnt lgkmcnt(0)
	v_cmp_eq_f32_e64 s[4:5], s3, 0
	v_cmp_eq_f32_e64 s[6:7], s6, 1.0
	s_and_b64 s[6:7], s[4:5], s[6:7]
	s_and_b64 vcc, exec, s[6:7]
	s_cbranch_vccnz .LBB147_4
; %bb.2:
	s_and_b64 vcc, exec, s[4:5]
	s_cbranch_vccz .LBB147_5
; %bb.3:
	s_cbranch_execz .LBB147_6
.LBB147_4:
	s_endpgm
.LBB147_5:
.LBB147_6:
	s_mov_b32 s25, 0
	s_load_dword s3, s[12:13], 0x0
	s_load_dwordx4 s[4:7], s[0:1], 0x38
	s_load_dwordx2 s[20:21], s[0:1], 0x48
	s_lshl_b64 s[12:13], s[24:25], 3
	s_add_u32 s8, s8, s12
	s_addc_u32 s9, s9, s13
	s_waitcnt lgkmcnt(0)
	s_add_u32 s12, s4, s12
	s_addc_u32 s13, s5, s13
	s_load_dwordx2 s[14:15], s[12:13], 0x0
	s_load_dwordx2 s[22:23], s[0:1], 0x28
	s_load_dword s25, s[0:1], 0x0
	s_load_dwordx2 s[4:5], s[8:9], 0x0
	s_load_dwordx2 s[30:31], s[0:1], 0x68
	s_lshl_b64 s[0:1], s[6:7], 2
	s_waitcnt lgkmcnt(0)
	s_add_u32 s0, s14, s0
	s_addc_u32 s1, s15, s1
	s_ashr_i32 s33, s25, 31
	s_lshr_b32 s7, s33, 26
	s_add_i32 s7, s25, s7
	v_and_b32_e32 v27, 0x3ff, v0
	s_lshl_b32 s34, s2, 6
	s_andn2_b32 s7, s7, 63
	s_add_i32 s6, s3, -1
	s_sub_i32 s7, s25, s7
	v_add_u32_e32 v16, s34, v27
	s_cmp_eq_u32 s2, s6
	v_ashrrev_i32_e32 v17, 31, v16
	v_bfe_u32 v26, v0, 10, 10
	s_cselect_b32 s28, s7, 0
	v_mul_lo_u32 v2, s20, v17
	v_mul_lo_u32 v3, s21, v16
	v_mad_u64_u32 v[0:1], s[6:7], s20, v16, 0
	v_add3_u32 v1, v1, v2, v3
	v_lshl_add_u64 v[4:5], v[0:1], 2, s[0:1]
	v_cmp_ne_u32_e64 s[0:1], 0, v26
	v_cmp_eq_u32_e64 s[16:17], 0, v26
	s_and_saveexec_b64 s[6:7], s[16:17]
	s_cbranch_execz .LBB147_10
; %bb.7:
	s_cmp_eq_u32 s28, 0
	s_cselect_b64 s[8:9], -1, 0
	v_cmp_gt_i32_e32 vcc, s28, v27
	s_or_b64 s[12:13], s[8:9], vcc
	v_mov_b32_e32 v0, 0
	s_and_saveexec_b64 s[8:9], s[12:13]
	s_cbranch_execz .LBB147_9
; %bb.8:
	flat_load_dword v0, v[4:5]
.LBB147_9:
	s_or_b64 exec, exec, s[8:9]
	v_lshlrev_b32_e32 v1, 2, v27
	s_waitcnt vmcnt(0) lgkmcnt(0)
	ds_write_b32 v1, v0 offset:4544
.LBB147_10:
	s_or_b64 exec, exec, s[6:7]
	s_lshl_b64 s[6:7], s[10:11], 2
	s_add_u32 s6, s4, s6
	s_addc_u32 s7, s5, s7
	s_ashr_i32 s35, s34, 31
	v_lshl_add_u32 v14, v26, 6, v27
	s_lshl_b64 s[4:5], s[34:35], 2
	v_and_b32_e32 v0, 31, v27
	v_lshrrev_b32_e32 v12, 5, v14
	s_add_u32 s4, s6, s4
	v_mov_b32_e32 v1, 0
	s_addc_u32 s5, s7, s5
	v_mad_u64_u32 v[6:7], s[6:7], s22, v12, v[0:1]
	v_mov_b32_e32 v2, v7
	v_mad_u64_u32 v[2:3], s[6:7], s23, v12, v[2:3]
	v_mov_b32_e32 v7, v2
	v_lshl_add_u64 v[2:3], v[6:7], 2, s[4:5]
	s_mul_hi_u32 s4, s22, s34
	s_mul_i32 s5, s22, s35
	s_add_i32 s4, s4, s5
	s_mul_i32 s5, s23, s34
	s_add_i32 s37, s4, s5
	s_cmp_lg_u32 s28, 0
	s_mul_i32 s36, s22, s34
	s_cselect_b64 s[38:39], -1, 0
	s_cmp_eq_u32 s28, 0
	v_lshl_add_u64 v[2:3], s[36:37], 2, v[2:3]
	s_cselect_b64 s[18:19], -1, 0
	s_mov_b64 s[4:5], -1
	s_and_b64 vcc, exec, s[38:39]
	s_cbranch_vccnz .LBB147_12
; %bb.11:
	s_lshl_b64 s[4:5], s[22:23], 5
	v_lshl_add_u64 v[8:9], v[2:3], 0, s[4:5]
	v_lshl_add_u64 v[10:11], v[8:9], 0, s[4:5]
	;; [unrolled: 1-line block ×3, first 2 shown]
	flat_load_dword v1, v[2:3]
	flat_load_dword v13, v[8:9]
	;; [unrolled: 1-line block ×4, first 2 shown]
	v_mul_u32_u24_e32 v8, 0x84, v12
	v_lshl_add_u32 v8, v0, 2, v8
	s_mov_b64 s[4:5], 0
	s_waitcnt vmcnt(0) lgkmcnt(0)
	ds_write_b32 v8, v1
	ds_write_b32 v8, v13 offset:1056
	ds_write_b32 v8, v15 offset:2112
	;; [unrolled: 1-line block ×3, first 2 shown]
.LBB147_12:
	s_andn2_b64 vcc, exec, s[4:5]
	s_cbranch_vccnz .LBB147_22
; %bb.13:
	v_lshlrev_b32_e32 v8, 2, v0
	v_sub_co_u32_e32 v10, vcc, v2, v8
	s_ashr_i32 s29, s28, 31
	s_nop 0
	v_subbrev_co_u32_e32 v11, vcc, 0, v3, vcc
	v_lshl_add_u64 v[10:11], s[28:29], 2, v[10:11]
	v_lshl_add_u64 v[10:11], v[10:11], 0, -4
	v_cmp_gt_i32_e32 vcc, s28, v0
	v_mov_b32_e32 v13, 0
	v_cmp_gt_i32_e64 s[4:5], s28, v12
	v_cndmask_b32_e32 v11, v11, v3, vcc
	v_cndmask_b32_e32 v10, v10, v2, vcc
	v_mov_b32_e32 v15, 0
	s_and_saveexec_b64 s[6:7], s[4:5]
	s_cbranch_execz .LBB147_15
; %bb.14:
	flat_load_dword v15, v[10:11]
.LBB147_15:
	s_or_b64 exec, exec, s[6:7]
	v_lshlrev_b32_e32 v1, 2, v0
	s_movk_i32 s4, 0x84
	v_mad_u32_u24 v18, v12, s4, v1
	s_waitcnt vmcnt(0) lgkmcnt(0)
	ds_write_b32 v18, v15
	v_add_u32_e32 v15, 8, v12
	v_mul_u32_u24_e32 v9, 0x84, v12
	v_cmp_gt_i32_e64 s[4:5], s28, v15
	s_and_saveexec_b64 s[6:7], s[4:5]
	s_cbranch_execz .LBB147_17
; %bb.16:
	s_lshl_b64 s[4:5], s[22:23], 5
	v_lshl_add_u64 v[18:19], v[10:11], 0, s[4:5]
	flat_load_dword v13, v[18:19]
.LBB147_17:
	s_or_b64 exec, exec, s[6:7]
	v_add_u32_e32 v1, v9, v1
	v_add_u32_e32 v9, 16, v12
	s_waitcnt vmcnt(0) lgkmcnt(0)
	ds_write_b32 v1, v13 offset:1056
	v_cmp_gt_i32_e64 s[4:5], s28, v9
	v_mov_b32_e32 v9, 0
	v_mov_b32_e32 v13, 0
	s_and_saveexec_b64 s[6:7], s[4:5]
	s_cbranch_execz .LBB147_19
; %bb.18:
	s_lshl_b64 s[4:5], s[22:23], 6
	v_lshl_add_u64 v[18:19], v[10:11], 0, s[4:5]
	flat_load_dword v13, v[18:19]
.LBB147_19:
	s_or_b64 exec, exec, s[6:7]
	s_waitcnt vmcnt(0) lgkmcnt(0)
	ds_write_b32 v1, v13 offset:2112
	v_add_u32_e32 v13, 24, v12
	v_cmp_gt_i32_e64 s[4:5], s28, v13
	s_and_saveexec_b64 s[6:7], s[4:5]
	s_cbranch_execz .LBB147_21
; %bb.20:
	v_mov_b32_e32 v9, 0x60
	v_mad_u64_u32 v[18:19], s[4:5], s22, v9, v[10:11]
	s_mul_i32 s4, s23, 0x60
	s_nop 0
	v_add_u32_e32 v19, s4, v19
	flat_load_dword v9, v[18:19]
.LBB147_21:
	s_or_b64 exec, exec, s[6:7]
	s_waitcnt vmcnt(0) lgkmcnt(0)
	ds_write_b32 v1, v9 offset:3168
	v_mov_b32_e32 v9, 0
	v_lshl_add_u64 v[8:9], v[10:11], 0, v[8:9]
	s_lshl_b64 s[4:5], s[28:29], 2
	v_mov_b32_e32 v1, s5
	v_subrev_co_u32_e64 v8, s[4:5], s4, v8
	s_nop 1
	v_subb_co_u32_e64 v9, s[4:5], v9, v1, s[4:5]
	v_lshl_add_u64 v[8:9], v[8:9], 0, 4
	v_cndmask_b32_e32 v3, v9, v3, vcc
	v_cndmask_b32_e32 v2, v8, v2, vcc
.LBB147_22:
	v_lshlrev_b32_e32 v1, 2, v12
	v_lshlrev_b32_e32 v13, 2, v0
	v_lshl_or_b32 v8, v0, 7, v13
	v_cmp_lt_u32_e64 s[6:7], v1, v0
	s_waitcnt lgkmcnt(0)
	s_barrier
	s_and_saveexec_b64 s[4:5], s[6:7]
	s_cbranch_execz .LBB147_24
; %bb.23:
	s_movk_i32 s8, 0x210
	v_mad_u32_u24 v9, v12, s8, v13
	ds_read_b32 v9, v9
	v_lshl_add_u32 v10, v1, 2, v8
	s_waitcnt lgkmcnt(0)
	ds_write_b32 v10, v9
.LBB147_24:
	s_or_b64 exec, exec, s[4:5]
	v_or_b32_e32 v20, 1, v1
	v_cmp_lt_u32_e64 s[8:9], v20, v0
	s_and_saveexec_b64 s[4:5], s[8:9]
	s_cbranch_execz .LBB147_26
; %bb.25:
	s_movk_i32 s10, 0x84
	v_mad_u32_u24 v9, v20, s10, v13
	ds_read_b32 v9, v9
	v_lshl_add_u32 v10, v1, 2, v8
	s_waitcnt lgkmcnt(0)
	ds_write_b32 v10, v9 offset:4
.LBB147_26:
	s_or_b64 exec, exec, s[4:5]
	v_or_b32_e32 v9, 2, v1
	v_cmp_lt_u32_e64 s[10:11], v9, v0
	s_and_saveexec_b64 s[4:5], s[10:11]
	s_cbranch_execz .LBB147_28
; %bb.27:
	s_movk_i32 s12, 0x84
	v_mad_u32_u24 v9, v9, s12, v13
	ds_read_b32 v9, v9
	v_lshl_add_u32 v10, v1, 2, v8
	s_waitcnt lgkmcnt(0)
	ds_write_b32 v10, v9 offset:8
.LBB147_28:
	s_or_b64 exec, exec, s[4:5]
	v_or_b32_e32 v10, 3, v1
	v_cmp_lt_u32_e64 s[12:13], v10, v0
	v_cmp_ge_u32_e32 vcc, v10, v0
                                        ; implicit-def: $vgpr9
	s_and_saveexec_b64 s[4:5], vcc
	s_xor_b64 s[4:5], exec, s[4:5]
; %bb.29:
	v_mul_u32_u24_e32 v9, 0x84, v10
                                        ; implicit-def: $vgpr8
                                        ; implicit-def: $vgpr10
; %bb.30:
	s_andn2_saveexec_b64 s[4:5], s[4:5]
	s_cbranch_execz .LBB147_32
; %bb.31:
	s_movk_i32 s14, 0x84
	v_mad_u32_u24 v9, v10, s14, v13
	ds_read_b32 v11, v9
	v_lshl_add_u32 v8, v1, 2, v8
	v_mul_u32_u24_e32 v9, 0x84, v10
	s_waitcnt lgkmcnt(0)
	ds_write_b32 v8, v11 offset:12
.LBB147_32:
	s_or_b64 exec, exec, s[4:5]
	s_movk_i32 s4, 0x210
	v_mad_u32_u24 v8, v12, s4, v13
	s_movk_i32 s4, 0x84
	v_mad_u32_u24 v10, v20, s4, v13
	s_waitcnt lgkmcnt(0)
	s_barrier
	ds_read2_b32 v[28:29], v10 offset1:33
	v_lshlrev_b32_e32 v19, 2, v1
	ds_read_b32 v10, v8
	ds_read_b128 v[22:25], v19 offset:4544
	v_add_u32_e32 v21, v13, v9
	ds_read_b32 v9, v21
	s_waitcnt lgkmcnt(3)
	v_mov_b32_e32 v11, v28
	v_mov_b32_e32 v28, 0
	s_waitcnt lgkmcnt(1)
	v_pk_mul_f32 v[10:11], v[10:11], v[22:23]
	v_cmp_gt_u32_e64 s[4:5], 32, v14
	v_add_f32_e32 v8, 0, v10
	v_add_f32_e32 v10, v8, v11
	v_mov_b32_e32 v8, v29
	s_waitcnt lgkmcnt(0)
	v_pk_mul_f32 v[8:9], v[8:9], v[24:25]
	s_nop 0
	v_add_f32_e32 v8, v10, v8
	v_add_f32_e32 v8, v8, v9
	v_mul_u32_u24_e32 v9, 33, v0
	v_lshlrev_b32_e32 v15, 2, v9
	v_lshl_add_u32 v18, v12, 2, v15
	s_barrier
	ds_write_b32 v18, v8
	s_waitcnt lgkmcnt(0)
	s_barrier
	s_and_saveexec_b64 s[14:15], s[4:5]
	s_cbranch_execz .LBB147_34
; %bb.33:
	ds_read2_b32 v[8:9], v15 offset1:1
	ds_read2_b32 v[10:11], v15 offset0:2 offset1:3
	ds_read2_b32 v[22:23], v15 offset0:4 offset1:5
	ds_read2_b32 v[24:25], v15 offset0:6 offset1:7
	s_waitcnt lgkmcnt(3)
	v_add_f32_e32 v8, v8, v9
	s_waitcnt lgkmcnt(2)
	v_add_f32_e32 v8, v8, v10
	v_add_f32_e32 v8, v8, v11
	s_waitcnt lgkmcnt(1)
	v_add_f32_e32 v8, v8, v22
	;; [unrolled: 3-line block ×3, first 2 shown]
	v_add_f32_e32 v28, v8, v25
.LBB147_34:
	s_or_b64 exec, exec, s[14:15]
	s_lshl_b64 s[26:27], s[22:23], 7
	v_lshl_add_u64 v[10:11], v[2:3], 0, s[26:27]
	v_cndmask_b32_e64 v2, 0, 1, s[18:19]
	s_lshl_b64 s[40:41], s[22:23], 5
	s_mov_b64 s[42:43], 0x80
	v_cmp_ne_u32_e64 s[14:15], 1, v2
	s_andn2_b64 vcc, exec, s[18:19]
	s_mov_b64 s[18:19], -1
	s_barrier
	s_cbranch_vccnz .LBB147_36
; %bb.35:
	v_lshl_add_u64 v[2:3], v[10:11], 0, s[40:41]
	v_lshl_add_u64 v[8:9], v[2:3], 0, s[40:41]
	;; [unrolled: 1-line block ×3, first 2 shown]
	flat_load_dword v24, v[10:11] offset:128
	flat_load_dword v25, v[2:3] offset:128
	;; [unrolled: 1-line block ×4, first 2 shown]
	s_movk_i32 s18, 0x84
	v_mad_u32_u24 v2, v12, s18, v13
	s_mov_b64 s[18:19], 0
	s_waitcnt vmcnt(0) lgkmcnt(0)
	ds_write_b32 v2, v24
	ds_write_b32 v2, v25 offset:1056
	ds_write_b32 v2, v29 offset:2112
	;; [unrolled: 1-line block ×3, first 2 shown]
.LBB147_36:
	s_andn2_b64 vcc, exec, s[18:19]
	v_lshl_add_u64 v[2:3], v[10:11], 0, s[42:43]
	s_cbranch_vccnz .LBB147_46
; %bb.37:
	v_lshlrev_b32_e32 v8, 2, v0
	v_sub_co_u32_e32 v10, vcc, v10, v8
	s_ashr_i32 s29, s28, 31
	s_nop 0
	v_subbrev_co_u32_e32 v11, vcc, 0, v11, vcc
	v_or_b32_e32 v9, 32, v0
	v_lshl_add_u64 v[10:11], s[28:29], 2, v[10:11]
	v_lshl_add_u64 v[10:11], v[10:11], 0, -4
	v_cmp_gt_i32_e32 vcc, s28, v9
	s_sub_i32 s44, s28, 32
	v_mov_b32_e32 v22, 0
	v_cndmask_b32_e32 v11, v11, v3, vcc
	v_cndmask_b32_e32 v10, v10, v2, vcc
	v_cmp_gt_i32_e64 s[18:19], s44, v12
	v_mov_b32_e32 v23, 0
	s_and_saveexec_b64 s[42:43], s[18:19]
	s_cbranch_execz .LBB147_39
; %bb.38:
	flat_load_dword v23, v[10:11]
.LBB147_39:
	s_or_b64 exec, exec, s[42:43]
	s_movk_i32 s18, 0x84
	v_mad_u32_u24 v24, v12, s18, v13
	s_waitcnt vmcnt(0) lgkmcnt(0)
	ds_write_b32 v24, v23
	v_add_u32_e32 v23, 8, v12
	v_mul_u32_u24_e32 v9, 0x84, v12
	v_cmp_gt_i32_e64 s[18:19], s44, v23
	s_and_saveexec_b64 s[42:43], s[18:19]
	s_cbranch_execz .LBB147_41
; %bb.40:
	v_lshl_add_u64 v[22:23], v[10:11], 0, s[40:41]
	flat_load_dword v22, v[22:23]
.LBB147_41:
	s_or_b64 exec, exec, s[42:43]
	v_add_u32_e32 v9, v9, v13
	s_waitcnt vmcnt(0) lgkmcnt(0)
	ds_write_b32 v9, v22 offset:1056
	v_add_u32_e32 v22, 16, v12
	v_cmp_gt_i32_e64 s[18:19], s44, v22
	v_mov_b32_e32 v22, 0
	v_mov_b32_e32 v23, 0
	s_and_saveexec_b64 s[42:43], s[18:19]
	s_cbranch_execz .LBB147_43
; %bb.42:
	s_lshl_b64 s[18:19], s[22:23], 6
	v_lshl_add_u64 v[24:25], v[10:11], 0, s[18:19]
	flat_load_dword v23, v[24:25]
.LBB147_43:
	s_or_b64 exec, exec, s[42:43]
	s_waitcnt vmcnt(0) lgkmcnt(0)
	ds_write_b32 v9, v23 offset:2112
	v_add_u32_e32 v23, 24, v12
	v_cmp_gt_i32_e64 s[18:19], s44, v23
	s_and_saveexec_b64 s[42:43], s[18:19]
	s_cbranch_execz .LBB147_45
; %bb.44:
	v_mov_b32_e32 v22, 0x60
	v_mad_u64_u32 v[22:23], s[18:19], s22, v22, v[10:11]
	s_mul_i32 s18, s23, 0x60
	s_nop 0
	v_add_u32_e32 v23, s18, v23
	flat_load_dword v22, v[22:23]
.LBB147_45:
	s_or_b64 exec, exec, s[42:43]
	s_waitcnt vmcnt(0) lgkmcnt(0)
	ds_write_b32 v9, v22 offset:3168
	v_mov_b32_e32 v9, 0
	v_lshl_add_u64 v[8:9], v[10:11], 0, v[8:9]
	s_lshl_b64 s[18:19], s[28:29], 2
	v_mov_b32_e32 v10, s19
	v_subrev_co_u32_e64 v8, s[18:19], s18, v8
	s_nop 1
	v_subb_co_u32_e64 v9, s[18:19], v9, v10, s[18:19]
	s_mov_b64 s[18:19], 0x84
	s_nop 0
	v_lshl_add_u64 v[8:9], v[8:9], 0, s[18:19]
	v_cndmask_b32_e32 v3, v9, v3, vcc
	v_cndmask_b32_e32 v2, v8, v2, vcc
.LBB147_46:
	v_mul_u32_u24_e32 v8, 0x210, v12
	v_add_u32_e32 v19, 0x11c0, v19
	v_mul_u32_u24_e32 v9, 0x84, v20
	v_add_u32_e32 v8, v13, v8
	s_waitcnt lgkmcnt(0)
	s_barrier
	s_and_saveexec_b64 s[18:19], s[6:7]
	s_cbranch_execnz .LBB147_55
; %bb.47:
	s_or_b64 exec, exec, s[18:19]
	v_add_u32_e32 v9, v13, v9
	s_and_saveexec_b64 s[6:7], s[8:9]
	s_cbranch_execnz .LBB147_56
.LBB147_48:
	s_or_b64 exec, exec, s[6:7]
	s_and_saveexec_b64 s[6:7], s[10:11]
	s_cbranch_execnz .LBB147_57
.LBB147_49:
	s_or_b64 exec, exec, s[6:7]
	s_and_saveexec_b64 s[6:7], s[12:13]
	s_cbranch_execz .LBB147_51
.LBB147_50:
	ds_read_b32 v10, v21
	v_lshl_add_u32 v11, v1, 2, v15
	s_waitcnt lgkmcnt(0)
	ds_write_b32 v11, v10 offset:12
.LBB147_51:
	s_or_b64 exec, exec, s[6:7]
	s_waitcnt lgkmcnt(0)
	s_barrier
	ds_read2_b32 v[24:25], v9 offset1:33
	ds_read_b32 v22, v8
	ds_read_b128 v[8:11], v19 offset:128
	ds_read_b32 v21, v21
	v_cmp_eq_u32_e64 s[6:7], 1, v12
	s_waitcnt lgkmcnt(3)
	v_mov_b32_e32 v23, v24
	v_mov_b32_e32 v20, v25
	s_waitcnt lgkmcnt(1)
	v_pk_mul_f32 v[8:9], v[22:23], v[8:9]
	s_waitcnt lgkmcnt(0)
	v_add_f32_e32 v8, 0, v8
	v_add_f32_e32 v22, v8, v9
	v_pk_mul_f32 v[8:9], v[20:21], v[10:11]
	s_barrier
	v_add_f32_e32 v8, v22, v8
	v_add_f32_e32 v8, v8, v9
	ds_write_b32 v18, v8
	s_waitcnt lgkmcnt(0)
	s_barrier
	s_and_saveexec_b64 s[8:9], s[6:7]
	s_cbranch_execz .LBB147_53
; %bb.52:
	ds_read2_b32 v[8:9], v15 offset1:1
	ds_read2_b32 v[10:11], v15 offset0:2 offset1:3
	ds_read2_b32 v[20:21], v15 offset0:4 offset1:5
	;; [unrolled: 1-line block ×3, first 2 shown]
	s_waitcnt lgkmcnt(3)
	v_add_f32_e32 v8, v8, v9
	s_waitcnt lgkmcnt(2)
	v_add_f32_e32 v8, v8, v10
	v_add_f32_e32 v8, v8, v11
	s_waitcnt lgkmcnt(1)
	v_add_f32_e32 v8, v8, v20
	;; [unrolled: 3-line block ×3, first 2 shown]
	v_add_f32_e32 v28, v8, v23
.LBB147_53:
	s_or_b64 exec, exec, s[8:9]
	s_lshl_b64 s[8:9], s[40:41], 2
	v_mov_b32_e32 v9, s9
	v_subrev_co_u32_e64 v8, s[8:9], s8, v2
	s_and_b64 vcc, exec, s[14:15]
	s_nop 0
	v_subb_co_u32_e64 v9, s[8:9], v3, v9, s[8:9]
	s_barrier
	s_cbranch_vccnz .LBB147_58
; %bb.54:
	v_lshl_add_u64 v[2:3], v[8:9], 0, s[40:41]
	v_lshl_add_u64 v[10:11], v[2:3], 0, s[40:41]
	;; [unrolled: 1-line block ×3, first 2 shown]
	flat_load_dword v25, v[8:9]
	flat_load_dword v29, v[2:3]
	;; [unrolled: 1-line block ×4, first 2 shown]
	s_movk_i32 s8, 0x84
	v_mov_b32_e32 v2, 0x420
	v_mov_b32_e32 v3, 0x840
	;; [unrolled: 1-line block ×3, first 2 shown]
	v_mul_u32_u24_e32 v11, 0x84, v12
	v_add_u32_e32 v10, 8, v12
	v_add_u32_e32 v20, 16, v12
	;; [unrolled: 1-line block ×3, first 2 shown]
	v_mad_u32_u24 v32, v12, s8, v13
	v_mad_u32_u24 v21, v12, s8, v2
	;; [unrolled: 1-line block ×4, first 2 shown]
	v_add_u32_e32 v2, v13, v21
	v_add_u32_e32 v3, v13, v23
	;; [unrolled: 1-line block ×3, first 2 shown]
	s_waitcnt vmcnt(0) lgkmcnt(0)
	ds_write_b32 v32, v25
	ds_write_b32 v2, v29
	;; [unrolled: 1-line block ×4, first 2 shown]
	s_cbranch_execz .LBB147_59
	s_branch .LBB147_68
.LBB147_55:
	ds_read_b32 v10, v8
	v_lshl_add_u32 v11, v1, 2, v15
	s_waitcnt lgkmcnt(0)
	ds_write_b32 v11, v10
	s_or_b64 exec, exec, s[18:19]
	v_add_u32_e32 v9, v13, v9
	s_and_saveexec_b64 s[6:7], s[8:9]
	s_cbranch_execz .LBB147_48
.LBB147_56:
	ds_read_b32 v10, v9
	v_lshl_add_u32 v11, v1, 2, v15
	s_waitcnt lgkmcnt(0)
	ds_write_b32 v11, v10 offset:4
	s_or_b64 exec, exec, s[6:7]
	s_and_saveexec_b64 s[6:7], s[10:11]
	s_cbranch_execz .LBB147_49
.LBB147_57:
	ds_read_b32 v10, v9 offset:132
	v_lshl_add_u32 v11, v1, 2, v15
	s_waitcnt lgkmcnt(0)
	ds_write_b32 v11, v10 offset:8
	s_or_b64 exec, exec, s[6:7]
	s_and_saveexec_b64 s[6:7], s[12:13]
	s_cbranch_execnz .LBB147_50
	s_branch .LBB147_51
.LBB147_58:
                                        ; implicit-def: $vgpr11
                                        ; implicit-def: $vgpr10
                                        ; implicit-def: $vgpr21
                                        ; implicit-def: $vgpr20
                                        ; implicit-def: $vgpr23
                                        ; implicit-def: $vgpr22
                                        ; implicit-def: $vgpr24
.LBB147_59:
	v_or_b32_e32 v10, 32, v0
	v_lshlrev_b32_e32 v2, 2, v10
	v_sub_co_u32_e32 v2, vcc, v8, v2
	s_ashr_i32 s29, s28, 31
	s_nop 0
	v_subbrev_co_u32_e32 v3, vcc, 0, v9, vcc
	v_lshl_add_u64 v[2:3], s[28:29], 2, v[2:3]
	v_lshl_add_u64 v[2:3], v[2:3], 0, -4
	v_cmp_gt_i32_e32 vcc, s28, v10
	v_mov_b32_e32 v20, 0
	v_cmp_gt_i32_e64 s[8:9], s28, v12
	v_cndmask_b32_e32 v3, v3, v9, vcc
	v_cndmask_b32_e32 v2, v2, v8, vcc
	v_mov_b32_e32 v10, 0
	s_and_saveexec_b64 s[10:11], s[8:9]
	s_cbranch_execz .LBB147_61
; %bb.60:
	flat_load_dword v10, v[2:3]
.LBB147_61:
	s_or_b64 exec, exec, s[10:11]
	s_movk_i32 s8, 0x84
	v_mad_u32_u24 v21, v12, s8, v13
	s_waitcnt vmcnt(0) lgkmcnt(0)
	ds_write_b32 v21, v10
	v_add_u32_e32 v10, 8, v12
	v_mul_u32_u24_e32 v11, 0x84, v12
	v_cmp_gt_i32_e64 s[8:9], s28, v10
	s_and_saveexec_b64 s[10:11], s[8:9]
	s_cbranch_execz .LBB147_63
; %bb.62:
	v_lshl_add_u64 v[20:21], v[2:3], 0, s[40:41]
	flat_load_dword v20, v[20:21]
.LBB147_63:
	s_or_b64 exec, exec, s[10:11]
	v_add_u32_e32 v21, 0x420, v11
	v_add_u32_e32 v22, v13, v21
	s_waitcnt vmcnt(0) lgkmcnt(0)
	ds_write_b32 v22, v20
	v_add_u32_e32 v20, 16, v12
	v_cmp_gt_i32_e64 s[8:9], s28, v20
	v_mov_b32_e32 v25, 0
	v_mov_b32_e32 v22, 0
	s_and_saveexec_b64 s[10:11], s[8:9]
	s_cbranch_execz .LBB147_65
; %bb.64:
	s_lshl_b64 s[8:9], s[22:23], 6
	v_lshl_add_u64 v[22:23], v[2:3], 0, s[8:9]
	flat_load_dword v22, v[22:23]
.LBB147_65:
	s_or_b64 exec, exec, s[10:11]
	v_add_u32_e32 v23, 0x420, v21
	v_add_u32_e32 v24, v13, v23
	s_waitcnt vmcnt(0) lgkmcnt(0)
	ds_write_b32 v24, v22
	v_add_u32_e32 v22, 24, v12
	v_cmp_gt_i32_e64 s[8:9], s28, v22
	s_and_saveexec_b64 s[10:11], s[8:9]
	s_cbranch_execz .LBB147_67
; %bb.66:
	v_mov_b32_e32 v12, 0x60
	v_mad_u64_u32 v[24:25], s[8:9], s22, v12, v[2:3]
	s_mul_i32 s8, s23, 0x60
	s_nop 0
	v_add_u32_e32 v25, s8, v25
	flat_load_dword v25, v[24:25]
.LBB147_67:
	s_or_b64 exec, exec, s[10:11]
	v_lshlrev_b32_e32 v30, 2, v0
	v_mov_b32_e32 v31, 0
	v_lshl_add_u64 v[2:3], v[2:3], 0, v[30:31]
	s_lshl_b64 s[8:9], s[28:29], 2
	v_mov_b32_e32 v0, s9
	v_subrev_co_u32_e64 v2, s[8:9], s8, v2
	v_add_u32_e32 v24, 0x420, v23
	s_nop 0
	v_subb_co_u32_e64 v3, s[8:9], v3, v0, s[8:9]
	s_mov_b64 s[8:9], 0x84
	s_nop 0
	v_lshl_add_u64 v[2:3], v[2:3], 0, s[8:9]
	v_add_u32_e32 v12, v13, v24
	v_cndmask_b32_e32 v9, v3, v9, vcc
	v_cndmask_b32_e32 v8, v2, v8, vcc
	s_waitcnt vmcnt(0) lgkmcnt(0)
	ds_write_b32 v12, v25
.LBB147_68:
	v_add_u32_e32 v0, v13, v11
	s_waitcnt lgkmcnt(0)
	s_barrier
	v_add_u32_e32 v2, v13, v21
	ds_read_b32 v30, v0
	ds_read_b32 v12, v1 offset:4544
	ds_read_b32 v31, v2
	v_lshlrev_b32_e32 v0, 2, v10
	v_add_u32_e32 v2, v13, v23
	v_lshlrev_b32_e32 v3, 2, v20
	v_add_u32_e32 v10, v13, v24
	v_lshlrev_b32_e32 v11, 2, v22
	ds_read_b32 v13, v0 offset:4544
	ds_read_b32 v20, v2
	ds_read_b32 v22, v3 offset:4544
	ds_read_b32 v21, v10
	ds_read_b32 v23, v11 offset:4544
	v_lshl_add_u32 v29, v1, 2, v15
	ds_read2_b32 v[10:11], v29 offset1:1
	ds_read_b128 v[0:3], v19 offset:128
	s_waitcnt lgkmcnt(6)
	v_pk_mul_f32 v[24:25], v[30:31], v[12:13]
	ds_read2_b32 v[12:13], v29 offset0:2 offset1:3
	v_add_f32_e32 v19, 0, v24
	s_waitcnt lgkmcnt(3)
	v_pk_mul_f32 v[20:21], v[20:21], v[22:23]
	v_add_f32_e32 v19, v19, v25
	v_add_f32_e32 v19, v19, v20
	;; [unrolled: 1-line block ×3, first 2 shown]
	s_waitcnt lgkmcnt(0)
	s_barrier
	ds_write_b32 v18, v19
	s_waitcnt lgkmcnt(0)
	s_barrier
	s_and_saveexec_b64 s[8:9], s[6:7]
	s_cbranch_execz .LBB147_70
; %bb.69:
	ds_read2_b32 v[20:21], v15 offset1:1
	ds_read2_b32 v[22:23], v15 offset0:2 offset1:3
	ds_read2_b32 v[24:25], v15 offset0:4 offset1:5
	;; [unrolled: 1-line block ×3, first 2 shown]
	s_waitcnt lgkmcnt(3)
	v_add_f32_e32 v19, v28, v20
	v_add_f32_e32 v19, v19, v21
	s_waitcnt lgkmcnt(2)
	v_add_f32_e32 v19, v19, v22
	v_add_f32_e32 v19, v19, v23
	;; [unrolled: 3-line block ×4, first 2 shown]
.LBB147_70:
	s_or_b64 exec, exec, s[8:9]
	v_fma_f32 v0, v10, v0, 0
	v_fmac_f32_e32 v0, v11, v1
	v_fmac_f32_e32 v0, v12, v2
	;; [unrolled: 1-line block ×3, first 2 shown]
	s_barrier
	ds_write_b32 v18, v0
	s_waitcnt lgkmcnt(0)
	s_barrier
	s_and_saveexec_b64 s[6:7], s[4:5]
	s_cbranch_execz .LBB147_72
; %bb.71:
	ds_read2_b32 v[0:1], v15 offset1:1
	ds_read2_b32 v[2:3], v15 offset0:2 offset1:3
	ds_read2_b32 v[10:11], v15 offset0:4 offset1:5
	;; [unrolled: 1-line block ×3, first 2 shown]
	s_waitcnt lgkmcnt(3)
	v_add_f32_e32 v0, v28, v0
	v_add_f32_e32 v0, v0, v1
	s_waitcnt lgkmcnt(2)
	v_add_f32_e32 v0, v0, v2
	v_add_f32_e32 v0, v0, v3
	;; [unrolled: 3-line block ×4, first 2 shown]
.LBB147_72:
	s_or_b64 exec, exec, s[6:7]
	s_mul_hi_u32 s4, s25, s24
	s_mul_i32 s33, s33, s24
	s_add_i32 s4, s4, s33
	s_mul_i32 s6, s25, s24
	s_mul_i32 s4, s4, s3
	s_mul_hi_u32 s5, s6, s3
	s_add_i32 s5, s5, s4
	s_mul_i32 s4, s6, s3
	s_lshl_b64 s[4:5], s[4:5], 2
	s_add_u32 s3, s30, s4
	s_mul_i32 s4, s25, s2
	s_addc_u32 s7, s31, s5
	s_ashr_i32 s5, s4, 31
	s_lshl_b64 s[4:5], s[4:5], 2
	s_add_u32 s6, s3, s4
	v_cmp_le_i32_e32 vcc, s28, v27
	s_addc_u32 s7, s7, s5
	s_and_b64 vcc, s[38:39], vcc
	s_cmp_lt_i32 s2, 1
	v_lshlrev_b32_e32 v18, 2, v27
	s_barrier
	s_cbranch_scc1 .LBB147_79
; %bb.73:
	s_mul_i32 s3, s20, s35
	s_mul_hi_u32 s4, s20, s34
	s_add_i32 s3, s4, s3
	s_mul_i32 s4, s21, s34
	s_add_i32 s5, s3, s4
	s_mul_i32 s4, s20, s34
	s_lshl_b64 s[4:5], s[4:5], 2
	v_mov_b32_e32 v0, s5
	v_subrev_co_u32_e64 v20, s[4:5], s4, v4
	v_lshlrev_b64 v[2:3], 2, v[6:7]
	s_nop 0
	v_subb_co_u32_e64 v21, s[4:5], v5, v0, s[4:5]
	s_lshl_b64 s[4:5], s[36:37], 2
	s_nop 0
	v_mov_b32_e32 v1, s5
	v_subrev_co_u32_e64 v0, s[4:5], s4, v8
	v_lshlrev_b32_e32 v5, 2, v26
	s_nop 0
	v_subb_co_u32_e64 v1, s[4:5], v9, v1, s[4:5]
	s_movk_i32 s4, 0xff80
	s_mov_b32 s5, -1
	v_lshl_add_u64 v[0:1], v[0:1], 0, s[4:5]
	v_sub_co_u32_e64 v0, s[4:5], v0, v2
	s_ashr_i32 s29, s28, 31
	s_nop 0
	v_subb_co_u32_e64 v1, s[4:5], v1, v3, s[4:5]
	v_mad_u64_u32 v[2:3], s[4:5], s22, v5, 0
	v_mov_b32_e32 v4, v3
	v_mad_u64_u32 v[4:5], s[4:5], s23, v5, v[4:5]
	v_mov_b32_e32 v3, v4
	v_lshl_add_u64 v[0:1], v[2:3], 2, v[0:1]
	v_mov_b32_e32 v23, 0
	v_lshl_add_u64 v[2:3], s[28:29], 2, v[0:1]
	v_mov_b32_e32 v19, v23
	v_lshl_add_u64 v[2:3], v[2:3], 0, -4
	v_lshl_add_u64 v[0:1], v[0:1], 0, v[18:19]
	v_cndmask_b32_e32 v24, v0, v2, vcc
	s_movk_i32 s3, 0x430
	v_lshrrev_b32_e32 v2, 2, v14
	v_and_b32_e32 v10, 15, v27
	v_mad_u32_u24 v31, v26, s3, v18
	s_movk_i32 s3, 0x10c
	v_and_b32_e32 v2, 0x7ffc, v2
	v_mad_u32_u24 v32, v10, s3, v2
	v_and_b32_e32 v2, 48, v27
	v_lshlrev_b32_e32 v2, 2, v2
	v_mad_u32_u24 v33, v10, s3, v2
	v_or_b32_e32 v2, 60, v18
	v_mad_u32_u24 v34, v10, s3, v2
	s_mul_i32 s3, s23, 12
	s_mul_hi_u32 s14, s22, 12
	s_add_i32 s15, s14, s3
	s_mul_i32 s3, s23, 0x48
	s_mul_hi_u32 s24, s22, 0x48
	s_add_i32 s25, s24, s3
	;; [unrolled: 3-line block ×8, first 2 shown]
	s_mul_i32 s3, s23, 0xc4
	s_mul_hi_u32 s33, s22, 0xc4
	v_mov_b32_e32 v0, 0x10c0
	s_add_i32 s43, s33, s3
	s_mul_i32 s3, s23, 0x84
	s_mul_hi_u32 s33, s22, 0x84
	v_cndmask_b32_e32 v25, v1, v3, vcc
	v_lshl_add_u32 v29, v26, 4, v0
	v_mul_u32_u24_e32 v0, 0x10c, v10
	v_and_b32_e32 v1, 0x1fff0, v14
	s_lshl_b64 s[8:9], s[22:23], 2
	s_lshl_b64 s[10:11], s[22:23], 3
	;; [unrolled: 1-line block ×4, first 2 shown]
	s_add_i32 s45, s33, s3
	s_mul_i32 s3, s23, 0x44
	s_mul_hi_u32 s23, s22, 0x44
	v_add_u32_e32 v19, 0x10c0, v18
	v_add_u32_e32 v30, 0x11c0, v18
	v_cmp_gt_u32_e64 s[4:5], 64, v14
	s_mul_i32 s14, s22, 12
	s_mul_i32 s24, s22, 0x48
	s_mul_i32 s28, s22, 0x4c
	s_mul_i32 s30, s22, 0x88
	s_mul_i32 s34, s22, 0x8c
	s_mul_i32 s36, s22, 0xc0
	s_mul_i32 s38, s22, 0xc8
	s_mul_i32 s40, s22, 0xcc
	s_mul_i32 s42, s22, 0xc4
	s_mul_i32 s44, s22, 0x84
	s_add_i32 s23, s23, s3
	s_mulk_i32 s22, 0x44
	s_mov_b32 s3, 0
	v_add_u32_e32 v35, v0, v1
	s_branch .LBB147_75
.LBB147_74:                             ;   in Loop: Header=BB147_75 Depth=1
	s_or_b64 exec, exec, s[46:47]
	v_fmac_f32_e32 v28, v39, v0
	v_fmac_f32_e32 v28, v38, v1
	;; [unrolled: 1-line block ×15, first 2 shown]
	s_add_i32 s3, s3, 64
	s_add_i32 s2, s2, -1
	v_fmac_f32_e32 v28, v48, v15
	s_cmp_eq_u32 s2, 0
	v_lshl_add_u64 v[24:25], v[24:25], 0, s[12:13]
	s_barrier
	s_cbranch_scc1 .LBB147_79
.LBB147_75:                             ; =>This Inner Loop Header: Depth=1
	s_and_saveexec_b64 s[46:47], s[16:17]
	s_cbranch_execz .LBB147_77
; %bb.76:                               ;   in Loop: Header=BB147_75 Depth=1
	s_mul_i32 s33, s21, s3
	s_mul_hi_u32 s48, s20, s3
	s_add_i32 s49, s48, s33
	s_mul_i32 s48, s20, s3
	v_lshl_add_u64 v[0:1], s[48:49], 2, v[20:21]
	flat_load_dword v0, v[0:1]
	s_waitcnt vmcnt(0) lgkmcnt(0)
	ds_write_b32 v19, v0
.LBB147_77:                             ;   in Loop: Header=BB147_75 Depth=1
	s_or_b64 exec, exec, s[46:47]
	s_waitcnt lgkmcnt(0)
	s_barrier
	v_lshl_add_u64 v[0:1], v[24:25], 0, s[8:9]
	v_lshl_add_u64 v[2:3], v[24:25], 0, s[10:11]
	;; [unrolled: 1-line block ×3, first 2 shown]
	flat_load_dword v39, v[24:25]
	flat_load_dword v38, v[0:1]
	;; [unrolled: 1-line block ×4, first 2 shown]
	ds_read_b32 v12, v30
	ds_read_b128 v[0:3], v29
	v_lshl_add_u64 v[4:5], v[24:25], 0, s[18:19]
	v_lshl_add_u64 v[6:7], v[24:25], 0, s[22:23]
	;; [unrolled: 1-line block ×10, first 2 shown]
	s_waitcnt vmcnt(0) lgkmcnt(0)
	v_mul_f32_e32 v13, v39, v12
	v_mul_f32_e32 v14, v38, v12
	;; [unrolled: 1-line block ×4, first 2 shown]
	ds_write2_b32 v31, v13, v14 offset1:67
	ds_write2_b32 v31, v15, v12 offset0:134 offset1:201
	s_waitcnt lgkmcnt(0)
	s_barrier
	ds_read2_b32 v[12:13], v35 offset1:1
	ds_read2_b32 v[14:15], v35 offset0:2 offset1:3
	s_waitcnt lgkmcnt(0)
	s_barrier
	flat_load_dword v43, v[4:5]
	flat_load_dword v42, v[6:7]
	;; [unrolled: 1-line block ×4, first 2 shown]
	ds_read_b32 v22, v30
	ds_read_b128 v[4:7], v29 offset:64
	v_lshl_add_u64 v[8:9], v[24:25], 0, s[26:27]
	v_lshl_add_u64 v[10:11], v[24:25], 0, s[44:45]
	v_add_f32_e32 v12, 0, v12
	v_add_f32_e32 v12, v12, v13
	;; [unrolled: 1-line block ×3, first 2 shown]
	s_waitcnt vmcnt(0) lgkmcnt(0)
	v_mul_f32_e32 v44, v43, v22
	v_mul_f32_e32 v45, v42, v22
	;; [unrolled: 1-line block ×4, first 2 shown]
	ds_write2_b32 v31, v44, v45 offset1:67
	ds_write2_b32 v31, v46, v22 offset0:134 offset1:201
	s_waitcnt lgkmcnt(0)
	s_barrier
	ds_read2_b32 v[52:53], v35 offset1:1
	ds_read2_b32 v[54:55], v35 offset0:2 offset1:3
	s_waitcnt lgkmcnt(0)
	s_barrier
	flat_load_dword v47, v[8:9]
	flat_load_dword v46, v[10:11]
	;; [unrolled: 1-line block ×4, first 2 shown]
	ds_read_b32 v22, v30
	ds_read_b128 v[8:11], v29 offset:128
	s_waitcnt vmcnt(0) lgkmcnt(0)
	v_mul_f32_e32 v48, v47, v22
	v_mul_f32_e32 v49, v46, v22
	;; [unrolled: 1-line block ×4, first 2 shown]
	ds_write2_b32 v31, v48, v49 offset1:67
	ds_write2_b32 v31, v50, v22 offset0:134 offset1:201
	s_waitcnt lgkmcnt(0)
	s_barrier
	ds_read2_b32 v[64:65], v35 offset1:1
	ds_read2_b32 v[66:67], v35 offset0:2 offset1:3
	s_waitcnt lgkmcnt(0)
	s_barrier
	flat_load_dword v51, v[56:57]
	flat_load_dword v50, v[58:59]
	;; [unrolled: 1-line block ×4, first 2 shown]
	v_add_f32_e32 v22, v12, v15
	v_add_f32_e32 v12, 0, v52
	;; [unrolled: 1-line block ×5, first 2 shown]
	ds_read_b32 v52, v30
	ds_read_b128 v[12:15], v29 offset:192
	v_add_f32_e32 v53, 0, v64
	v_add_f32_e32 v53, v53, v65
	;; [unrolled: 1-line block ×4, first 2 shown]
	s_waitcnt vmcnt(0) lgkmcnt(0)
	v_mul_f32_e32 v53, v51, v52
	v_mul_f32_e32 v54, v50, v52
	;; [unrolled: 1-line block ×4, first 2 shown]
	ds_write2_b32 v31, v53, v54 offset1:67
	ds_write2_b32 v31, v55, v52 offset0:134 offset1:201
	s_waitcnt lgkmcnt(0)
	s_barrier
	ds_read2_b32 v[52:53], v35 offset1:1
	ds_read2_b32 v[54:55], v35 offset0:2 offset1:3
	s_waitcnt lgkmcnt(0)
	s_barrier
	ds_write2_b32 v32, v22, v56 offset1:16
	v_add_f32_e32 v22, 0, v52
	v_add_f32_e32 v22, v22, v53
	;; [unrolled: 1-line block ×4, first 2 shown]
	ds_write2_b32 v32, v57, v22 offset0:32 offset1:48
	s_waitcnt lgkmcnt(0)
	s_barrier
	s_and_saveexec_b64 s[46:47], s[4:5]
	s_cbranch_execz .LBB147_74
; %bb.78:                               ;   in Loop: Header=BB147_75 Depth=1
	ds_read2_b32 v[52:53], v33 offset1:1
	ds_read2_b32 v[54:55], v33 offset0:2 offset1:3
	ds_read2_b32 v[56:57], v33 offset0:4 offset1:5
	;; [unrolled: 1-line block ×4, first 2 shown]
	s_waitcnt lgkmcnt(4)
	v_add_f32_e32 v22, v52, v53
	s_waitcnt lgkmcnt(3)
	v_add_f32_e32 v22, v22, v54
	v_add_f32_e32 v22, v22, v55
	s_waitcnt lgkmcnt(2)
	v_add_f32_e32 v22, v22, v56
	;; [unrolled: 3-line block ×3, first 2 shown]
	v_add_f32_e32 v22, v22, v59
	ds_read2_b32 v[52:53], v33 offset0:10 offset1:11
	ds_read2_b32 v[54:55], v33 offset0:12 offset1:13
	ds_read_b32 v56, v33 offset:56
	s_waitcnt lgkmcnt(3)
	v_add_f32_e32 v22, v22, v60
	v_add_f32_e32 v22, v22, v61
	s_waitcnt lgkmcnt(2)
	v_add_f32_e32 v22, v22, v52
	ds_read_b32 v52, v34
	v_add_f32_e32 v22, v22, v53
	s_waitcnt lgkmcnt(2)
	v_add_f32_e32 v22, v22, v54
	v_add_f32_e32 v22, v22, v55
	s_waitcnt lgkmcnt(1)
	v_add_f32_e32 v22, v22, v56
	s_waitcnt lgkmcnt(0)
	v_add_f32_e32 v54, v22, v52
	v_add_u32_e32 v22, s3, v27
	v_lshl_add_u64 v[52:53], v[22:23], 2, s[6:7]
	global_store_dword v[52:53], v54, off
	s_branch .LBB147_74
.LBB147_79:
	s_movk_i32 s2, 0x10c
	v_mad_u32_u24 v0, v26, s2, v18
	s_nor_b64 s[0:1], s[0:1], vcc
	ds_write_b32 v0, v28
	s_waitcnt lgkmcnt(0)
	s_barrier
	s_and_saveexec_b64 s[2:3], s[0:1]
	s_cbranch_execz .LBB147_4
; %bb.80:
	ds_read2_b32 v[0:1], v18 offset1:67
	ds_read2_b32 v[2:3], v18 offset0:134 offset1:201
	s_waitcnt lgkmcnt(1)
	v_add_f32_e32 v0, v0, v1
	s_waitcnt lgkmcnt(0)
	v_add_f32_e32 v0, v0, v2
	v_add_f32_e32 v2, v0, v3
	v_lshl_add_u64 v[0:1], v[16:17], 2, s[6:7]
	global_store_dword v[0:1], v2, off
	s_endpgm
	.section	.rodata,"a",@progbits
	.p2align	6, 0x0
	.amdhsa_kernel _ZL26rocblas_hemvn_kernel_lowerILb0ELi64ELi4ELi33ELi32ELi16ElPKfPKS1_PfEviT6_lT7_lT5_lS6_lS7_lS5_lT8_i
		.amdhsa_group_segment_fixed_size 4800
		.amdhsa_private_segment_fixed_size 0
		.amdhsa_kernarg_size 376
		.amdhsa_user_sgpr_count 2
		.amdhsa_user_sgpr_dispatch_ptr 0
		.amdhsa_user_sgpr_queue_ptr 0
		.amdhsa_user_sgpr_kernarg_segment_ptr 1
		.amdhsa_user_sgpr_dispatch_id 0
		.amdhsa_user_sgpr_kernarg_preload_length 0
		.amdhsa_user_sgpr_kernarg_preload_offset 0
		.amdhsa_user_sgpr_private_segment_size 0
		.amdhsa_uses_dynamic_stack 0
		.amdhsa_enable_private_segment 0
		.amdhsa_system_sgpr_workgroup_id_x 1
		.amdhsa_system_sgpr_workgroup_id_y 0
		.amdhsa_system_sgpr_workgroup_id_z 1
		.amdhsa_system_sgpr_workgroup_info 0
		.amdhsa_system_vgpr_workitem_id 1
		.amdhsa_next_free_vgpr 68
		.amdhsa_next_free_sgpr 50
		.amdhsa_accum_offset 68
		.amdhsa_reserve_vcc 1
		.amdhsa_float_round_mode_32 0
		.amdhsa_float_round_mode_16_64 0
		.amdhsa_float_denorm_mode_32 3
		.amdhsa_float_denorm_mode_16_64 3
		.amdhsa_dx10_clamp 1
		.amdhsa_ieee_mode 1
		.amdhsa_fp16_overflow 0
		.amdhsa_tg_split 0
		.amdhsa_exception_fp_ieee_invalid_op 0
		.amdhsa_exception_fp_denorm_src 0
		.amdhsa_exception_fp_ieee_div_zero 0
		.amdhsa_exception_fp_ieee_overflow 0
		.amdhsa_exception_fp_ieee_underflow 0
		.amdhsa_exception_fp_ieee_inexact 0
		.amdhsa_exception_int_div_zero 0
	.end_amdhsa_kernel
	.section	.text._ZL26rocblas_hemvn_kernel_lowerILb0ELi64ELi4ELi33ELi32ELi16ElPKfPKS1_PfEviT6_lT7_lT5_lS6_lS7_lS5_lT8_i,"axG",@progbits,_ZL26rocblas_hemvn_kernel_lowerILb0ELi64ELi4ELi33ELi32ELi16ElPKfPKS1_PfEviT6_lT7_lT5_lS6_lS7_lS5_lT8_i,comdat
.Lfunc_end147:
	.size	_ZL26rocblas_hemvn_kernel_lowerILb0ELi64ELi4ELi33ELi32ELi16ElPKfPKS1_PfEviT6_lT7_lT5_lS6_lS7_lS5_lT8_i, .Lfunc_end147-_ZL26rocblas_hemvn_kernel_lowerILb0ELi64ELi4ELi33ELi32ELi16ElPKfPKS1_PfEviT6_lT7_lT5_lS6_lS7_lS5_lT8_i
                                        ; -- End function
	.set _ZL26rocblas_hemvn_kernel_lowerILb0ELi64ELi4ELi33ELi32ELi16ElPKfPKS1_PfEviT6_lT7_lT5_lS6_lS7_lS5_lT8_i.num_vgpr, 68
	.set _ZL26rocblas_hemvn_kernel_lowerILb0ELi64ELi4ELi33ELi32ELi16ElPKfPKS1_PfEviT6_lT7_lT5_lS6_lS7_lS5_lT8_i.num_agpr, 0
	.set _ZL26rocblas_hemvn_kernel_lowerILb0ELi64ELi4ELi33ELi32ELi16ElPKfPKS1_PfEviT6_lT7_lT5_lS6_lS7_lS5_lT8_i.numbered_sgpr, 50
	.set _ZL26rocblas_hemvn_kernel_lowerILb0ELi64ELi4ELi33ELi32ELi16ElPKfPKS1_PfEviT6_lT7_lT5_lS6_lS7_lS5_lT8_i.num_named_barrier, 0
	.set _ZL26rocblas_hemvn_kernel_lowerILb0ELi64ELi4ELi33ELi32ELi16ElPKfPKS1_PfEviT6_lT7_lT5_lS6_lS7_lS5_lT8_i.private_seg_size, 0
	.set _ZL26rocblas_hemvn_kernel_lowerILb0ELi64ELi4ELi33ELi32ELi16ElPKfPKS1_PfEviT6_lT7_lT5_lS6_lS7_lS5_lT8_i.uses_vcc, 1
	.set _ZL26rocblas_hemvn_kernel_lowerILb0ELi64ELi4ELi33ELi32ELi16ElPKfPKS1_PfEviT6_lT7_lT5_lS6_lS7_lS5_lT8_i.uses_flat_scratch, 0
	.set _ZL26rocblas_hemvn_kernel_lowerILb0ELi64ELi4ELi33ELi32ELi16ElPKfPKS1_PfEviT6_lT7_lT5_lS6_lS7_lS5_lT8_i.has_dyn_sized_stack, 0
	.set _ZL26rocblas_hemvn_kernel_lowerILb0ELi64ELi4ELi33ELi32ELi16ElPKfPKS1_PfEviT6_lT7_lT5_lS6_lS7_lS5_lT8_i.has_recursion, 0
	.set _ZL26rocblas_hemvn_kernel_lowerILb0ELi64ELi4ELi33ELi32ELi16ElPKfPKS1_PfEviT6_lT7_lT5_lS6_lS7_lS5_lT8_i.has_indirect_call, 0
	.section	.AMDGPU.csdata,"",@progbits
; Kernel info:
; codeLenInByte = 5664
; TotalNumSgprs: 56
; NumVgprs: 68
; NumAgprs: 0
; TotalNumVgprs: 68
; ScratchSize: 0
; MemoryBound: 0
; FloatMode: 240
; IeeeMode: 1
; LDSByteSize: 4800 bytes/workgroup (compile time only)
; SGPRBlocks: 6
; VGPRBlocks: 8
; NumSGPRsForWavesPerEU: 56
; NumVGPRsForWavesPerEU: 68
; AccumOffset: 68
; Occupancy: 7
; WaveLimiterHint : 1
; COMPUTE_PGM_RSRC2:SCRATCH_EN: 0
; COMPUTE_PGM_RSRC2:USER_SGPR: 2
; COMPUTE_PGM_RSRC2:TRAP_HANDLER: 0
; COMPUTE_PGM_RSRC2:TGID_X_EN: 1
; COMPUTE_PGM_RSRC2:TGID_Y_EN: 0
; COMPUTE_PGM_RSRC2:TGID_Z_EN: 1
; COMPUTE_PGM_RSRC2:TIDIG_COMP_CNT: 1
; COMPUTE_PGM_RSRC3_GFX90A:ACCUM_OFFSET: 16
; COMPUTE_PGM_RSRC3_GFX90A:TG_SPLIT: 0
	.section	.text._ZL36rocblas_hemvn_kernel_lower_block_sumILi64ElPKfPKPffEviT1_lS5_lT2_lT0_lPT3_i,"axG",@progbits,_ZL36rocblas_hemvn_kernel_lower_block_sumILi64ElPKfPKPffEviT1_lS5_lT2_lT0_lPT3_i,comdat
	.globl	_ZL36rocblas_hemvn_kernel_lower_block_sumILi64ElPKfPKPffEviT1_lS5_lT2_lT0_lPT3_i ; -- Begin function _ZL36rocblas_hemvn_kernel_lower_block_sumILi64ElPKfPKPffEviT1_lS5_lT2_lT0_lPT3_i
	.p2align	8
	.type	_ZL36rocblas_hemvn_kernel_lower_block_sumILi64ElPKfPKPffEviT1_lS5_lT2_lT0_lPT3_i,@function
_ZL36rocblas_hemvn_kernel_lower_block_sumILi64ElPKfPKPffEviT1_lS5_lT2_lT0_lPT3_i: ; @_ZL36rocblas_hemvn_kernel_lower_block_sumILi64ElPKfPKPffEviT1_lS5_lT2_lT0_lPT3_i
; %bb.0:
	s_load_dwordx8 s[16:23], s[0:1], 0x8
	s_mov_b32 s14, s3
	s_waitcnt lgkmcnt(0)
	s_mul_i32 s3, s19, s3
	s_mul_hi_u32 s4, s18, s14
	s_add_i32 s5, s4, s3
	s_mul_i32 s4, s18, s14
	s_lshl_b64 s[4:5], s[4:5], 2
	s_add_u32 s4, s16, s4
	s_addc_u32 s5, s17, s5
	s_load_dword s8, s[4:5], 0x0
	s_mul_i32 s3, s23, s14
	s_mul_hi_u32 s4, s22, s14
	s_add_i32 s5, s4, s3
	s_mul_i32 s4, s22, s14
	s_lshl_b64 s[4:5], s[4:5], 2
	s_add_u32 s4, s20, s4
	s_addc_u32 s5, s21, s5
	s_load_dword s9, s[4:5], 0x0
	s_waitcnt lgkmcnt(0)
	v_cmp_eq_f32_e64 s[4:5], s8, 0
	v_cmp_eq_f32_e64 s[6:7], s9, 1.0
	s_and_b64 s[4:5], s[4:5], s[6:7]
	s_and_b64 vcc, exec, s[4:5]
	s_cbranch_vccnz .LBB148_19
; %bb.1:
	s_load_dwordx2 s[10:11], s[0:1], 0x28
	s_mov_b32 s15, 0
	s_lshl_b64 s[12:13], s[14:15], 3
	s_load_dword s16, s[0:1], 0x0
	s_load_dwordx4 s[4:7], s[0:1], 0x30
	v_lshl_or_b32 v3, s2, 6, v0
	s_waitcnt lgkmcnt(0)
	s_add_u32 s10, s10, s12
	s_addc_u32 s11, s11, s13
	s_load_dwordx2 s[10:11], s[10:11], 0x0
	s_lshl_b64 s[4:5], s[4:5], 2
	v_cmp_neq_f32_e64 s[12:13], s8, 0
	s_waitcnt lgkmcnt(0)
	s_add_u32 s10, s10, s4
	s_addc_u32 s11, s11, s5
	s_and_b64 vcc, exec, s[12:13]
	v_cmp_gt_i32_e64 s[4:5], s16, v3
	s_cbranch_vccnz .LBB148_6
; %bb.2:
	s_mov_b64 s[18:19], 0
	s_mov_b64 s[12:13], 0
                                        ; implicit-def: $vgpr4
                                        ; implicit-def: $vgpr0_vgpr1
	s_and_saveexec_b64 s[20:21], s[4:5]
	s_cbranch_execz .LBB148_7
; %bb.3:
	v_ashrrev_i32_e32 v0, 31, v3
	v_cmp_eq_f32_e64 s[4:5], s9, 0
	v_mul_lo_u32 v2, s7, v3
	v_mul_lo_u32 v5, s6, v0
	v_mad_u64_u32 v[0:1], s[12:13], s6, v3, 0
	v_mov_b32_e32 v4, 0
	v_add3_u32 v1, v1, v5, v2
	s_and_b64 vcc, exec, s[4:5]
	s_cbranch_vccnz .LBB148_5
; %bb.4:
	v_lshl_add_u64 v[4:5], v[0:1], 2, s[10:11]
	flat_load_dword v2, v[4:5]
	s_waitcnt vmcnt(0) lgkmcnt(0)
	v_mul_f32_e32 v4, s9, v2
.LBB148_5:
	s_mov_b64 s[12:13], exec
	s_or_b64 exec, exec, s[20:21]
	s_and_b64 vcc, exec, s[18:19]
	s_cbranch_vccnz .LBB148_8
	s_branch .LBB148_17
.LBB148_6:
	s_mov_b64 s[12:13], 0
                                        ; implicit-def: $vgpr4
                                        ; implicit-def: $vgpr0_vgpr1
	s_cbranch_execnz .LBB148_8
	s_branch .LBB148_17
.LBB148_7:
	s_or_b64 exec, exec, s[20:21]
	s_and_b64 vcc, exec, s[18:19]
	s_cbranch_vccz .LBB148_17
.LBB148_8:
	v_cmp_gt_i32_e32 vcc, s16, v3
                                        ; implicit-def: $vgpr4
                                        ; implicit-def: $vgpr0_vgpr1
	s_and_saveexec_b64 s[4:5], vcc
	s_cbranch_execz .LBB148_16
; %bb.9:
	s_load_dword s3, s[0:1], 0x58
	v_mov_b32_e32 v2, 0
	s_waitcnt lgkmcnt(0)
	s_cmp_ge_i32 s2, s3
	s_cbranch_scc1 .LBB148_12
; %bb.10:
	s_ashr_i32 s17, s16, 31
	s_mul_i32 s15, s16, s2
	s_load_dwordx2 s[0:1], s[0:1], 0x48
	v_add_u32_e32 v0, s15, v3
	s_mul_hi_u32 s15, s16, s14
	s_mul_i32 s18, s17, s14
	s_add_i32 s15, s15, s18
	s_mul_i32 s14, s16, s14
	s_mul_i32 s15, s15, s3
	s_mul_hi_u32 s18, s14, s3
	s_add_i32 s15, s18, s15
	s_mul_i32 s14, s14, s3
	s_lshl_b64 s[14:15], s[14:15], 2
	s_waitcnt lgkmcnt(0)
	s_add_u32 s0, s0, s14
	v_ashrrev_i32_e32 v1, 31, v0
	s_addc_u32 s1, s1, s15
	v_lshl_add_u64 v[0:1], v[0:1], 2, s[0:1]
	s_lshl_b64 s[0:1], s[16:17], 2
	v_mov_b32_e32 v2, 0
.LBB148_11:                             ; =>This Inner Loop Header: Depth=1
	global_load_dword v4, v[0:1], off
	s_add_i32 s2, s2, 1
	v_lshl_add_u64 v[0:1], v[0:1], 0, s[0:1]
	s_cmp_ge_i32 s2, s3
	s_waitcnt vmcnt(0)
	v_add_f32_e32 v2, v2, v4
	s_cbranch_scc0 .LBB148_11
.LBB148_12:
	v_cmp_eq_f32_e64 s[0:1], s9, 0
	v_ashrrev_i32_e32 v0, 31, v3
	s_and_b64 vcc, exec, s[0:1]
	v_mul_lo_u32 v5, s7, v3
	v_mul_lo_u32 v6, s6, v0
	s_cbranch_vccz .LBB148_20
; %bb.13:
	v_mad_u64_u32 v[0:1], s[0:1], s6, v3, 0
	v_mul_f32_e32 v4, s8, v2
	v_add3_u32 v1, v1, v6, v5
	s_cbranch_execnz .LBB148_15
.LBB148_14:
	v_mad_u64_u32 v[0:1], s[0:1], s6, v3, 0
	v_add3_u32 v1, v1, v6, v5
	v_lshl_add_u64 v[4:5], v[0:1], 2, s[10:11]
	flat_load_dword v3, v[4:5]
	s_waitcnt vmcnt(0) lgkmcnt(0)
	v_pk_mul_f32 v[2:3], s[8:9], v[2:3]
	s_nop 0
	v_add_f32_e32 v4, v2, v3
.LBB148_15:
	s_or_b64 s[12:13], s[12:13], exec
.LBB148_16:
	s_or_b64 exec, exec, s[4:5]
.LBB148_17:
	s_and_saveexec_b64 s[0:1], s[12:13]
	s_cbranch_execz .LBB148_19
; %bb.18:
	v_lshl_add_u64 v[0:1], v[0:1], 2, s[10:11]
	flat_store_dword v[0:1], v4
.LBB148_19:
	s_endpgm
.LBB148_20:
                                        ; implicit-def: $vgpr4
                                        ; implicit-def: $vgpr0_vgpr1
	s_branch .LBB148_14
	.section	.rodata,"a",@progbits
	.p2align	6, 0x0
	.amdhsa_kernel _ZL36rocblas_hemvn_kernel_lower_block_sumILi64ElPKfPKPffEviT1_lS5_lT2_lT0_lPT3_i
		.amdhsa_group_segment_fixed_size 0
		.amdhsa_private_segment_fixed_size 0
		.amdhsa_kernarg_size 344
		.amdhsa_user_sgpr_count 2
		.amdhsa_user_sgpr_dispatch_ptr 0
		.amdhsa_user_sgpr_queue_ptr 0
		.amdhsa_user_sgpr_kernarg_segment_ptr 1
		.amdhsa_user_sgpr_dispatch_id 0
		.amdhsa_user_sgpr_kernarg_preload_length 0
		.amdhsa_user_sgpr_kernarg_preload_offset 0
		.amdhsa_user_sgpr_private_segment_size 0
		.amdhsa_uses_dynamic_stack 0
		.amdhsa_enable_private_segment 0
		.amdhsa_system_sgpr_workgroup_id_x 1
		.amdhsa_system_sgpr_workgroup_id_y 0
		.amdhsa_system_sgpr_workgroup_id_z 1
		.amdhsa_system_sgpr_workgroup_info 0
		.amdhsa_system_vgpr_workitem_id 0
		.amdhsa_next_free_vgpr 7
		.amdhsa_next_free_sgpr 24
		.amdhsa_accum_offset 8
		.amdhsa_reserve_vcc 1
		.amdhsa_float_round_mode_32 0
		.amdhsa_float_round_mode_16_64 0
		.amdhsa_float_denorm_mode_32 3
		.amdhsa_float_denorm_mode_16_64 3
		.amdhsa_dx10_clamp 1
		.amdhsa_ieee_mode 1
		.amdhsa_fp16_overflow 0
		.amdhsa_tg_split 0
		.amdhsa_exception_fp_ieee_invalid_op 0
		.amdhsa_exception_fp_denorm_src 0
		.amdhsa_exception_fp_ieee_div_zero 0
		.amdhsa_exception_fp_ieee_overflow 0
		.amdhsa_exception_fp_ieee_underflow 0
		.amdhsa_exception_fp_ieee_inexact 0
		.amdhsa_exception_int_div_zero 0
	.end_amdhsa_kernel
	.section	.text._ZL36rocblas_hemvn_kernel_lower_block_sumILi64ElPKfPKPffEviT1_lS5_lT2_lT0_lPT3_i,"axG",@progbits,_ZL36rocblas_hemvn_kernel_lower_block_sumILi64ElPKfPKPffEviT1_lS5_lT2_lT0_lPT3_i,comdat
.Lfunc_end148:
	.size	_ZL36rocblas_hemvn_kernel_lower_block_sumILi64ElPKfPKPffEviT1_lS5_lT2_lT0_lPT3_i, .Lfunc_end148-_ZL36rocblas_hemvn_kernel_lower_block_sumILi64ElPKfPKPffEviT1_lS5_lT2_lT0_lPT3_i
                                        ; -- End function
	.set _ZL36rocblas_hemvn_kernel_lower_block_sumILi64ElPKfPKPffEviT1_lS5_lT2_lT0_lPT3_i.num_vgpr, 7
	.set _ZL36rocblas_hemvn_kernel_lower_block_sumILi64ElPKfPKPffEviT1_lS5_lT2_lT0_lPT3_i.num_agpr, 0
	.set _ZL36rocblas_hemvn_kernel_lower_block_sumILi64ElPKfPKPffEviT1_lS5_lT2_lT0_lPT3_i.numbered_sgpr, 24
	.set _ZL36rocblas_hemvn_kernel_lower_block_sumILi64ElPKfPKPffEviT1_lS5_lT2_lT0_lPT3_i.num_named_barrier, 0
	.set _ZL36rocblas_hemvn_kernel_lower_block_sumILi64ElPKfPKPffEviT1_lS5_lT2_lT0_lPT3_i.private_seg_size, 0
	.set _ZL36rocblas_hemvn_kernel_lower_block_sumILi64ElPKfPKPffEviT1_lS5_lT2_lT0_lPT3_i.uses_vcc, 1
	.set _ZL36rocblas_hemvn_kernel_lower_block_sumILi64ElPKfPKPffEviT1_lS5_lT2_lT0_lPT3_i.uses_flat_scratch, 0
	.set _ZL36rocblas_hemvn_kernel_lower_block_sumILi64ElPKfPKPffEviT1_lS5_lT2_lT0_lPT3_i.has_dyn_sized_stack, 0
	.set _ZL36rocblas_hemvn_kernel_lower_block_sumILi64ElPKfPKPffEviT1_lS5_lT2_lT0_lPT3_i.has_recursion, 0
	.set _ZL36rocblas_hemvn_kernel_lower_block_sumILi64ElPKfPKPffEviT1_lS5_lT2_lT0_lPT3_i.has_indirect_call, 0
	.section	.AMDGPU.csdata,"",@progbits
; Kernel info:
; codeLenInByte = 672
; TotalNumSgprs: 30
; NumVgprs: 7
; NumAgprs: 0
; TotalNumVgprs: 7
; ScratchSize: 0
; MemoryBound: 0
; FloatMode: 240
; IeeeMode: 1
; LDSByteSize: 0 bytes/workgroup (compile time only)
; SGPRBlocks: 3
; VGPRBlocks: 0
; NumSGPRsForWavesPerEU: 30
; NumVGPRsForWavesPerEU: 7
; AccumOffset: 8
; Occupancy: 8
; WaveLimiterHint : 1
; COMPUTE_PGM_RSRC2:SCRATCH_EN: 0
; COMPUTE_PGM_RSRC2:USER_SGPR: 2
; COMPUTE_PGM_RSRC2:TRAP_HANDLER: 0
; COMPUTE_PGM_RSRC2:TGID_X_EN: 1
; COMPUTE_PGM_RSRC2:TGID_Y_EN: 0
; COMPUTE_PGM_RSRC2:TGID_Z_EN: 1
; COMPUTE_PGM_RSRC2:TIDIG_COMP_CNT: 0
; COMPUTE_PGM_RSRC3_GFX90A:ACCUM_OFFSET: 1
; COMPUTE_PGM_RSRC3_GFX90A:TG_SPLIT: 0
	.section	.text._ZL26rocblas_hemvn_kernel_lowerILb0ELi64ELi4ELi33ELi32ELi16EiPKfPKS1_PfEviT6_lT7_lT5_lS6_lS7_lS5_lT8_i,"axG",@progbits,_ZL26rocblas_hemvn_kernel_lowerILb0ELi64ELi4ELi33ELi32ELi16EiPKfPKS1_PfEviT6_lT7_lT5_lS6_lS7_lS5_lT8_i,comdat
	.globl	_ZL26rocblas_hemvn_kernel_lowerILb0ELi64ELi4ELi33ELi32ELi16EiPKfPKS1_PfEviT6_lT7_lT5_lS6_lS7_lS5_lT8_i ; -- Begin function _ZL26rocblas_hemvn_kernel_lowerILb0ELi64ELi4ELi33ELi32ELi16EiPKfPKS1_PfEviT6_lT7_lT5_lS6_lS7_lS5_lT8_i
	.p2align	8
	.type	_ZL26rocblas_hemvn_kernel_lowerILb0ELi64ELi4ELi33ELi32ELi16EiPKfPKS1_PfEviT6_lT7_lT5_lS6_lS7_lS5_lT8_i,@function
_ZL26rocblas_hemvn_kernel_lowerILb0ELi64ELi4ELi33ELi32ELi16EiPKfPKS1_PfEviT6_lT7_lT5_lS6_lS7_lS5_lT8_i: ; @_ZL26rocblas_hemvn_kernel_lowerILb0ELi64ELi4ELi33ELi32ELi16EiPKfPKS1_PfEviT6_lT7_lT5_lS6_lS7_lS5_lT8_i
; %bb.0:
	s_load_dwordx2 s[4:5], s[0:1], 0x84
	s_add_u32 s12, s0, 0x78
	s_mov_b32 s20, s3
	s_addc_u32 s13, s1, 0
	s_waitcnt lgkmcnt(0)
	s_and_b32 s3, s5, 0xffff
	s_lshr_b32 s5, s4, 16
	s_and_b32 s4, s4, 0xffff
	s_mul_i32 s4, s5, s4
	s_mul_i32 s4, s4, s3
	s_cmpk_lg_i32 s4, 0x100
	s_cbranch_scc1 .LBB149_4
; %bb.1:
	s_load_dwordx8 s[4:11], s[0:1], 0x8
	s_load_dwordx4 s[16:19], s[0:1], 0x58
	s_waitcnt lgkmcnt(0)
	s_mul_i32 s3, s7, s20
	s_mul_hi_u32 s7, s6, s20
	s_mul_i32 s6, s6, s20
	s_add_i32 s7, s7, s3
	s_lshl_b64 s[6:7], s[6:7], 2
	s_add_u32 s4, s4, s6
	s_addc_u32 s5, s5, s7
	s_mul_i32 s14, s19, s20
	s_load_dword s3, s[4:5], 0x0
	s_mul_hi_u32 s4, s18, s20
	s_add_i32 s5, s4, s14
	s_mul_i32 s4, s18, s20
	s_lshl_b64 s[4:5], s[4:5], 2
	s_add_u32 s4, s16, s4
	s_addc_u32 s5, s17, s5
	s_load_dword s6, s[4:5], 0x0
	s_waitcnt lgkmcnt(0)
	v_cmp_eq_f32_e64 s[4:5], s3, 0
	v_cmp_eq_f32_e64 s[6:7], s6, 1.0
	s_and_b64 s[6:7], s[4:5], s[6:7]
	s_and_b64 vcc, exec, s[6:7]
	s_cbranch_vccnz .LBB149_4
; %bb.2:
	s_and_b64 vcc, exec, s[4:5]
	s_cbranch_vccz .LBB149_5
; %bb.3:
	s_cbranch_execz .LBB149_6
.LBB149_4:
	s_endpgm
.LBB149_5:
.LBB149_6:
	s_mov_b32 s21, 0
	s_load_dwordx4 s[4:7], s[0:1], 0x38
	s_load_dword s3, s[0:1], 0x48
	s_lshl_b64 s[14:15], s[20:21], 3
	s_add_u32 s8, s8, s14
	s_addc_u32 s9, s9, s15
	s_waitcnt lgkmcnt(0)
	s_add_u32 s14, s4, s14
	s_addc_u32 s15, s5, s15
	s_load_dwordx2 s[16:17], s[14:15], 0x0
	s_load_dwordx2 s[28:29], s[0:1], 0x68
	s_load_dword s21, s[0:1], 0x0
	s_load_dword s33, s[12:13], 0x0
	s_load_dwordx2 s[4:5], s[8:9], 0x0
	s_lshl_b64 s[6:7], s[6:7], 2
	s_waitcnt lgkmcnt(0)
	s_add_u32 s6, s16, s6
	s_addc_u32 s7, s17, s7
	s_ashr_i32 s40, s21, 31
	s_lshr_b32 s9, s40, 26
	v_and_b32_e32 v18, 0x3ff, v0
	s_lshl_b32 s26, s2, 6
	s_add_i32 s9, s21, s9
	s_andn2_b32 s9, s9, 63
	v_add_u32_e32 v16, s26, v18
	v_bfe_u32 v17, v0, 10, 10
	s_add_i32 s8, s33, -1
	s_sub_i32 s9, s21, s9
	v_mul_lo_u32 v0, s3, v16
	s_cmp_eq_u32 s2, s8
	v_ashrrev_i32_e32 v1, 31, v0
	s_cselect_b32 s24, s9, 0
	v_lshl_add_u64 v[4:5], v[0:1], 2, s[6:7]
	v_cmp_ne_u32_e64 s[16:17], 0, v17
	v_cmp_eq_u32_e64 s[18:19], 0, v17
	s_and_saveexec_b64 s[6:7], s[18:19]
	s_cbranch_execz .LBB149_10
; %bb.7:
	s_cmp_eq_u32 s24, 0
	s_cselect_b64 s[8:9], -1, 0
	v_cmp_gt_i32_e32 vcc, s24, v18
	s_or_b64 s[12:13], s[8:9], vcc
	v_mov_b32_e32 v0, 0
	s_and_saveexec_b64 s[8:9], s[12:13]
	s_cbranch_execz .LBB149_9
; %bb.8:
	flat_load_dword v0, v[4:5]
.LBB149_9:
	s_or_b64 exec, exec, s[8:9]
	v_lshlrev_b32_e32 v1, 2, v18
	s_waitcnt vmcnt(0) lgkmcnt(0)
	ds_write_b32 v1, v0 offset:4544
.LBB149_10:
	s_or_b64 exec, exec, s[6:7]
	s_load_dword s22, s[0:1], 0x28
	s_lshl_b64 s[6:7], s[10:11], 2
	s_add_u32 s4, s4, s6
	s_addc_u32 s5, s5, s7
	s_ashr_i32 s27, s26, 31
	v_lshl_add_u32 v14, v17, 6, v18
	s_lshl_b64 s[0:1], s[26:27], 2
	v_and_b32_e32 v2, 31, v18
	v_lshrrev_b32_e32 v12, 5, v14
	s_add_u32 s0, s4, s0
	s_waitcnt lgkmcnt(0)
	s_mul_i32 s30, s22, s26
	s_addc_u32 s1, s5, s1
	v_mad_u64_u32 v[6:7], s[4:5], s22, v12, v[2:3]
	s_ashr_i32 s31, s30, 31
	v_ashrrev_i32_e32 v7, 31, v6
	s_cmp_lg_u32 s24, 0
	v_lshl_add_u64 v[0:1], v[6:7], 2, s[0:1]
	s_cselect_b64 s[34:35], -1, 0
	s_cmp_eq_u32 s24, 0
	v_lshl_add_u64 v[8:9], s[30:31], 2, v[0:1]
	s_cselect_b64 s[36:37], -1, 0
	s_mov_b64 s[0:1], -1
	s_and_b64 vcc, exec, s[34:35]
	s_cbranch_vccnz .LBB149_12
; %bb.11:
	s_lshl_b32 s0, s22, 3
	s_ashr_i32 s1, s0, 31
	s_ashr_i32 s23, s22, 31
	v_lshl_add_u64 v[0:1], s[0:1], 2, v[8:9]
	s_lshl_b64 s[0:1], s[22:23], 5
	v_lshl_add_u64 v[10:11], v[0:1], 0, s[0:1]
	v_lshl_add_u64 v[20:21], v[10:11], 0, s[0:1]
	flat_load_dword v3, v[8:9]
	flat_load_dword v13, v[0:1]
	;; [unrolled: 1-line block ×4, first 2 shown]
	v_mul_u32_u24_e32 v0, 0x84, v12
	v_lshl_add_u32 v0, v2, 2, v0
	s_mov_b64 s[0:1], 0
	s_waitcnt vmcnt(0) lgkmcnt(0)
	ds_write_b32 v0, v3
	ds_write_b32 v0, v13 offset:1056
	ds_write_b32 v0, v15 offset:2112
	;; [unrolled: 1-line block ×3, first 2 shown]
.LBB149_12:
	s_andn2_b64 vcc, exec, s[0:1]
	v_lshlrev_b32_e32 v0, 2, v2
	s_cbranch_vccnz .LBB149_22
; %bb.13:
	v_sub_co_u32_e32 v10, vcc, v8, v0
	s_ashr_i32 s25, s24, 31
	s_nop 0
	v_subbrev_co_u32_e32 v11, vcc, 0, v9, vcc
	v_lshl_add_u64 v[10:11], s[24:25], 2, v[10:11]
	v_lshl_add_u64 v[10:11], v[10:11], 0, -4
	v_cmp_gt_i32_e32 vcc, s24, v2
	v_mov_b32_e32 v3, 0
	v_cmp_gt_i32_e64 s[0:1], s24, v12
	v_cndmask_b32_e32 v11, v11, v9, vcc
	v_cndmask_b32_e32 v10, v10, v8, vcc
	v_mov_b32_e32 v13, 0
	s_and_saveexec_b64 s[4:5], s[0:1]
	s_cbranch_execz .LBB149_15
; %bb.14:
	flat_load_dword v13, v[10:11]
.LBB149_15:
	s_or_b64 exec, exec, s[4:5]
	s_movk_i32 s0, 0x84
	v_mad_u32_u24 v15, v12, s0, v0
	s_waitcnt vmcnt(0) lgkmcnt(0)
	ds_write_b32 v15, v13
	v_add_u32_e32 v13, 8, v12
	v_mul_u32_u24_e32 v1, 0x84, v12
	v_cmp_gt_i32_e64 s[0:1], s24, v13
	s_and_saveexec_b64 s[4:5], s[0:1]
	s_cbranch_execz .LBB149_17
; %bb.16:
	s_lshl_b32 s0, s22, 3
	s_ashr_i32 s1, s0, 31
	v_lshl_add_u64 v[20:21], s[0:1], 2, v[10:11]
	flat_load_dword v3, v[20:21]
.LBB149_17:
	s_or_b64 exec, exec, s[4:5]
	v_add_u32_e32 v1, v1, v0
	s_waitcnt vmcnt(0) lgkmcnt(0)
	ds_write_b32 v1, v3 offset:1056
	v_add_u32_e32 v3, 16, v12
	v_cmp_gt_i32_e64 s[0:1], s24, v3
	v_mov_b32_e32 v3, 0
	v_mov_b32_e32 v13, 0
	s_and_saveexec_b64 s[4:5], s[0:1]
	s_cbranch_execz .LBB149_19
; %bb.18:
	s_lshl_b32 s0, s22, 4
	s_ashr_i32 s1, s0, 31
	v_lshl_add_u64 v[20:21], s[0:1], 2, v[10:11]
	flat_load_dword v13, v[20:21]
.LBB149_19:
	s_or_b64 exec, exec, s[4:5]
	s_waitcnt vmcnt(0) lgkmcnt(0)
	ds_write_b32 v1, v13 offset:2112
	v_add_u32_e32 v13, 24, v12
	v_cmp_gt_i32_e64 s[0:1], s24, v13
	s_and_saveexec_b64 s[4:5], s[0:1]
	s_cbranch_execz .LBB149_21
; %bb.20:
	s_mul_i32 s0, s22, 24
	s_ashr_i32 s1, s0, 31
	v_lshl_add_u64 v[20:21], s[0:1], 2, v[10:11]
	flat_load_dword v3, v[20:21]
.LBB149_21:
	s_or_b64 exec, exec, s[4:5]
	s_waitcnt vmcnt(0) lgkmcnt(0)
	ds_write_b32 v1, v3 offset:3168
	v_mov_b32_e32 v1, 0
	v_lshl_add_u64 v[10:11], v[10:11], 0, v[0:1]
	s_lshl_b64 s[0:1], s[24:25], 2
	v_mov_b32_e32 v1, s1
	v_subrev_co_u32_e64 v10, s[0:1], s0, v10
	s_nop 1
	v_subb_co_u32_e64 v11, s[0:1], v11, v1, s[0:1]
	v_lshl_add_u64 v[10:11], v[10:11], 0, 4
	v_cndmask_b32_e32 v9, v11, v9, vcc
	v_cndmask_b32_e32 v8, v10, v8, vcc
.LBB149_22:
	v_lshlrev_b32_e32 v13, 2, v12
	v_lshl_or_b32 v1, v2, 7, v0
	v_cmp_lt_u32_e64 s[6:7], v13, v2
	s_waitcnt lgkmcnt(0)
	s_barrier
	s_and_saveexec_b64 s[0:1], s[6:7]
	s_cbranch_execz .LBB149_24
; %bb.23:
	s_movk_i32 s4, 0x210
	v_mad_u32_u24 v3, v12, s4, v0
	ds_read_b32 v3, v3
	v_lshl_add_u32 v10, v13, 2, v1
	s_waitcnt lgkmcnt(0)
	ds_write_b32 v10, v3
.LBB149_24:
	s_or_b64 exec, exec, s[0:1]
	v_or_b32_e32 v3, 1, v13
	v_cmp_lt_u32_e64 s[8:9], v3, v2
	s_and_saveexec_b64 s[0:1], s[8:9]
	s_cbranch_execz .LBB149_26
; %bb.25:
	s_movk_i32 s4, 0x84
	v_mad_u32_u24 v10, v3, s4, v0
	ds_read_b32 v10, v10
	v_lshl_add_u32 v11, v13, 2, v1
	s_waitcnt lgkmcnt(0)
	ds_write_b32 v11, v10 offset:4
.LBB149_26:
	s_or_b64 exec, exec, s[0:1]
	v_or_b32_e32 v10, 2, v13
	v_cmp_lt_u32_e64 s[10:11], v10, v2
	s_and_saveexec_b64 s[0:1], s[10:11]
	s_cbranch_execz .LBB149_28
; %bb.27:
	s_movk_i32 s4, 0x84
	v_mad_u32_u24 v10, v10, s4, v0
	ds_read_b32 v10, v10
	v_lshl_add_u32 v11, v13, 2, v1
	s_waitcnt lgkmcnt(0)
	ds_write_b32 v11, v10 offset:8
.LBB149_28:
	s_or_b64 exec, exec, s[0:1]
	v_or_b32_e32 v11, 3, v13
	v_cmp_lt_u32_e64 s[12:13], v11, v2
	v_cmp_ge_u32_e32 vcc, v11, v2
                                        ; implicit-def: $vgpr10
	s_and_saveexec_b64 s[0:1], vcc
	s_xor_b64 s[0:1], exec, s[0:1]
; %bb.29:
	v_mul_u32_u24_e32 v10, 0x84, v11
                                        ; implicit-def: $vgpr1
                                        ; implicit-def: $vgpr11
; %bb.30:
	s_andn2_saveexec_b64 s[0:1], s[0:1]
	s_cbranch_execz .LBB149_32
; %bb.31:
	s_movk_i32 s4, 0x84
	v_mad_u32_u24 v10, v11, s4, v0
	ds_read_b32 v15, v10
	v_lshl_add_u32 v1, v13, 2, v1
	v_mul_u32_u24_e32 v10, 0x84, v11
	s_waitcnt lgkmcnt(0)
	ds_write_b32 v1, v15 offset:12
.LBB149_32:
	s_or_b64 exec, exec, s[0:1]
	s_movk_i32 s0, 0x210
	v_mad_u32_u24 v1, v12, s0, v0
	s_movk_i32 s0, 0x84
	v_mad_u32_u24 v11, v3, s0, v0
	s_waitcnt lgkmcnt(0)
	s_barrier
	ds_read2_b32 v[28:29], v11 offset1:33
	v_lshlrev_b32_e32 v20, 2, v13
	ds_read_b32 v22, v1
	ds_read_b128 v[24:27], v20 offset:4544
	v_add_u32_e32 v21, v0, v10
	ds_read_b32 v11, v21
	s_waitcnt lgkmcnt(3)
	v_mov_b32_e32 v23, v28
	v_mov_b32_e32 v10, v29
	s_waitcnt lgkmcnt(1)
	v_pk_mul_f32 v[22:23], v[22:23], v[24:25]
	v_mov_b32_e32 v24, 0
	v_add_f32_e32 v1, 0, v22
	v_add_f32_e32 v1, v1, v23
	s_waitcnt lgkmcnt(0)
	v_pk_mul_f32 v[10:11], v[10:11], v[26:27]
	v_cmp_gt_u32_e64 s[4:5], 32, v14
	v_add_f32_e32 v1, v1, v10
	v_mul_u32_u24_e32 v10, 33, v2
	v_lshlrev_b32_e32 v15, 2, v10
	v_add_f32_e32 v1, v1, v11
	v_lshl_add_u32 v19, v12, 2, v15
	s_barrier
	ds_write_b32 v19, v1
	s_waitcnt lgkmcnt(0)
	s_barrier
	s_and_saveexec_b64 s[0:1], s[4:5]
	s_cbranch_execz .LBB149_34
; %bb.33:
	ds_read2_b32 v[10:11], v15 offset1:1
	ds_read2_b32 v[22:23], v15 offset0:2 offset1:3
	ds_read2_b32 v[24:25], v15 offset0:4 offset1:5
	;; [unrolled: 1-line block ×3, first 2 shown]
	s_waitcnt lgkmcnt(3)
	v_add_f32_e32 v1, v10, v11
	s_waitcnt lgkmcnt(2)
	v_add_f32_e32 v1, v1, v22
	v_add_f32_e32 v1, v1, v23
	s_waitcnt lgkmcnt(1)
	v_add_f32_e32 v1, v1, v24
	v_add_f32_e32 v1, v1, v25
	s_waitcnt lgkmcnt(0)
	v_add_f32_e32 v1, v1, v26
	v_add_f32_e32 v24, v1, v27
.LBB149_34:
	s_or_b64 exec, exec, s[0:1]
	s_lshl_b32 s38, s22, 5
	s_ashr_i32 s39, s38, 31
	v_cndmask_b32_e64 v1, 0, 1, s[36:37]
	v_lshl_add_u64 v[10:11], s[38:39], 2, v[8:9]
	s_mov_b64 s[0:1], 0x80
	v_cmp_ne_u32_e64 s[14:15], 1, v1
	s_andn2_b64 vcc, exec, s[36:37]
	s_mov_b64 s[36:37], -1
	s_barrier
	s_cbranch_vccnz .LBB149_36
; %bb.35:
	s_lshl_b32 s36, s22, 3
	s_ashr_i32 s37, s36, 31
	s_ashr_i32 s23, s22, 31
	v_lshl_add_u64 v[8:9], s[36:37], 2, v[10:11]
	s_lshl_b64 s[36:37], s[22:23], 5
	v_lshl_add_u64 v[22:23], v[8:9], 0, s[36:37]
	v_lshl_add_u64 v[26:27], v[22:23], 0, s[36:37]
	flat_load_dword v1, v[10:11] offset:128
	flat_load_dword v25, v[8:9] offset:128
	;; [unrolled: 1-line block ×4, first 2 shown]
	s_movk_i32 s23, 0x84
	v_mad_u32_u24 v8, v12, s23, v0
	s_mov_b64 s[36:37], 0
	s_waitcnt vmcnt(0) lgkmcnt(0)
	ds_write_b32 v8, v1
	ds_write_b32 v8, v25 offset:1056
	ds_write_b32 v8, v28 offset:2112
	;; [unrolled: 1-line block ×3, first 2 shown]
.LBB149_36:
	s_andn2_b64 vcc, exec, s[36:37]
	v_lshl_add_u64 v[8:9], v[10:11], 0, s[0:1]
	s_cbranch_vccnz .LBB149_46
; %bb.37:
	v_sub_co_u32_e32 v10, vcc, v10, v0
	s_ashr_i32 s25, s24, 31
	s_nop 0
	v_subbrev_co_u32_e32 v11, vcc, 0, v11, vcc
	v_or_b32_e32 v1, 32, v2
	v_lshl_add_u64 v[10:11], s[24:25], 2, v[10:11]
	v_lshl_add_u64 v[10:11], v[10:11], 0, -4
	v_cmp_gt_i32_e32 vcc, s24, v1
	s_sub_i32 s23, s24, 32
	v_mov_b32_e32 v22, 0
	v_cndmask_b32_e32 v11, v11, v9, vcc
	v_cndmask_b32_e32 v10, v10, v8, vcc
	v_cmp_gt_i32_e64 s[0:1], s23, v12
	v_mov_b32_e32 v23, 0
	s_and_saveexec_b64 s[36:37], s[0:1]
	s_cbranch_execz .LBB149_39
; %bb.38:
	flat_load_dword v23, v[10:11]
.LBB149_39:
	s_or_b64 exec, exec, s[36:37]
	s_movk_i32 s0, 0x84
	v_mad_u32_u24 v25, v12, s0, v0
	s_waitcnt vmcnt(0) lgkmcnt(0)
	ds_write_b32 v25, v23
	v_add_u32_e32 v23, 8, v12
	v_mul_u32_u24_e32 v1, 0x84, v12
	v_cmp_gt_i32_e64 s[0:1], s23, v23
	s_and_saveexec_b64 s[36:37], s[0:1]
	s_cbranch_execz .LBB149_41
; %bb.40:
	s_lshl_b32 s0, s22, 3
	s_ashr_i32 s1, s0, 31
	v_lshl_add_u64 v[22:23], s[0:1], 2, v[10:11]
	flat_load_dword v22, v[22:23]
.LBB149_41:
	s_or_b64 exec, exec, s[36:37]
	v_add_u32_e32 v1, v1, v0
	s_waitcnt vmcnt(0) lgkmcnt(0)
	ds_write_b32 v1, v22 offset:1056
	v_add_u32_e32 v22, 16, v12
	v_cmp_gt_i32_e64 s[0:1], s23, v22
	v_mov_b32_e32 v22, 0
	v_mov_b32_e32 v23, 0
	s_and_saveexec_b64 s[36:37], s[0:1]
	s_cbranch_execz .LBB149_43
; %bb.42:
	s_lshl_b32 s0, s22, 4
	s_ashr_i32 s1, s0, 31
	v_lshl_add_u64 v[26:27], s[0:1], 2, v[10:11]
	flat_load_dword v23, v[26:27]
.LBB149_43:
	s_or_b64 exec, exec, s[36:37]
	s_waitcnt vmcnt(0) lgkmcnt(0)
	ds_write_b32 v1, v23 offset:2112
	v_add_u32_e32 v23, 24, v12
	v_cmp_gt_i32_e64 s[0:1], s23, v23
	s_and_saveexec_b64 s[36:37], s[0:1]
	s_cbranch_execz .LBB149_45
; %bb.44:
	s_mul_i32 s0, s22, 24
	s_ashr_i32 s1, s0, 31
	v_lshl_add_u64 v[22:23], s[0:1], 2, v[10:11]
	flat_load_dword v22, v[22:23]
.LBB149_45:
	s_or_b64 exec, exec, s[36:37]
	s_waitcnt vmcnt(0) lgkmcnt(0)
	ds_write_b32 v1, v22 offset:3168
	v_mov_b32_e32 v1, 0
	v_lshl_add_u64 v[10:11], v[10:11], 0, v[0:1]
	s_lshl_b64 s[0:1], s[24:25], 2
	v_mov_b32_e32 v1, s1
	v_subrev_co_u32_e64 v10, s[0:1], s0, v10
	s_nop 1
	v_subb_co_u32_e64 v11, s[0:1], v11, v1, s[0:1]
	s_mov_b64 s[0:1], 0x84
	s_nop 0
	v_lshl_add_u64 v[10:11], v[10:11], 0, s[0:1]
	v_cndmask_b32_e32 v9, v11, v9, vcc
	v_cndmask_b32_e32 v8, v10, v8, vcc
.LBB149_46:
	v_mul_u32_u24_e32 v1, 0x210, v12
	v_add_u32_e32 v20, 0x11c0, v20
	v_mul_u32_u24_e32 v3, 0x84, v3
	v_add_u32_e32 v1, v0, v1
	s_waitcnt lgkmcnt(0)
	s_barrier
	s_and_saveexec_b64 s[0:1], s[6:7]
	s_cbranch_execnz .LBB149_55
; %bb.47:
	s_or_b64 exec, exec, s[0:1]
	v_add_u32_e32 v3, v0, v3
	s_and_saveexec_b64 s[0:1], s[8:9]
	s_cbranch_execnz .LBB149_56
.LBB149_48:
	s_or_b64 exec, exec, s[0:1]
	s_and_saveexec_b64 s[0:1], s[10:11]
	s_cbranch_execnz .LBB149_57
.LBB149_49:
	s_or_b64 exec, exec, s[0:1]
	s_and_saveexec_b64 s[0:1], s[12:13]
	s_cbranch_execz .LBB149_51
.LBB149_50:
	ds_read_b32 v10, v21
	v_lshl_add_u32 v11, v13, 2, v15
	s_waitcnt lgkmcnt(0)
	ds_write_b32 v11, v10 offset:12
.LBB149_51:
	s_or_b64 exec, exec, s[0:1]
	s_waitcnt lgkmcnt(0)
	s_barrier
	ds_read2_b32 v[30:31], v3 offset1:33
	ds_read_b32 v10, v1
	ds_read_b128 v[26:29], v20 offset:128
	ds_read_b32 v23, v21
	v_cmp_eq_u32_e64 s[6:7], 1, v12
	s_waitcnt lgkmcnt(3)
	v_mov_b32_e32 v11, v30
	v_mov_b32_e32 v22, v31
	s_waitcnt lgkmcnt(1)
	v_pk_mul_f32 v[10:11], v[10:11], v[26:27]
	s_waitcnt lgkmcnt(0)
	v_add_f32_e32 v1, 0, v10
	v_add_f32_e32 v1, v1, v11
	v_pk_mul_f32 v[10:11], v[22:23], v[28:29]
	s_barrier
	v_add_f32_e32 v1, v1, v10
	v_add_f32_e32 v1, v1, v11
	ds_write_b32 v19, v1
	s_waitcnt lgkmcnt(0)
	s_barrier
	s_and_saveexec_b64 s[0:1], s[6:7]
	s_cbranch_execz .LBB149_53
; %bb.52:
	ds_read2_b32 v[10:11], v15 offset1:1
	ds_read2_b32 v[22:23], v15 offset0:2 offset1:3
	ds_read2_b32 v[24:25], v15 offset0:4 offset1:5
	;; [unrolled: 1-line block ×3, first 2 shown]
	s_waitcnt lgkmcnt(3)
	v_add_f32_e32 v1, v10, v11
	s_waitcnt lgkmcnt(2)
	v_add_f32_e32 v1, v1, v22
	v_add_f32_e32 v1, v1, v23
	s_waitcnt lgkmcnt(1)
	v_add_f32_e32 v1, v1, v24
	;; [unrolled: 3-line block ×3, first 2 shown]
	v_add_f32_e32 v24, v1, v27
.LBB149_53:
	s_or_b64 exec, exec, s[0:1]
	s_lshl_b64 s[0:1], s[38:39], 2
	v_mov_b32_e32 v1, s1
	v_subrev_co_u32_e64 v8, s[0:1], s0, v8
	s_and_b64 vcc, exec, s[14:15]
	s_nop 0
	v_subb_co_u32_e64 v9, s[0:1], v9, v1, s[0:1]
	s_barrier
	s_cbranch_vccnz .LBB149_58
; %bb.54:
	s_lshl_b32 s0, s22, 3
	s_ashr_i32 s1, s0, 31
	s_ashr_i32 s23, s22, 31
	v_lshl_add_u64 v[10:11], s[0:1], 2, v[8:9]
	s_lshl_b64 s[0:1], s[22:23], 5
	v_lshl_add_u64 v[22:23], v[10:11], 0, s[0:1]
	v_lshl_add_u64 v[26:27], v[22:23], 0, s[0:1]
	flat_load_dword v1, v[8:9]
	flat_load_dword v3, v[10:11]
	;; [unrolled: 1-line block ×4, first 2 shown]
	s_movk_i32 s0, 0x84
	v_mov_b32_e32 v22, 0x420
	v_mov_b32_e32 v25, 0x840
	;; [unrolled: 1-line block ×3, first 2 shown]
	v_mul_u32_u24_e32 v11, 0x84, v12
	v_add_u32_e32 v10, 8, v12
	v_add_u32_e32 v21, 16, v12
	;; [unrolled: 1-line block ×3, first 2 shown]
	v_mad_u32_u24 v27, v12, s0, v0
	v_mad_u32_u24 v22, v12, s0, v22
	;; [unrolled: 1-line block ×4, first 2 shown]
	v_add_u32_e32 v30, v0, v22
	v_add_u32_e32 v31, v0, v25
	;; [unrolled: 1-line block ×3, first 2 shown]
	s_waitcnt vmcnt(0) lgkmcnt(0)
	ds_write_b32 v27, v1
	ds_write_b32 v30, v3
	;; [unrolled: 1-line block ×4, first 2 shown]
	s_cbranch_execz .LBB149_59
	s_branch .LBB149_68
.LBB149_55:
	ds_read_b32 v10, v1
	v_lshl_add_u32 v11, v13, 2, v15
	s_waitcnt lgkmcnt(0)
	ds_write_b32 v11, v10
	s_or_b64 exec, exec, s[0:1]
	v_add_u32_e32 v3, v0, v3
	s_and_saveexec_b64 s[0:1], s[8:9]
	s_cbranch_execz .LBB149_48
.LBB149_56:
	ds_read_b32 v10, v3
	v_lshl_add_u32 v11, v13, 2, v15
	s_waitcnt lgkmcnt(0)
	ds_write_b32 v11, v10 offset:4
	s_or_b64 exec, exec, s[0:1]
	s_and_saveexec_b64 s[0:1], s[10:11]
	s_cbranch_execz .LBB149_49
.LBB149_57:
	ds_read_b32 v10, v3 offset:132
	v_lshl_add_u32 v11, v13, 2, v15
	s_waitcnt lgkmcnt(0)
	ds_write_b32 v11, v10 offset:8
	s_or_b64 exec, exec, s[0:1]
	s_and_saveexec_b64 s[0:1], s[12:13]
	s_cbranch_execnz .LBB149_50
	s_branch .LBB149_51
.LBB149_58:
                                        ; implicit-def: $vgpr11
                                        ; implicit-def: $vgpr10
                                        ; implicit-def: $vgpr22
                                        ; implicit-def: $vgpr21
                                        ; implicit-def: $vgpr25
                                        ; implicit-def: $vgpr23
                                        ; implicit-def: $vgpr26
.LBB149_59:
	v_or_b32_e32 v10, 32, v2
	v_lshlrev_b32_e32 v2, 2, v10
	v_sub_co_u32_e32 v2, vcc, v8, v2
	s_ashr_i32 s25, s24, 31
	s_nop 0
	v_subbrev_co_u32_e32 v3, vcc, 0, v9, vcc
	v_lshl_add_u64 v[2:3], s[24:25], 2, v[2:3]
	v_lshl_add_u64 v[2:3], v[2:3], 0, -4
	v_cmp_gt_i32_e32 vcc, s24, v10
	v_mov_b32_e32 v1, 0
	v_cmp_gt_i32_e64 s[0:1], s24, v12
	v_cndmask_b32_e32 v3, v3, v9, vcc
	v_cndmask_b32_e32 v2, v2, v8, vcc
	v_mov_b32_e32 v10, 0
	s_and_saveexec_b64 s[8:9], s[0:1]
	s_cbranch_execz .LBB149_61
; %bb.60:
	flat_load_dword v10, v[2:3]
.LBB149_61:
	s_or_b64 exec, exec, s[8:9]
	s_movk_i32 s0, 0x84
	v_mad_u32_u24 v21, v12, s0, v0
	s_waitcnt vmcnt(0) lgkmcnt(0)
	ds_write_b32 v21, v10
	v_add_u32_e32 v10, 8, v12
	v_mul_u32_u24_e32 v11, 0x84, v12
	v_cmp_gt_i32_e64 s[0:1], s24, v10
	s_and_saveexec_b64 s[8:9], s[0:1]
	s_cbranch_execz .LBB149_63
; %bb.62:
	s_lshl_b32 s0, s22, 3
	s_ashr_i32 s1, s0, 31
	v_lshl_add_u64 v[22:23], s[0:1], 2, v[2:3]
	flat_load_dword v1, v[22:23]
.LBB149_63:
	s_or_b64 exec, exec, s[8:9]
	v_add_u32_e32 v22, 0x420, v11
	v_add_u32_e32 v21, v0, v22
	s_waitcnt vmcnt(0) lgkmcnt(0)
	ds_write_b32 v21, v1
	v_add_u32_e32 v21, 16, v12
	v_cmp_gt_i32_e64 s[0:1], s24, v21
	v_mov_b32_e32 v1, 0
	v_mov_b32_e32 v23, 0
	s_and_saveexec_b64 s[8:9], s[0:1]
	s_cbranch_execz .LBB149_65
; %bb.64:
	s_lshl_b32 s0, s22, 4
	s_ashr_i32 s1, s0, 31
	v_lshl_add_u64 v[26:27], s[0:1], 2, v[2:3]
	flat_load_dword v23, v[26:27]
.LBB149_65:
	s_or_b64 exec, exec, s[8:9]
	v_add_u32_e32 v25, 0x420, v22
	v_add_u32_e32 v26, v0, v25
	s_waitcnt vmcnt(0) lgkmcnt(0)
	ds_write_b32 v26, v23
	v_add_u32_e32 v23, 24, v12
	v_cmp_gt_i32_e64 s[0:1], s24, v23
	s_and_saveexec_b64 s[8:9], s[0:1]
	s_cbranch_execz .LBB149_67
; %bb.66:
	s_mul_i32 s0, s22, 24
	s_ashr_i32 s1, s0, 31
	v_lshl_add_u64 v[26:27], s[0:1], 2, v[2:3]
	flat_load_dword v1, v[26:27]
.LBB149_67:
	s_or_b64 exec, exec, s[8:9]
	v_add_u32_e32 v26, 0x420, v25
	v_add_u32_e32 v12, v0, v26
	s_waitcnt vmcnt(0) lgkmcnt(0)
	ds_write_b32 v12, v1
	v_mov_b32_e32 v1, 0
	v_lshl_add_u64 v[2:3], v[2:3], 0, v[0:1]
	s_lshl_b64 s[0:1], s[24:25], 2
	v_mov_b32_e32 v1, s1
	v_subrev_co_u32_e64 v2, s[0:1], s0, v2
	s_nop 1
	v_subb_co_u32_e64 v3, s[0:1], v3, v1, s[0:1]
	s_mov_b64 s[0:1], 0x84
	s_nop 0
	v_lshl_add_u64 v[2:3], v[2:3], 0, s[0:1]
	v_cndmask_b32_e32 v9, v3, v9, vcc
	v_cndmask_b32_e32 v8, v2, v8, vcc
.LBB149_68:
	v_add_u32_e32 v1, v0, v11
	s_waitcnt lgkmcnt(0)
	s_barrier
	v_add_u32_e32 v2, v0, v22
	ds_read_b32 v28, v1
	ds_read_b32 v22, v13 offset:4544
	ds_read_b32 v29, v2
	v_lshlrev_b32_e32 v1, 2, v10
	v_add_u32_e32 v2, v0, v25
	v_lshlrev_b32_e32 v3, 2, v21
	v_add_u32_e32 v0, v0, v26
	v_lshlrev_b32_e32 v10, 2, v23
	ds_read_b32 v23, v1 offset:4544
	ds_read_b32 v26, v2
	ds_read_b32 v30, v3 offset:4544
	ds_read_b32 v27, v0
	ds_read_b32 v31, v10 offset:4544
	v_lshl_add_u32 v12, v13, 2, v15
	ds_read2_b32 v[10:11], v12 offset1:1
	ds_read_b128 v[0:3], v20 offset:128
	s_waitcnt lgkmcnt(6)
	v_pk_mul_f32 v[20:21], v[28:29], v[22:23]
	ds_read2_b32 v[12:13], v12 offset0:2 offset1:3
	v_add_f32_e32 v20, 0, v20
	s_waitcnt lgkmcnt(3)
	v_pk_mul_f32 v[22:23], v[26:27], v[30:31]
	v_add_f32_e32 v20, v20, v21
	v_add_f32_e32 v20, v20, v22
	;; [unrolled: 1-line block ×3, first 2 shown]
	s_waitcnt lgkmcnt(0)
	s_barrier
	ds_write_b32 v19, v20
	s_waitcnt lgkmcnt(0)
	s_barrier
	s_and_saveexec_b64 s[0:1], s[6:7]
	s_cbranch_execz .LBB149_70
; %bb.69:
	ds_read2_b32 v[20:21], v15 offset1:1
	ds_read2_b32 v[22:23], v15 offset0:2 offset1:3
	ds_read2_b32 v[26:27], v15 offset0:4 offset1:5
	;; [unrolled: 1-line block ×3, first 2 shown]
	s_waitcnt lgkmcnt(3)
	v_add_f32_e32 v20, v24, v20
	v_add_f32_e32 v20, v20, v21
	s_waitcnt lgkmcnt(2)
	v_add_f32_e32 v20, v20, v22
	v_add_f32_e32 v20, v20, v23
	;; [unrolled: 3-line block ×4, first 2 shown]
.LBB149_70:
	s_or_b64 exec, exec, s[0:1]
	v_fma_f32 v0, v10, v0, 0
	v_fmac_f32_e32 v0, v11, v1
	v_fmac_f32_e32 v0, v12, v2
	;; [unrolled: 1-line block ×3, first 2 shown]
	s_barrier
	ds_write_b32 v19, v0
	s_waitcnt lgkmcnt(0)
	s_barrier
	s_and_saveexec_b64 s[0:1], s[4:5]
	s_cbranch_execz .LBB149_72
; %bb.71:
	ds_read2_b32 v[0:1], v15 offset1:1
	ds_read2_b32 v[2:3], v15 offset0:2 offset1:3
	ds_read2_b32 v[10:11], v15 offset0:4 offset1:5
	;; [unrolled: 1-line block ×3, first 2 shown]
	s_waitcnt lgkmcnt(3)
	v_add_f32_e32 v0, v24, v0
	v_add_f32_e32 v0, v0, v1
	s_waitcnt lgkmcnt(2)
	v_add_f32_e32 v0, v0, v2
	v_add_f32_e32 v0, v0, v3
	;; [unrolled: 3-line block ×4, first 2 shown]
.LBB149_72:
	s_or_b64 exec, exec, s[0:1]
	s_mul_hi_u32 s0, s21, s20
	s_mul_i32 s40, s40, s20
	s_add_i32 s0, s0, s40
	s_mul_i32 s4, s21, s20
	s_mul_i32 s0, s0, s33
	s_mul_hi_u32 s1, s4, s33
	s_add_i32 s1, s1, s0
	s_mul_i32 s0, s4, s33
	s_lshl_b64 s[0:1], s[0:1], 2
	s_add_u32 s4, s28, s0
	s_mul_i32 s0, s21, s2
	s_addc_u32 s5, s29, s1
	s_ashr_i32 s1, s0, 31
	s_lshl_b64 s[0:1], s[0:1], 2
	s_add_u32 s6, s4, s0
	v_cmp_le_i32_e32 vcc, s24, v18
	s_addc_u32 s7, s5, s1
	s_and_b64 vcc, s[34:35], vcc
	s_cmp_lt_i32 s2, 1
	v_lshlrev_b32_e32 v25, 2, v18
	s_barrier
	s_cbranch_scc1 .LBB149_79
; %bb.73:
	s_mul_i32 s0, s3, s26
	s_ashr_i32 s1, s0, 31
	s_lshl_b64 s[0:1], s[0:1], 2
	v_mov_b32_e32 v0, s1
	v_subrev_co_u32_e64 v20, s[0:1], s0, v4
	v_lshlrev_b64 v[2:3], 2, v[6:7]
	s_nop 0
	v_subb_co_u32_e64 v21, s[0:1], v5, v0, s[0:1]
	s_lshl_b64 s[0:1], s[30:31], 2
	s_nop 0
	v_mov_b32_e32 v1, s1
	v_subrev_co_u32_e64 v0, s[0:1], s0, v8
	s_ashr_i32 s25, s24, 31
	s_nop 0
	v_subb_co_u32_e64 v1, s[0:1], v9, v1, s[0:1]
	s_movk_i32 s0, 0xff80
	s_mov_b32 s1, -1
	v_lshl_add_u64 v[0:1], v[0:1], 0, s[0:1]
	v_sub_co_u32_e64 v0, s[0:1], v0, v2
	v_mul_lo_u32 v2, v17, s22
	v_lshl_add_u32 v2, v2, 2, v18
	v_subb_co_u32_e64 v1, s[0:1], v1, v3, s[0:1]
	v_ashrrev_i32_e32 v3, 31, v2
	v_lshl_add_u64 v[0:1], v[2:3], 2, v[0:1]
	v_sub_co_u32_e64 v2, s[0:1], v0, v25
	v_and_b32_e32 v4, 15, v18
	s_nop 0
	v_subbrev_co_u32_e64 v3, s[0:1], 0, v1, s[0:1]
	v_lshl_add_u64 v[2:3], s[24:25], 2, v[2:3]
	v_lshl_add_u64 v[2:3], v[2:3], 0, -4
	v_cndmask_b32_e32 v22, v0, v2, vcc
	s_movk_i32 s0, 0x430
	v_lshrrev_b32_e32 v2, 2, v14
	v_mad_u32_u24 v29, v17, s0, v25
	s_movk_i32 s0, 0x10c
	v_and_b32_e32 v2, 0x7ffc, v2
	v_mad_u32_u24 v30, v4, s0, v2
	v_and_b32_e32 v2, 48, v18
	v_mov_b32_e32 v0, 0x10c0
	v_lshlrev_b32_e32 v2, 2, v2
	v_cndmask_b32_e32 v23, v1, v3, vcc
	v_lshl_add_u32 v27, v17, 4, v0
	v_mul_u32_u24_e32 v0, 0x10c, v4
	v_and_b32_e32 v1, 0x1fff0, v14
	v_mad_u32_u24 v31, v4, s0, v2
	v_or_b32_e32 v2, 60, v25
	s_ashr_i32 s23, s22, 31
	v_mov_b32_e32 v19, 0
	s_lshl_b32 s3, s3, 6
	v_add_u32_e32 v26, 0x10c0, v25
	v_add_u32_e32 v28, 0x11c0, v25
	v_cmp_gt_u32_e64 s[4:5], 64, v14
	v_mad_u32_u24 v32, v4, s0, v2
	s_lshl_b64 s[0:1], s[22:23], 2
	s_lshl_b64 s[8:9], s[22:23], 3
	;; [unrolled: 1-line block ×3, first 2 shown]
	s_mul_hi_i32 s13, s22, 12
	s_mul_i32 s12, s22, 12
	s_lshl_b64 s[14:15], s[22:23], 6
	s_mul_hi_i32 s21, s22, 0x48
	s_mul_i32 s20, s22, 0x48
	s_mul_hi_i32 s25, s22, 0x4c
	s_mul_i32 s24, s22, 0x4c
	s_lshl_b64 s[26:27], s[22:23], 7
	s_mul_hi_i32 s29, s22, 0x88
	s_mul_i32 s28, s22, 0x88
	s_mul_hi_i32 s31, s22, 0x8c
	s_mul_i32 s30, s22, 0x8c
	;; [unrolled: 2-line block ×7, first 2 shown]
	s_mul_hi_i32 s23, s22, 0x44
	s_mulk_i32 s22, 0x44
	s_mov_b32 s44, 0
	v_add_u32_e32 v33, v0, v1
	s_branch .LBB149_75
.LBB149_74:                             ;   in Loop: Header=BB149_75 Depth=1
	s_or_b64 exec, exec, s[46:47]
	v_fmac_f32_e32 v24, v37, v0
	v_fmac_f32_e32 v24, v36, v1
	;; [unrolled: 1-line block ×15, first 2 shown]
	s_add_i32 s2, s2, -1
	s_add_i32 s44, s44, s3
	v_fmac_f32_e32 v24, v46, v15
	v_lshl_add_u64 v[22:23], v[22:23], 0, s[10:11]
	s_cmp_eq_u32 s2, 0
	v_add_u32_e32 v18, 64, v18
	s_barrier
	s_cbranch_scc1 .LBB149_79
.LBB149_75:                             ; =>This Inner Loop Header: Depth=1
	s_and_saveexec_b64 s[46:47], s[18:19]
	s_cbranch_execz .LBB149_77
; %bb.76:                               ;   in Loop: Header=BB149_75 Depth=1
	s_ashr_i32 s45, s44, 31
	v_lshl_add_u64 v[0:1], s[44:45], 2, v[20:21]
	flat_load_dword v0, v[0:1]
	s_waitcnt vmcnt(0) lgkmcnt(0)
	ds_write_b32 v26, v0
.LBB149_77:                             ;   in Loop: Header=BB149_75 Depth=1
	s_or_b64 exec, exec, s[46:47]
	s_waitcnt lgkmcnt(0)
	s_barrier
	v_lshl_add_u64 v[0:1], v[22:23], 0, s[0:1]
	v_lshl_add_u64 v[2:3], v[22:23], 0, s[8:9]
	;; [unrolled: 1-line block ×3, first 2 shown]
	flat_load_dword v37, v[22:23]
	flat_load_dword v36, v[0:1]
	;; [unrolled: 1-line block ×4, first 2 shown]
	ds_read_b32 v12, v28
	ds_read_b128 v[0:3], v27
	v_lshl_add_u64 v[4:5], v[22:23], 0, s[14:15]
	v_lshl_add_u64 v[6:7], v[22:23], 0, s[22:23]
	v_lshl_add_u64 v[8:9], v[22:23], 0, s[20:21]
	v_lshl_add_u64 v[10:11], v[22:23], 0, s[24:25]
	v_lshl_add_u64 v[46:47], v[22:23], 0, s[28:29]
	v_lshl_add_u64 v[48:49], v[22:23], 0, s[30:31]
	v_lshl_add_u64 v[54:55], v[22:23], 0, s[34:35]
	v_lshl_add_u64 v[56:57], v[22:23], 0, s[40:41]
	v_lshl_add_u64 v[58:59], v[22:23], 0, s[36:37]
	v_lshl_add_u64 v[60:61], v[22:23], 0, s[38:39]
	s_waitcnt vmcnt(0) lgkmcnt(0)
	v_mul_f32_e32 v13, v37, v12
	v_mul_f32_e32 v14, v36, v12
	;; [unrolled: 1-line block ×4, first 2 shown]
	ds_write2_b32 v29, v13, v14 offset1:67
	ds_write2_b32 v29, v15, v12 offset0:134 offset1:201
	s_waitcnt lgkmcnt(0)
	s_barrier
	ds_read2_b32 v[12:13], v33 offset1:1
	ds_read2_b32 v[14:15], v33 offset0:2 offset1:3
	s_waitcnt lgkmcnt(0)
	s_barrier
	flat_load_dword v41, v[4:5]
	flat_load_dword v40, v[6:7]
	;; [unrolled: 1-line block ×4, first 2 shown]
	ds_read_b32 v42, v28
	ds_read_b128 v[4:7], v27 offset:64
	v_lshl_add_u64 v[8:9], v[22:23], 0, s[26:27]
	v_lshl_add_u64 v[10:11], v[22:23], 0, s[42:43]
	v_add_f32_e32 v12, 0, v12
	v_add_f32_e32 v12, v12, v13
	;; [unrolled: 1-line block ×3, first 2 shown]
	s_waitcnt vmcnt(0) lgkmcnt(0)
	v_mul_f32_e32 v43, v41, v42
	v_mul_f32_e32 v44, v40, v42
	;; [unrolled: 1-line block ×4, first 2 shown]
	ds_write2_b32 v29, v43, v44 offset1:67
	ds_write2_b32 v29, v45, v42 offset0:134 offset1:201
	s_waitcnt lgkmcnt(0)
	s_barrier
	ds_read2_b32 v[50:51], v33 offset1:1
	ds_read2_b32 v[52:53], v33 offset0:2 offset1:3
	s_waitcnt lgkmcnt(0)
	s_barrier
	flat_load_dword v45, v[8:9]
	flat_load_dword v44, v[10:11]
	;; [unrolled: 1-line block ×4, first 2 shown]
	ds_read_b32 v46, v28
	ds_read_b128 v[8:11], v27 offset:128
	s_waitcnt vmcnt(0) lgkmcnt(0)
	v_mul_f32_e32 v47, v45, v46
	v_mul_f32_e32 v48, v44, v46
	;; [unrolled: 1-line block ×4, first 2 shown]
	ds_write2_b32 v29, v47, v48 offset1:67
	ds_write2_b32 v29, v49, v46 offset0:134 offset1:201
	s_waitcnt lgkmcnt(0)
	s_barrier
	ds_read2_b32 v[62:63], v33 offset1:1
	ds_read2_b32 v[64:65], v33 offset0:2 offset1:3
	s_waitcnt lgkmcnt(0)
	s_barrier
	flat_load_dword v49, v[54:55]
	flat_load_dword v48, v[56:57]
	;; [unrolled: 1-line block ×4, first 2 shown]
	v_add_f32_e32 v54, v12, v15
	v_add_f32_e32 v12, 0, v50
	v_add_f32_e32 v12, v12, v51
	v_add_f32_e32 v12, v12, v52
	v_add_f32_e32 v55, v12, v53
	ds_read_b32 v50, v28
	ds_read_b128 v[12:15], v27 offset:192
	v_add_f32_e32 v51, 0, v62
	v_add_f32_e32 v51, v51, v63
	;; [unrolled: 1-line block ×4, first 2 shown]
	s_waitcnt vmcnt(0) lgkmcnt(0)
	v_mul_f32_e32 v51, v49, v50
	v_mul_f32_e32 v52, v48, v50
	;; [unrolled: 1-line block ×4, first 2 shown]
	ds_write2_b32 v29, v51, v52 offset1:67
	ds_write2_b32 v29, v53, v50 offset0:134 offset1:201
	s_waitcnt lgkmcnt(0)
	s_barrier
	ds_read2_b32 v[50:51], v33 offset1:1
	ds_read2_b32 v[52:53], v33 offset0:2 offset1:3
	s_waitcnt lgkmcnt(0)
	s_barrier
	v_add_f32_e32 v50, 0, v50
	v_add_f32_e32 v50, v50, v51
	;; [unrolled: 1-line block ×4, first 2 shown]
	ds_write2_b32 v30, v54, v55 offset1:16
	ds_write2_b32 v30, v56, v50 offset0:32 offset1:48
	s_waitcnt lgkmcnt(0)
	s_barrier
	s_and_saveexec_b64 s[46:47], s[4:5]
	s_cbranch_execz .LBB149_74
; %bb.78:                               ;   in Loop: Header=BB149_75 Depth=1
	ds_read2_b32 v[50:51], v31 offset1:1
	ds_read2_b32 v[52:53], v31 offset0:2 offset1:3
	ds_read2_b32 v[54:55], v31 offset0:4 offset1:5
	;; [unrolled: 1-line block ×4, first 2 shown]
	s_waitcnt lgkmcnt(4)
	v_add_f32_e32 v50, v50, v51
	s_waitcnt lgkmcnt(3)
	v_add_f32_e32 v50, v50, v52
	v_add_f32_e32 v50, v50, v53
	s_waitcnt lgkmcnt(2)
	v_add_f32_e32 v50, v50, v54
	;; [unrolled: 3-line block ×3, first 2 shown]
	v_add_f32_e32 v54, v50, v57
	ds_read2_b32 v[50:51], v31 offset0:10 offset1:11
	ds_read2_b32 v[52:53], v31 offset0:12 offset1:13
	ds_read_b32 v55, v31 offset:56
	s_waitcnt lgkmcnt(3)
	v_add_f32_e32 v54, v54, v58
	v_add_f32_e32 v54, v54, v59
	s_waitcnt lgkmcnt(2)
	v_add_f32_e32 v50, v54, v50
	ds_read_b32 v54, v32
	v_add_f32_e32 v50, v50, v51
	s_waitcnt lgkmcnt(2)
	v_add_f32_e32 v50, v50, v52
	v_add_f32_e32 v50, v50, v53
	s_waitcnt lgkmcnt(1)
	v_add_f32_e32 v50, v50, v55
	s_waitcnt lgkmcnt(0)
	v_add_f32_e32 v52, v50, v54
	v_lshl_add_u64 v[50:51], v[18:19], 2, s[6:7]
	global_store_dword v[50:51], v52, off
	s_branch .LBB149_74
.LBB149_79:
	s_movk_i32 s0, 0x10c
	v_mad_u32_u24 v0, v17, s0, v25
	s_nor_b64 s[0:1], s[16:17], vcc
	ds_write_b32 v0, v24
	s_waitcnt lgkmcnt(0)
	s_barrier
	s_and_saveexec_b64 s[2:3], s[0:1]
	s_cbranch_execz .LBB149_4
; %bb.80:
	ds_read2_b32 v[0:1], v25 offset1:67
	ds_read2_b32 v[2:3], v25 offset0:134 offset1:201
	v_ashrrev_i32_e32 v17, 31, v16
	s_waitcnt lgkmcnt(1)
	v_add_f32_e32 v0, v0, v1
	s_waitcnt lgkmcnt(0)
	v_add_f32_e32 v0, v0, v2
	v_add_f32_e32 v2, v0, v3
	v_lshl_add_u64 v[0:1], v[16:17], 2, s[6:7]
	global_store_dword v[0:1], v2, off
	s_endpgm
	.section	.rodata,"a",@progbits
	.p2align	6, 0x0
	.amdhsa_kernel _ZL26rocblas_hemvn_kernel_lowerILb0ELi64ELi4ELi33ELi32ELi16EiPKfPKS1_PfEviT6_lT7_lT5_lS6_lS7_lS5_lT8_i
		.amdhsa_group_segment_fixed_size 4800
		.amdhsa_private_segment_fixed_size 0
		.amdhsa_kernarg_size 376
		.amdhsa_user_sgpr_count 2
		.amdhsa_user_sgpr_dispatch_ptr 0
		.amdhsa_user_sgpr_queue_ptr 0
		.amdhsa_user_sgpr_kernarg_segment_ptr 1
		.amdhsa_user_sgpr_dispatch_id 0
		.amdhsa_user_sgpr_kernarg_preload_length 0
		.amdhsa_user_sgpr_kernarg_preload_offset 0
		.amdhsa_user_sgpr_private_segment_size 0
		.amdhsa_uses_dynamic_stack 0
		.amdhsa_enable_private_segment 0
		.amdhsa_system_sgpr_workgroup_id_x 1
		.amdhsa_system_sgpr_workgroup_id_y 0
		.amdhsa_system_sgpr_workgroup_id_z 1
		.amdhsa_system_sgpr_workgroup_info 0
		.amdhsa_system_vgpr_workitem_id 1
		.amdhsa_next_free_vgpr 66
		.amdhsa_next_free_sgpr 48
		.amdhsa_accum_offset 68
		.amdhsa_reserve_vcc 1
		.amdhsa_float_round_mode_32 0
		.amdhsa_float_round_mode_16_64 0
		.amdhsa_float_denorm_mode_32 3
		.amdhsa_float_denorm_mode_16_64 3
		.amdhsa_dx10_clamp 1
		.amdhsa_ieee_mode 1
		.amdhsa_fp16_overflow 0
		.amdhsa_tg_split 0
		.amdhsa_exception_fp_ieee_invalid_op 0
		.amdhsa_exception_fp_denorm_src 0
		.amdhsa_exception_fp_ieee_div_zero 0
		.amdhsa_exception_fp_ieee_overflow 0
		.amdhsa_exception_fp_ieee_underflow 0
		.amdhsa_exception_fp_ieee_inexact 0
		.amdhsa_exception_int_div_zero 0
	.end_amdhsa_kernel
	.section	.text._ZL26rocblas_hemvn_kernel_lowerILb0ELi64ELi4ELi33ELi32ELi16EiPKfPKS1_PfEviT6_lT7_lT5_lS6_lS7_lS5_lT8_i,"axG",@progbits,_ZL26rocblas_hemvn_kernel_lowerILb0ELi64ELi4ELi33ELi32ELi16EiPKfPKS1_PfEviT6_lT7_lT5_lS6_lS7_lS5_lT8_i,comdat
.Lfunc_end149:
	.size	_ZL26rocblas_hemvn_kernel_lowerILb0ELi64ELi4ELi33ELi32ELi16EiPKfPKS1_PfEviT6_lT7_lT5_lS6_lS7_lS5_lT8_i, .Lfunc_end149-_ZL26rocblas_hemvn_kernel_lowerILb0ELi64ELi4ELi33ELi32ELi16EiPKfPKS1_PfEviT6_lT7_lT5_lS6_lS7_lS5_lT8_i
                                        ; -- End function
	.set _ZL26rocblas_hemvn_kernel_lowerILb0ELi64ELi4ELi33ELi32ELi16EiPKfPKS1_PfEviT6_lT7_lT5_lS6_lS7_lS5_lT8_i.num_vgpr, 66
	.set _ZL26rocblas_hemvn_kernel_lowerILb0ELi64ELi4ELi33ELi32ELi16EiPKfPKS1_PfEviT6_lT7_lT5_lS6_lS7_lS5_lT8_i.num_agpr, 0
	.set _ZL26rocblas_hemvn_kernel_lowerILb0ELi64ELi4ELi33ELi32ELi16EiPKfPKS1_PfEviT6_lT7_lT5_lS6_lS7_lS5_lT8_i.numbered_sgpr, 48
	.set _ZL26rocblas_hemvn_kernel_lowerILb0ELi64ELi4ELi33ELi32ELi16EiPKfPKS1_PfEviT6_lT7_lT5_lS6_lS7_lS5_lT8_i.num_named_barrier, 0
	.set _ZL26rocblas_hemvn_kernel_lowerILb0ELi64ELi4ELi33ELi32ELi16EiPKfPKS1_PfEviT6_lT7_lT5_lS6_lS7_lS5_lT8_i.private_seg_size, 0
	.set _ZL26rocblas_hemvn_kernel_lowerILb0ELi64ELi4ELi33ELi32ELi16EiPKfPKS1_PfEviT6_lT7_lT5_lS6_lS7_lS5_lT8_i.uses_vcc, 1
	.set _ZL26rocblas_hemvn_kernel_lowerILb0ELi64ELi4ELi33ELi32ELi16EiPKfPKS1_PfEviT6_lT7_lT5_lS6_lS7_lS5_lT8_i.uses_flat_scratch, 0
	.set _ZL26rocblas_hemvn_kernel_lowerILb0ELi64ELi4ELi33ELi32ELi16EiPKfPKS1_PfEviT6_lT7_lT5_lS6_lS7_lS5_lT8_i.has_dyn_sized_stack, 0
	.set _ZL26rocblas_hemvn_kernel_lowerILb0ELi64ELi4ELi33ELi32ELi16EiPKfPKS1_PfEviT6_lT7_lT5_lS6_lS7_lS5_lT8_i.has_recursion, 0
	.set _ZL26rocblas_hemvn_kernel_lowerILb0ELi64ELi4ELi33ELi32ELi16EiPKfPKS1_PfEviT6_lT7_lT5_lS6_lS7_lS5_lT8_i.has_indirect_call, 0
	.section	.AMDGPU.csdata,"",@progbits
; Kernel info:
; codeLenInByte = 5476
; TotalNumSgprs: 54
; NumVgprs: 66
; NumAgprs: 0
; TotalNumVgprs: 66
; ScratchSize: 0
; MemoryBound: 0
; FloatMode: 240
; IeeeMode: 1
; LDSByteSize: 4800 bytes/workgroup (compile time only)
; SGPRBlocks: 6
; VGPRBlocks: 8
; NumSGPRsForWavesPerEU: 54
; NumVGPRsForWavesPerEU: 66
; AccumOffset: 68
; Occupancy: 7
; WaveLimiterHint : 1
; COMPUTE_PGM_RSRC2:SCRATCH_EN: 0
; COMPUTE_PGM_RSRC2:USER_SGPR: 2
; COMPUTE_PGM_RSRC2:TRAP_HANDLER: 0
; COMPUTE_PGM_RSRC2:TGID_X_EN: 1
; COMPUTE_PGM_RSRC2:TGID_Y_EN: 0
; COMPUTE_PGM_RSRC2:TGID_Z_EN: 1
; COMPUTE_PGM_RSRC2:TIDIG_COMP_CNT: 1
; COMPUTE_PGM_RSRC3_GFX90A:ACCUM_OFFSET: 16
; COMPUTE_PGM_RSRC3_GFX90A:TG_SPLIT: 0
	.section	.text._ZL36rocblas_hemvn_kernel_lower_block_sumILi64EiPKfPKPffEviT1_lS5_lT2_lT0_lPT3_i,"axG",@progbits,_ZL36rocblas_hemvn_kernel_lower_block_sumILi64EiPKfPKPffEviT1_lS5_lT2_lT0_lPT3_i,comdat
	.globl	_ZL36rocblas_hemvn_kernel_lower_block_sumILi64EiPKfPKPffEviT1_lS5_lT2_lT0_lPT3_i ; -- Begin function _ZL36rocblas_hemvn_kernel_lower_block_sumILi64EiPKfPKPffEviT1_lS5_lT2_lT0_lPT3_i
	.p2align	8
	.type	_ZL36rocblas_hemvn_kernel_lower_block_sumILi64EiPKfPKPffEviT1_lS5_lT2_lT0_lPT3_i,@function
_ZL36rocblas_hemvn_kernel_lower_block_sumILi64EiPKfPKPffEviT1_lS5_lT2_lT0_lPT3_i: ; @_ZL36rocblas_hemvn_kernel_lower_block_sumILi64EiPKfPKPffEviT1_lS5_lT2_lT0_lPT3_i
; %bb.0:
	s_load_dwordx8 s[4:11], s[0:1], 0x8
	s_mov_b32 s12, s3
	s_waitcnt lgkmcnt(0)
	s_mul_i32 s3, s7, s3
	s_mul_hi_u32 s7, s6, s12
	s_add_i32 s7, s7, s3
	s_mul_i32 s6, s6, s12
	s_lshl_b64 s[6:7], s[6:7], 2
	s_add_u32 s4, s4, s6
	s_addc_u32 s5, s5, s7
	s_load_dword s6, s[4:5], 0x0
	s_mul_i32 s3, s11, s12
	s_mul_hi_u32 s4, s10, s12
	s_add_i32 s5, s4, s3
	s_mul_i32 s4, s10, s12
	s_lshl_b64 s[4:5], s[4:5], 2
	s_add_u32 s4, s8, s4
	s_addc_u32 s5, s9, s5
	s_load_dword s7, s[4:5], 0x0
	s_waitcnt lgkmcnt(0)
	v_cmp_eq_f32_e64 s[4:5], s6, 0
	v_cmp_eq_f32_e64 s[8:9], s7, 1.0
	s_and_b64 s[4:5], s[4:5], s[8:9]
	s_and_b64 vcc, exec, s[4:5]
	s_cbranch_vccnz .LBB150_19
; %bb.1:
	s_load_dwordx4 s[8:11], s[0:1], 0x28
	s_mov_b32 s13, 0
	s_lshl_b64 s[4:5], s[12:13], 3
	s_load_dword s3, s[0:1], 0x38
	s_load_dword s14, s[0:1], 0x0
	v_lshl_or_b32 v3, s2, 6, v0
	s_waitcnt lgkmcnt(0)
	s_add_u32 s4, s8, s4
	s_addc_u32 s5, s9, s5
	s_load_dwordx2 s[4:5], s[4:5], 0x0
	s_lshl_b64 s[8:9], s[10:11], 2
	v_cmp_neq_f32_e64 s[16:17], s6, 0
	s_waitcnt lgkmcnt(0)
	s_add_u32 s8, s4, s8
	s_addc_u32 s9, s5, s9
	s_and_b64 vcc, exec, s[16:17]
	v_cmp_gt_i32_e64 s[4:5], s14, v3
	s_cbranch_vccnz .LBB150_6
; %bb.2:
	s_mov_b64 s[16:17], 0
	s_mov_b64 s[10:11], 0
                                        ; implicit-def: $vgpr4
                                        ; implicit-def: $vgpr0_vgpr1
	s_and_saveexec_b64 s[18:19], s[4:5]
	s_cbranch_execz .LBB150_7
; %bb.3:
	v_cmp_eq_f32_e64 s[4:5], s7, 0
	v_mul_lo_u32 v0, s3, v3
	v_mov_b32_e32 v4, 0
	v_ashrrev_i32_e32 v1, 31, v0
	s_and_b64 vcc, exec, s[4:5]
	s_cbranch_vccnz .LBB150_5
; %bb.4:
	v_lshl_add_u64 v[4:5], v[0:1], 2, s[8:9]
	flat_load_dword v2, v[4:5]
	s_waitcnt vmcnt(0) lgkmcnt(0)
	v_mul_f32_e32 v4, s7, v2
.LBB150_5:
	s_mov_b64 s[10:11], exec
	s_or_b64 exec, exec, s[18:19]
	s_and_b64 vcc, exec, s[16:17]
	s_cbranch_vccnz .LBB150_8
	s_branch .LBB150_17
.LBB150_6:
	s_mov_b64 s[10:11], 0
                                        ; implicit-def: $vgpr4
                                        ; implicit-def: $vgpr0_vgpr1
	s_cbranch_execnz .LBB150_8
	s_branch .LBB150_17
.LBB150_7:
	s_or_b64 exec, exec, s[18:19]
	s_and_b64 vcc, exec, s[16:17]
	s_cbranch_vccz .LBB150_17
.LBB150_8:
	v_cmp_gt_i32_e32 vcc, s14, v3
                                        ; implicit-def: $vgpr4
                                        ; implicit-def: $vgpr0_vgpr1
	s_and_saveexec_b64 s[4:5], vcc
	s_cbranch_execz .LBB150_16
; %bb.9:
	s_load_dword s13, s[0:1], 0x58
	v_mov_b32_e32 v2, 0
	s_waitcnt lgkmcnt(0)
	s_cmp_ge_i32 s2, s13
	s_cbranch_scc1 .LBB150_12
; %bb.10:
	s_ashr_i32 s15, s14, 31
	s_mul_i32 s16, s14, s2
	s_load_dwordx2 s[0:1], s[0:1], 0x48
	v_add_u32_e32 v0, s16, v3
	s_mul_hi_u32 s16, s14, s12
	s_mul_i32 s17, s15, s12
	s_add_i32 s16, s16, s17
	s_mul_i32 s12, s14, s12
	s_mul_i32 s16, s16, s13
	s_mul_hi_u32 s17, s12, s13
	s_add_i32 s17, s17, s16
	s_mul_i32 s16, s12, s13
	s_lshl_b64 s[16:17], s[16:17], 2
	s_waitcnt lgkmcnt(0)
	s_add_u32 s0, s0, s16
	v_ashrrev_i32_e32 v1, 31, v0
	s_addc_u32 s1, s1, s17
	v_lshl_add_u64 v[0:1], v[0:1], 2, s[0:1]
	s_lshl_b64 s[0:1], s[14:15], 2
	v_mov_b32_e32 v2, 0
.LBB150_11:                             ; =>This Inner Loop Header: Depth=1
	global_load_dword v4, v[0:1], off
	s_add_i32 s2, s2, 1
	v_lshl_add_u64 v[0:1], v[0:1], 0, s[0:1]
	s_cmp_ge_i32 s2, s13
	s_waitcnt vmcnt(0)
	v_add_f32_e32 v2, v2, v4
	s_cbranch_scc0 .LBB150_11
.LBB150_12:
	v_cmp_eq_f32_e64 s[0:1], s7, 0
	v_mul_lo_u32 v0, s3, v3
	s_and_b64 vcc, exec, s[0:1]
	v_ashrrev_i32_e32 v1, 31, v0
	s_cbranch_vccz .LBB150_20
; %bb.13:
	v_mul_f32_e32 v4, s6, v2
	s_cbranch_execnz .LBB150_15
.LBB150_14:
	v_lshl_add_u64 v[4:5], v[0:1], 2, s[8:9]
	flat_load_dword v3, v[4:5]
	s_waitcnt vmcnt(0) lgkmcnt(0)
	v_pk_mul_f32 v[2:3], s[6:7], v[2:3]
	s_nop 0
	v_add_f32_e32 v4, v2, v3
.LBB150_15:
	s_or_b64 s[10:11], s[10:11], exec
.LBB150_16:
	s_or_b64 exec, exec, s[4:5]
.LBB150_17:
	s_and_saveexec_b64 s[0:1], s[10:11]
	s_cbranch_execz .LBB150_19
; %bb.18:
	v_lshl_add_u64 v[0:1], v[0:1], 2, s[8:9]
	flat_store_dword v[0:1], v4
.LBB150_19:
	s_endpgm
.LBB150_20:
                                        ; implicit-def: $vgpr4
	s_branch .LBB150_14
	.section	.rodata,"a",@progbits
	.p2align	6, 0x0
	.amdhsa_kernel _ZL36rocblas_hemvn_kernel_lower_block_sumILi64EiPKfPKPffEviT1_lS5_lT2_lT0_lPT3_i
		.amdhsa_group_segment_fixed_size 0
		.amdhsa_private_segment_fixed_size 0
		.amdhsa_kernarg_size 344
		.amdhsa_user_sgpr_count 2
		.amdhsa_user_sgpr_dispatch_ptr 0
		.amdhsa_user_sgpr_queue_ptr 0
		.amdhsa_user_sgpr_kernarg_segment_ptr 1
		.amdhsa_user_sgpr_dispatch_id 0
		.amdhsa_user_sgpr_kernarg_preload_length 0
		.amdhsa_user_sgpr_kernarg_preload_offset 0
		.amdhsa_user_sgpr_private_segment_size 0
		.amdhsa_uses_dynamic_stack 0
		.amdhsa_enable_private_segment 0
		.amdhsa_system_sgpr_workgroup_id_x 1
		.amdhsa_system_sgpr_workgroup_id_y 0
		.amdhsa_system_sgpr_workgroup_id_z 1
		.amdhsa_system_sgpr_workgroup_info 0
		.amdhsa_system_vgpr_workitem_id 0
		.amdhsa_next_free_vgpr 6
		.amdhsa_next_free_sgpr 20
		.amdhsa_accum_offset 8
		.amdhsa_reserve_vcc 1
		.amdhsa_float_round_mode_32 0
		.amdhsa_float_round_mode_16_64 0
		.amdhsa_float_denorm_mode_32 3
		.amdhsa_float_denorm_mode_16_64 3
		.amdhsa_dx10_clamp 1
		.amdhsa_ieee_mode 1
		.amdhsa_fp16_overflow 0
		.amdhsa_tg_split 0
		.amdhsa_exception_fp_ieee_invalid_op 0
		.amdhsa_exception_fp_denorm_src 0
		.amdhsa_exception_fp_ieee_div_zero 0
		.amdhsa_exception_fp_ieee_overflow 0
		.amdhsa_exception_fp_ieee_underflow 0
		.amdhsa_exception_fp_ieee_inexact 0
		.amdhsa_exception_int_div_zero 0
	.end_amdhsa_kernel
	.section	.text._ZL36rocblas_hemvn_kernel_lower_block_sumILi64EiPKfPKPffEviT1_lS5_lT2_lT0_lPT3_i,"axG",@progbits,_ZL36rocblas_hemvn_kernel_lower_block_sumILi64EiPKfPKPffEviT1_lS5_lT2_lT0_lPT3_i,comdat
.Lfunc_end150:
	.size	_ZL36rocblas_hemvn_kernel_lower_block_sumILi64EiPKfPKPffEviT1_lS5_lT2_lT0_lPT3_i, .Lfunc_end150-_ZL36rocblas_hemvn_kernel_lower_block_sumILi64EiPKfPKPffEviT1_lS5_lT2_lT0_lPT3_i
                                        ; -- End function
	.set _ZL36rocblas_hemvn_kernel_lower_block_sumILi64EiPKfPKPffEviT1_lS5_lT2_lT0_lPT3_i.num_vgpr, 6
	.set _ZL36rocblas_hemvn_kernel_lower_block_sumILi64EiPKfPKPffEviT1_lS5_lT2_lT0_lPT3_i.num_agpr, 0
	.set _ZL36rocblas_hemvn_kernel_lower_block_sumILi64EiPKfPKPffEviT1_lS5_lT2_lT0_lPT3_i.numbered_sgpr, 20
	.set _ZL36rocblas_hemvn_kernel_lower_block_sumILi64EiPKfPKPffEviT1_lS5_lT2_lT0_lPT3_i.num_named_barrier, 0
	.set _ZL36rocblas_hemvn_kernel_lower_block_sumILi64EiPKfPKPffEviT1_lS5_lT2_lT0_lPT3_i.private_seg_size, 0
	.set _ZL36rocblas_hemvn_kernel_lower_block_sumILi64EiPKfPKPffEviT1_lS5_lT2_lT0_lPT3_i.uses_vcc, 1
	.set _ZL36rocblas_hemvn_kernel_lower_block_sumILi64EiPKfPKPffEviT1_lS5_lT2_lT0_lPT3_i.uses_flat_scratch, 0
	.set _ZL36rocblas_hemvn_kernel_lower_block_sumILi64EiPKfPKPffEviT1_lS5_lT2_lT0_lPT3_i.has_dyn_sized_stack, 0
	.set _ZL36rocblas_hemvn_kernel_lower_block_sumILi64EiPKfPKPffEviT1_lS5_lT2_lT0_lPT3_i.has_recursion, 0
	.set _ZL36rocblas_hemvn_kernel_lower_block_sumILi64EiPKfPKPffEviT1_lS5_lT2_lT0_lPT3_i.has_indirect_call, 0
	.section	.AMDGPU.csdata,"",@progbits
; Kernel info:
; codeLenInByte = 608
; TotalNumSgprs: 26
; NumVgprs: 6
; NumAgprs: 0
; TotalNumVgprs: 6
; ScratchSize: 0
; MemoryBound: 0
; FloatMode: 240
; IeeeMode: 1
; LDSByteSize: 0 bytes/workgroup (compile time only)
; SGPRBlocks: 3
; VGPRBlocks: 0
; NumSGPRsForWavesPerEU: 26
; NumVGPRsForWavesPerEU: 6
; AccumOffset: 8
; Occupancy: 8
; WaveLimiterHint : 1
; COMPUTE_PGM_RSRC2:SCRATCH_EN: 0
; COMPUTE_PGM_RSRC2:USER_SGPR: 2
; COMPUTE_PGM_RSRC2:TRAP_HANDLER: 0
; COMPUTE_PGM_RSRC2:TGID_X_EN: 1
; COMPUTE_PGM_RSRC2:TGID_Y_EN: 0
; COMPUTE_PGM_RSRC2:TGID_Z_EN: 1
; COMPUTE_PGM_RSRC2:TIDIG_COMP_CNT: 0
; COMPUTE_PGM_RSRC3_GFX90A:ACCUM_OFFSET: 1
; COMPUTE_PGM_RSRC3_GFX90A:TG_SPLIT: 0
	.section	.text._ZL26rocblas_hemvn_kernel_lowerILb0ELi64ELi4ELi33ELi32ELi16ElfPKPKfPfEviT6_lT7_lT5_lS6_lS7_lS5_lT8_i,"axG",@progbits,_ZL26rocblas_hemvn_kernel_lowerILb0ELi64ELi4ELi33ELi32ELi16ElfPKPKfPfEviT6_lT7_lT5_lS6_lS7_lS5_lT8_i,comdat
	.globl	_ZL26rocblas_hemvn_kernel_lowerILb0ELi64ELi4ELi33ELi32ELi16ElfPKPKfPfEviT6_lT7_lT5_lS6_lS7_lS5_lT8_i ; -- Begin function _ZL26rocblas_hemvn_kernel_lowerILb0ELi64ELi4ELi33ELi32ELi16ElfPKPKfPfEviT6_lT7_lT5_lS6_lS7_lS5_lT8_i
	.p2align	8
	.type	_ZL26rocblas_hemvn_kernel_lowerILb0ELi64ELi4ELi33ELi32ELi16ElfPKPKfPfEviT6_lT7_lT5_lS6_lS7_lS5_lT8_i,@function
_ZL26rocblas_hemvn_kernel_lowerILb0ELi64ELi4ELi33ELi32ELi16ElfPKPKfPfEviT6_lT7_lT5_lS6_lS7_lS5_lT8_i: ; @_ZL26rocblas_hemvn_kernel_lowerILb0ELi64ELi4ELi33ELi32ELi16ElfPKPKfPfEviT6_lT7_lT5_lS6_lS7_lS5_lT8_i
; %bb.0:
	s_load_dwordx2 s[4:5], s[0:1], 0x7c
	s_add_u32 s10, s0, 0x70
	s_mov_b32 s26, s3
	s_addc_u32 s11, s1, 0
	s_waitcnt lgkmcnt(0)
	s_and_b32 s3, s5, 0xffff
	s_lshr_b32 s5, s4, 16
	s_and_b32 s4, s4, 0xffff
	s_mul_i32 s4, s5, s4
	s_mul_i32 s4, s4, s3
	s_cmpk_lg_i32 s4, 0x100
	s_cbranch_scc1 .LBB151_4
; %bb.1:
	s_load_dwordx2 s[30:31], s[0:1], 0x0
	s_load_dword s3, s[0:1], 0x50
	s_waitcnt lgkmcnt(0)
	v_cmp_eq_f32_e64 s[4:5], s31, 0
	v_cmp_eq_f32_e64 s[6:7], s3, 1.0
	s_and_b64 s[6:7], s[4:5], s[6:7]
	s_and_b64 vcc, exec, s[6:7]
	s_cbranch_vccnz .LBB151_4
; %bb.2:
	s_and_b64 vcc, exec, s[4:5]
	s_cbranch_vccz .LBB151_5
; %bb.3:
	s_cbranch_execz .LBB151_6
.LBB151_4:
	s_endpgm
.LBB151_5:
.LBB151_6:
	s_load_dwordx4 s[4:7], s[0:1], 0x10
	s_load_dwordx2 s[24:25], s[0:1], 0x20
	s_load_dwordx4 s[12:15], s[0:1], 0x30
	s_load_dwordx2 s[22:23], s[0:1], 0x40
	s_mov_b32 s27, 0
	s_lshl_b64 s[8:9], s[26:27], 3
	s_waitcnt lgkmcnt(0)
	s_add_u32 s4, s4, s8
	s_addc_u32 s5, s5, s9
	s_add_u32 s12, s12, s8
	s_addc_u32 s13, s13, s9
	s_load_dwordx2 s[16:17], s[12:13], 0x0
	s_load_dword s3, s[10:11], 0x0
	s_load_dwordx2 s[8:9], s[4:5], 0x0
	s_lshl_b64 s[4:5], s[14:15], 2
	v_and_b32_e32 v27, 0x3ff, v0
	s_waitcnt lgkmcnt(0)
	s_add_u32 s4, s16, s4
	s_addc_u32 s5, s17, s5
	s_ashr_i32 s27, s30, 31
	s_lshr_b32 s11, s27, 26
	s_add_i32 s11, s30, s11
	s_lshl_b32 s36, s2, 6
	s_andn2_b32 s11, s11, 63
	s_add_i32 s10, s3, -1
	s_sub_i32 s11, s30, s11
	v_add_u32_e32 v16, s36, v27
	s_cmp_eq_u32 s2, s10
	v_ashrrev_i32_e32 v17, 31, v16
	v_bfe_u32 v26, v0, 10, 10
	s_cselect_b32 s34, s11, 0
	v_mul_lo_u32 v2, s22, v17
	v_mul_lo_u32 v3, s23, v16
	v_mad_u64_u32 v[0:1], s[10:11], s22, v16, 0
	v_add3_u32 v1, v1, v2, v3
	v_lshl_add_u64 v[4:5], v[0:1], 2, s[4:5]
	v_cmp_ne_u32_e64 s[4:5], 0, v26
	v_cmp_eq_u32_e64 s[18:19], 0, v26
	s_and_saveexec_b64 s[10:11], s[18:19]
	s_cbranch_execz .LBB151_10
; %bb.7:
	s_cmp_eq_u32 s34, 0
	s_cselect_b64 s[12:13], -1, 0
	v_cmp_gt_i32_e32 vcc, s34, v27
	s_or_b64 s[14:15], s[12:13], vcc
	v_mov_b32_e32 v0, 0
	s_and_saveexec_b64 s[12:13], s[14:15]
	s_cbranch_execz .LBB151_9
; %bb.8:
	flat_load_dword v0, v[4:5]
.LBB151_9:
	s_or_b64 exec, exec, s[12:13]
	v_lshlrev_b32_e32 v1, 2, v27
	s_waitcnt vmcnt(0) lgkmcnt(0)
	ds_write_b32 v1, v0 offset:4544
.LBB151_10:
	s_or_b64 exec, exec, s[10:11]
	s_lshl_b64 s[6:7], s[6:7], 2
	s_add_u32 s8, s8, s6
	s_addc_u32 s9, s9, s7
	s_ashr_i32 s37, s36, 31
	v_lshl_add_u32 v14, v26, 6, v27
	s_lshl_b64 s[6:7], s[36:37], 2
	v_and_b32_e32 v0, 31, v27
	v_lshrrev_b32_e32 v12, 5, v14
	s_add_u32 s6, s8, s6
	v_mov_b32_e32 v1, 0
	s_addc_u32 s7, s9, s7
	v_mad_u64_u32 v[6:7], s[8:9], s24, v12, v[0:1]
	v_mov_b32_e32 v2, v7
	v_mad_u64_u32 v[2:3], s[8:9], s25, v12, v[2:3]
	v_mov_b32_e32 v7, v2
	v_lshl_add_u64 v[2:3], v[6:7], 2, s[6:7]
	s_mul_hi_u32 s6, s24, s36
	s_mul_i32 s7, s24, s37
	s_add_i32 s6, s6, s7
	s_mul_i32 s7, s25, s36
	s_add_i32 s39, s6, s7
	s_cmp_lg_u32 s34, 0
	s_mul_i32 s38, s24, s36
	s_cselect_b64 s[40:41], -1, 0
	s_cmp_eq_u32 s34, 0
	v_lshl_add_u64 v[2:3], s[38:39], 2, v[2:3]
	s_cselect_b64 s[20:21], -1, 0
	s_mov_b64 s[6:7], -1
	s_and_b64 vcc, exec, s[40:41]
	s_cbranch_vccnz .LBB151_12
; %bb.11:
	s_lshl_b64 s[6:7], s[24:25], 5
	v_lshl_add_u64 v[8:9], v[2:3], 0, s[6:7]
	v_lshl_add_u64 v[10:11], v[8:9], 0, s[6:7]
	;; [unrolled: 1-line block ×3, first 2 shown]
	flat_load_dword v1, v[2:3]
	flat_load_dword v13, v[8:9]
	;; [unrolled: 1-line block ×4, first 2 shown]
	v_mul_u32_u24_e32 v8, 0x84, v12
	v_lshl_add_u32 v8, v0, 2, v8
	s_mov_b64 s[6:7], 0
	s_waitcnt vmcnt(0) lgkmcnt(0)
	ds_write_b32 v8, v1
	ds_write_b32 v8, v13 offset:1056
	ds_write_b32 v8, v15 offset:2112
	;; [unrolled: 1-line block ×3, first 2 shown]
.LBB151_12:
	s_andn2_b64 vcc, exec, s[6:7]
	s_cbranch_vccnz .LBB151_22
; %bb.13:
	v_lshlrev_b32_e32 v8, 2, v0
	v_sub_co_u32_e32 v10, vcc, v2, v8
	s_ashr_i32 s35, s34, 31
	s_nop 0
	v_subbrev_co_u32_e32 v11, vcc, 0, v3, vcc
	v_lshl_add_u64 v[10:11], s[34:35], 2, v[10:11]
	v_lshl_add_u64 v[10:11], v[10:11], 0, -4
	v_cmp_gt_i32_e32 vcc, s34, v0
	v_mov_b32_e32 v13, 0
	v_cmp_gt_i32_e64 s[6:7], s34, v12
	v_cndmask_b32_e32 v11, v11, v3, vcc
	v_cndmask_b32_e32 v10, v10, v2, vcc
	v_mov_b32_e32 v15, 0
	s_and_saveexec_b64 s[8:9], s[6:7]
	s_cbranch_execz .LBB151_15
; %bb.14:
	flat_load_dword v15, v[10:11]
.LBB151_15:
	s_or_b64 exec, exec, s[8:9]
	v_lshlrev_b32_e32 v1, 2, v0
	s_movk_i32 s6, 0x84
	v_mad_u32_u24 v18, v12, s6, v1
	s_waitcnt vmcnt(0) lgkmcnt(0)
	ds_write_b32 v18, v15
	v_add_u32_e32 v15, 8, v12
	v_mul_u32_u24_e32 v9, 0x84, v12
	v_cmp_gt_i32_e64 s[6:7], s34, v15
	s_and_saveexec_b64 s[8:9], s[6:7]
	s_cbranch_execz .LBB151_17
; %bb.16:
	s_lshl_b64 s[6:7], s[24:25], 5
	v_lshl_add_u64 v[18:19], v[10:11], 0, s[6:7]
	flat_load_dword v13, v[18:19]
.LBB151_17:
	s_or_b64 exec, exec, s[8:9]
	v_add_u32_e32 v1, v9, v1
	v_add_u32_e32 v9, 16, v12
	s_waitcnt vmcnt(0) lgkmcnt(0)
	ds_write_b32 v1, v13 offset:1056
	v_cmp_gt_i32_e64 s[6:7], s34, v9
	v_mov_b32_e32 v9, 0
	v_mov_b32_e32 v13, 0
	s_and_saveexec_b64 s[8:9], s[6:7]
	s_cbranch_execz .LBB151_19
; %bb.18:
	s_lshl_b64 s[6:7], s[24:25], 6
	v_lshl_add_u64 v[18:19], v[10:11], 0, s[6:7]
	flat_load_dword v13, v[18:19]
.LBB151_19:
	s_or_b64 exec, exec, s[8:9]
	s_waitcnt vmcnt(0) lgkmcnt(0)
	ds_write_b32 v1, v13 offset:2112
	v_add_u32_e32 v13, 24, v12
	v_cmp_gt_i32_e64 s[6:7], s34, v13
	s_and_saveexec_b64 s[8:9], s[6:7]
	s_cbranch_execz .LBB151_21
; %bb.20:
	v_mov_b32_e32 v9, 0x60
	v_mad_u64_u32 v[18:19], s[6:7], s24, v9, v[10:11]
	s_mul_i32 s6, s25, 0x60
	s_nop 0
	v_add_u32_e32 v19, s6, v19
	flat_load_dword v9, v[18:19]
.LBB151_21:
	s_or_b64 exec, exec, s[8:9]
	s_waitcnt vmcnt(0) lgkmcnt(0)
	ds_write_b32 v1, v9 offset:3168
	v_mov_b32_e32 v9, 0
	v_lshl_add_u64 v[8:9], v[10:11], 0, v[8:9]
	s_lshl_b64 s[6:7], s[34:35], 2
	v_mov_b32_e32 v1, s7
	v_subrev_co_u32_e64 v8, s[6:7], s6, v8
	s_nop 1
	v_subb_co_u32_e64 v9, s[6:7], v9, v1, s[6:7]
	v_lshl_add_u64 v[8:9], v[8:9], 0, 4
	v_cndmask_b32_e32 v3, v9, v3, vcc
	v_cndmask_b32_e32 v2, v8, v2, vcc
.LBB151_22:
	v_lshlrev_b32_e32 v1, 2, v12
	v_lshlrev_b32_e32 v13, 2, v0
	v_lshl_or_b32 v8, v0, 7, v13
	v_cmp_lt_u32_e64 s[8:9], v1, v0
	s_waitcnt lgkmcnt(0)
	s_barrier
	s_and_saveexec_b64 s[6:7], s[8:9]
	s_cbranch_execz .LBB151_24
; %bb.23:
	s_movk_i32 s10, 0x210
	v_mad_u32_u24 v9, v12, s10, v13
	ds_read_b32 v9, v9
	v_lshl_add_u32 v10, v1, 2, v8
	s_waitcnt lgkmcnt(0)
	ds_write_b32 v10, v9
.LBB151_24:
	s_or_b64 exec, exec, s[6:7]
	v_or_b32_e32 v20, 1, v1
	v_cmp_lt_u32_e64 s[10:11], v20, v0
	s_and_saveexec_b64 s[6:7], s[10:11]
	s_cbranch_execz .LBB151_26
; %bb.25:
	s_movk_i32 s12, 0x84
	v_mad_u32_u24 v9, v20, s12, v13
	ds_read_b32 v9, v9
	v_lshl_add_u32 v10, v1, 2, v8
	s_waitcnt lgkmcnt(0)
	ds_write_b32 v10, v9 offset:4
.LBB151_26:
	s_or_b64 exec, exec, s[6:7]
	v_or_b32_e32 v9, 2, v1
	v_cmp_lt_u32_e64 s[12:13], v9, v0
	s_and_saveexec_b64 s[6:7], s[12:13]
	s_cbranch_execz .LBB151_28
; %bb.27:
	s_movk_i32 s14, 0x84
	v_mad_u32_u24 v9, v9, s14, v13
	ds_read_b32 v9, v9
	v_lshl_add_u32 v10, v1, 2, v8
	s_waitcnt lgkmcnt(0)
	ds_write_b32 v10, v9 offset:8
.LBB151_28:
	s_or_b64 exec, exec, s[6:7]
	v_or_b32_e32 v10, 3, v1
	v_cmp_lt_u32_e64 s[14:15], v10, v0
	v_cmp_ge_u32_e32 vcc, v10, v0
                                        ; implicit-def: $vgpr9
	s_and_saveexec_b64 s[6:7], vcc
	s_xor_b64 s[6:7], exec, s[6:7]
; %bb.29:
	v_mul_u32_u24_e32 v9, 0x84, v10
                                        ; implicit-def: $vgpr8
                                        ; implicit-def: $vgpr10
; %bb.30:
	s_andn2_saveexec_b64 s[6:7], s[6:7]
	s_cbranch_execz .LBB151_32
; %bb.31:
	s_movk_i32 s16, 0x84
	v_mad_u32_u24 v9, v10, s16, v13
	ds_read_b32 v11, v9
	v_lshl_add_u32 v8, v1, 2, v8
	v_mul_u32_u24_e32 v9, 0x84, v10
	s_waitcnt lgkmcnt(0)
	ds_write_b32 v8, v11 offset:12
.LBB151_32:
	s_or_b64 exec, exec, s[6:7]
	s_movk_i32 s6, 0x210
	v_mad_u32_u24 v8, v12, s6, v13
	s_movk_i32 s6, 0x84
	v_mad_u32_u24 v10, v20, s6, v13
	s_waitcnt lgkmcnt(0)
	s_barrier
	ds_read2_b32 v[28:29], v10 offset1:33
	v_lshlrev_b32_e32 v19, 2, v1
	ds_read_b32 v10, v8
	ds_read_b128 v[22:25], v19 offset:4544
	v_add_u32_e32 v21, v13, v9
	ds_read_b32 v9, v21
	s_waitcnt lgkmcnt(3)
	v_mov_b32_e32 v11, v28
	v_mov_b32_e32 v28, 0
	s_waitcnt lgkmcnt(1)
	v_pk_mul_f32 v[10:11], v[10:11], v[22:23]
	v_cmp_gt_u32_e64 s[6:7], 32, v14
	v_add_f32_e32 v8, 0, v10
	v_add_f32_e32 v10, v8, v11
	v_mov_b32_e32 v8, v29
	s_waitcnt lgkmcnt(0)
	v_pk_mul_f32 v[8:9], v[8:9], v[24:25]
	s_nop 0
	v_add_f32_e32 v8, v10, v8
	v_add_f32_e32 v8, v8, v9
	v_mul_u32_u24_e32 v9, 33, v0
	v_lshlrev_b32_e32 v15, 2, v9
	v_lshl_add_u32 v18, v12, 2, v15
	s_barrier
	ds_write_b32 v18, v8
	s_waitcnt lgkmcnt(0)
	s_barrier
	s_and_saveexec_b64 s[16:17], s[6:7]
	s_cbranch_execz .LBB151_34
; %bb.33:
	ds_read2_b32 v[8:9], v15 offset1:1
	ds_read2_b32 v[10:11], v15 offset0:2 offset1:3
	ds_read2_b32 v[22:23], v15 offset0:4 offset1:5
	;; [unrolled: 1-line block ×3, first 2 shown]
	s_waitcnt lgkmcnt(3)
	v_add_f32_e32 v8, v8, v9
	s_waitcnt lgkmcnt(2)
	v_add_f32_e32 v8, v8, v10
	v_add_f32_e32 v8, v8, v11
	s_waitcnt lgkmcnt(1)
	v_add_f32_e32 v8, v8, v22
	;; [unrolled: 3-line block ×3, first 2 shown]
	v_add_f32_e32 v28, v8, v25
.LBB151_34:
	s_or_b64 exec, exec, s[16:17]
	s_lshl_b64 s[28:29], s[24:25], 7
	v_lshl_add_u64 v[10:11], v[2:3], 0, s[28:29]
	v_cndmask_b32_e64 v2, 0, 1, s[20:21]
	s_lshl_b64 s[42:43], s[24:25], 5
	s_mov_b64 s[44:45], 0x80
	v_cmp_ne_u32_e64 s[16:17], 1, v2
	s_andn2_b64 vcc, exec, s[20:21]
	s_mov_b64 s[20:21], -1
	s_barrier
	s_cbranch_vccnz .LBB151_36
; %bb.35:
	v_lshl_add_u64 v[2:3], v[10:11], 0, s[42:43]
	v_lshl_add_u64 v[8:9], v[2:3], 0, s[42:43]
	;; [unrolled: 1-line block ×3, first 2 shown]
	flat_load_dword v24, v[10:11] offset:128
	flat_load_dword v25, v[2:3] offset:128
	;; [unrolled: 1-line block ×4, first 2 shown]
	s_movk_i32 s20, 0x84
	v_mad_u32_u24 v2, v12, s20, v13
	s_mov_b64 s[20:21], 0
	s_waitcnt vmcnt(0) lgkmcnt(0)
	ds_write_b32 v2, v24
	ds_write_b32 v2, v25 offset:1056
	ds_write_b32 v2, v29 offset:2112
	;; [unrolled: 1-line block ×3, first 2 shown]
.LBB151_36:
	s_andn2_b64 vcc, exec, s[20:21]
	v_lshl_add_u64 v[2:3], v[10:11], 0, s[44:45]
	s_cbranch_vccnz .LBB151_46
; %bb.37:
	v_lshlrev_b32_e32 v8, 2, v0
	v_sub_co_u32_e32 v10, vcc, v10, v8
	s_ashr_i32 s35, s34, 31
	s_nop 0
	v_subbrev_co_u32_e32 v11, vcc, 0, v11, vcc
	v_or_b32_e32 v9, 32, v0
	v_lshl_add_u64 v[10:11], s[34:35], 2, v[10:11]
	v_lshl_add_u64 v[10:11], v[10:11], 0, -4
	v_cmp_gt_i32_e32 vcc, s34, v9
	s_sub_i32 s31, s34, 32
	v_mov_b32_e32 v22, 0
	v_cndmask_b32_e32 v11, v11, v3, vcc
	v_cndmask_b32_e32 v10, v10, v2, vcc
	v_cmp_gt_i32_e64 s[20:21], s31, v12
	v_mov_b32_e32 v23, 0
	s_and_saveexec_b64 s[44:45], s[20:21]
	s_cbranch_execz .LBB151_39
; %bb.38:
	flat_load_dword v23, v[10:11]
.LBB151_39:
	s_or_b64 exec, exec, s[44:45]
	s_movk_i32 s20, 0x84
	v_mad_u32_u24 v24, v12, s20, v13
	s_waitcnt vmcnt(0) lgkmcnt(0)
	ds_write_b32 v24, v23
	v_add_u32_e32 v23, 8, v12
	v_mul_u32_u24_e32 v9, 0x84, v12
	v_cmp_gt_i32_e64 s[20:21], s31, v23
	s_and_saveexec_b64 s[44:45], s[20:21]
	s_cbranch_execz .LBB151_41
; %bb.40:
	v_lshl_add_u64 v[22:23], v[10:11], 0, s[42:43]
	flat_load_dword v22, v[22:23]
.LBB151_41:
	s_or_b64 exec, exec, s[44:45]
	v_add_u32_e32 v9, v9, v13
	s_waitcnt vmcnt(0) lgkmcnt(0)
	ds_write_b32 v9, v22 offset:1056
	v_add_u32_e32 v22, 16, v12
	v_cmp_gt_i32_e64 s[20:21], s31, v22
	v_mov_b32_e32 v22, 0
	v_mov_b32_e32 v23, 0
	s_and_saveexec_b64 s[44:45], s[20:21]
	s_cbranch_execz .LBB151_43
; %bb.42:
	s_lshl_b64 s[20:21], s[24:25], 6
	v_lshl_add_u64 v[24:25], v[10:11], 0, s[20:21]
	flat_load_dword v23, v[24:25]
.LBB151_43:
	s_or_b64 exec, exec, s[44:45]
	s_waitcnt vmcnt(0) lgkmcnt(0)
	ds_write_b32 v9, v23 offset:2112
	v_add_u32_e32 v23, 24, v12
	v_cmp_gt_i32_e64 s[20:21], s31, v23
	s_and_saveexec_b64 s[44:45], s[20:21]
	s_cbranch_execz .LBB151_45
; %bb.44:
	v_mov_b32_e32 v22, 0x60
	v_mad_u64_u32 v[22:23], s[20:21], s24, v22, v[10:11]
	s_mul_i32 s20, s25, 0x60
	s_nop 0
	v_add_u32_e32 v23, s20, v23
	flat_load_dword v22, v[22:23]
.LBB151_45:
	s_or_b64 exec, exec, s[44:45]
	s_waitcnt vmcnt(0) lgkmcnt(0)
	ds_write_b32 v9, v22 offset:3168
	v_mov_b32_e32 v9, 0
	v_lshl_add_u64 v[8:9], v[10:11], 0, v[8:9]
	s_lshl_b64 s[20:21], s[34:35], 2
	v_mov_b32_e32 v10, s21
	v_subrev_co_u32_e64 v8, s[20:21], s20, v8
	s_nop 1
	v_subb_co_u32_e64 v9, s[20:21], v9, v10, s[20:21]
	s_mov_b64 s[20:21], 0x84
	s_nop 0
	v_lshl_add_u64 v[8:9], v[8:9], 0, s[20:21]
	v_cndmask_b32_e32 v3, v9, v3, vcc
	v_cndmask_b32_e32 v2, v8, v2, vcc
.LBB151_46:
	v_mul_u32_u24_e32 v8, 0x210, v12
	v_add_u32_e32 v19, 0x11c0, v19
	v_mul_u32_u24_e32 v9, 0x84, v20
	v_add_u32_e32 v8, v13, v8
	s_waitcnt lgkmcnt(0)
	s_barrier
	s_and_saveexec_b64 s[20:21], s[8:9]
	s_cbranch_execnz .LBB151_55
; %bb.47:
	s_or_b64 exec, exec, s[20:21]
	v_add_u32_e32 v9, v13, v9
	s_and_saveexec_b64 s[8:9], s[10:11]
	s_cbranch_execnz .LBB151_56
.LBB151_48:
	s_or_b64 exec, exec, s[8:9]
	s_and_saveexec_b64 s[8:9], s[12:13]
	s_cbranch_execnz .LBB151_57
.LBB151_49:
	s_or_b64 exec, exec, s[8:9]
	s_and_saveexec_b64 s[8:9], s[14:15]
	s_cbranch_execz .LBB151_51
.LBB151_50:
	ds_read_b32 v10, v21
	v_lshl_add_u32 v11, v1, 2, v15
	s_waitcnt lgkmcnt(0)
	ds_write_b32 v11, v10 offset:12
.LBB151_51:
	s_or_b64 exec, exec, s[8:9]
	s_waitcnt lgkmcnt(0)
	s_barrier
	ds_read2_b32 v[24:25], v9 offset1:33
	ds_read_b32 v22, v8
	ds_read_b128 v[8:11], v19 offset:128
	ds_read_b32 v21, v21
	v_cmp_eq_u32_e64 s[8:9], 1, v12
	s_waitcnt lgkmcnt(3)
	v_mov_b32_e32 v23, v24
	v_mov_b32_e32 v20, v25
	s_waitcnt lgkmcnt(1)
	v_pk_mul_f32 v[8:9], v[22:23], v[8:9]
	s_waitcnt lgkmcnt(0)
	v_add_f32_e32 v8, 0, v8
	v_add_f32_e32 v22, v8, v9
	v_pk_mul_f32 v[8:9], v[20:21], v[10:11]
	s_barrier
	v_add_f32_e32 v8, v22, v8
	v_add_f32_e32 v8, v8, v9
	ds_write_b32 v18, v8
	s_waitcnt lgkmcnt(0)
	s_barrier
	s_and_saveexec_b64 s[10:11], s[8:9]
	s_cbranch_execz .LBB151_53
; %bb.52:
	ds_read2_b32 v[8:9], v15 offset1:1
	ds_read2_b32 v[10:11], v15 offset0:2 offset1:3
	ds_read2_b32 v[20:21], v15 offset0:4 offset1:5
	;; [unrolled: 1-line block ×3, first 2 shown]
	s_waitcnt lgkmcnt(3)
	v_add_f32_e32 v8, v8, v9
	s_waitcnt lgkmcnt(2)
	v_add_f32_e32 v8, v8, v10
	v_add_f32_e32 v8, v8, v11
	s_waitcnt lgkmcnt(1)
	v_add_f32_e32 v8, v8, v20
	;; [unrolled: 3-line block ×3, first 2 shown]
	v_add_f32_e32 v28, v8, v23
.LBB151_53:
	s_or_b64 exec, exec, s[10:11]
	s_lshl_b64 s[10:11], s[42:43], 2
	v_mov_b32_e32 v9, s11
	v_subrev_co_u32_e64 v8, s[10:11], s10, v2
	s_and_b64 vcc, exec, s[16:17]
	s_nop 0
	v_subb_co_u32_e64 v9, s[10:11], v3, v9, s[10:11]
	s_barrier
	s_cbranch_vccnz .LBB151_58
; %bb.54:
	v_lshl_add_u64 v[2:3], v[8:9], 0, s[42:43]
	v_lshl_add_u64 v[10:11], v[2:3], 0, s[42:43]
	;; [unrolled: 1-line block ×3, first 2 shown]
	flat_load_dword v25, v[8:9]
	flat_load_dword v29, v[2:3]
	;; [unrolled: 1-line block ×4, first 2 shown]
	s_movk_i32 s10, 0x84
	v_mov_b32_e32 v2, 0x420
	v_mov_b32_e32 v3, 0x840
	;; [unrolled: 1-line block ×3, first 2 shown]
	v_mul_u32_u24_e32 v11, 0x84, v12
	v_add_u32_e32 v10, 8, v12
	v_add_u32_e32 v20, 16, v12
	;; [unrolled: 1-line block ×3, first 2 shown]
	v_mad_u32_u24 v32, v12, s10, v13
	v_mad_u32_u24 v21, v12, s10, v2
	;; [unrolled: 1-line block ×4, first 2 shown]
	v_add_u32_e32 v2, v13, v21
	v_add_u32_e32 v3, v13, v23
	v_add_u32_e32 v33, v13, v24
	s_waitcnt vmcnt(0) lgkmcnt(0)
	ds_write_b32 v32, v25
	ds_write_b32 v2, v29
	;; [unrolled: 1-line block ×4, first 2 shown]
	s_cbranch_execz .LBB151_59
	s_branch .LBB151_68
.LBB151_55:
	ds_read_b32 v10, v8
	v_lshl_add_u32 v11, v1, 2, v15
	s_waitcnt lgkmcnt(0)
	ds_write_b32 v11, v10
	s_or_b64 exec, exec, s[20:21]
	v_add_u32_e32 v9, v13, v9
	s_and_saveexec_b64 s[8:9], s[10:11]
	s_cbranch_execz .LBB151_48
.LBB151_56:
	ds_read_b32 v10, v9
	v_lshl_add_u32 v11, v1, 2, v15
	s_waitcnt lgkmcnt(0)
	ds_write_b32 v11, v10 offset:4
	s_or_b64 exec, exec, s[8:9]
	s_and_saveexec_b64 s[8:9], s[12:13]
	s_cbranch_execz .LBB151_49
.LBB151_57:
	ds_read_b32 v10, v9 offset:132
	v_lshl_add_u32 v11, v1, 2, v15
	s_waitcnt lgkmcnt(0)
	ds_write_b32 v11, v10 offset:8
	s_or_b64 exec, exec, s[8:9]
	s_and_saveexec_b64 s[8:9], s[14:15]
	s_cbranch_execnz .LBB151_50
	s_branch .LBB151_51
.LBB151_58:
                                        ; implicit-def: $vgpr11
                                        ; implicit-def: $vgpr10
                                        ; implicit-def: $vgpr21
                                        ; implicit-def: $vgpr20
                                        ; implicit-def: $vgpr23
                                        ; implicit-def: $vgpr22
                                        ; implicit-def: $vgpr24
.LBB151_59:
	v_or_b32_e32 v10, 32, v0
	v_lshlrev_b32_e32 v2, 2, v10
	v_sub_co_u32_e32 v2, vcc, v8, v2
	s_ashr_i32 s35, s34, 31
	s_nop 0
	v_subbrev_co_u32_e32 v3, vcc, 0, v9, vcc
	v_lshl_add_u64 v[2:3], s[34:35], 2, v[2:3]
	v_lshl_add_u64 v[2:3], v[2:3], 0, -4
	v_cmp_gt_i32_e32 vcc, s34, v10
	v_mov_b32_e32 v20, 0
	v_cmp_gt_i32_e64 s[10:11], s34, v12
	v_cndmask_b32_e32 v3, v3, v9, vcc
	v_cndmask_b32_e32 v2, v2, v8, vcc
	v_mov_b32_e32 v10, 0
	s_and_saveexec_b64 s[12:13], s[10:11]
	s_cbranch_execz .LBB151_61
; %bb.60:
	flat_load_dword v10, v[2:3]
.LBB151_61:
	s_or_b64 exec, exec, s[12:13]
	s_movk_i32 s10, 0x84
	v_mad_u32_u24 v21, v12, s10, v13
	s_waitcnt vmcnt(0) lgkmcnt(0)
	ds_write_b32 v21, v10
	v_add_u32_e32 v10, 8, v12
	v_mul_u32_u24_e32 v11, 0x84, v12
	v_cmp_gt_i32_e64 s[10:11], s34, v10
	s_and_saveexec_b64 s[12:13], s[10:11]
	s_cbranch_execz .LBB151_63
; %bb.62:
	v_lshl_add_u64 v[20:21], v[2:3], 0, s[42:43]
	flat_load_dword v20, v[20:21]
.LBB151_63:
	s_or_b64 exec, exec, s[12:13]
	v_add_u32_e32 v21, 0x420, v11
	v_add_u32_e32 v22, v13, v21
	s_waitcnt vmcnt(0) lgkmcnt(0)
	ds_write_b32 v22, v20
	v_add_u32_e32 v20, 16, v12
	v_cmp_gt_i32_e64 s[10:11], s34, v20
	v_mov_b32_e32 v25, 0
	v_mov_b32_e32 v22, 0
	s_and_saveexec_b64 s[12:13], s[10:11]
	s_cbranch_execz .LBB151_65
; %bb.64:
	s_lshl_b64 s[10:11], s[24:25], 6
	v_lshl_add_u64 v[22:23], v[2:3], 0, s[10:11]
	flat_load_dword v22, v[22:23]
.LBB151_65:
	s_or_b64 exec, exec, s[12:13]
	v_add_u32_e32 v23, 0x420, v21
	v_add_u32_e32 v24, v13, v23
	s_waitcnt vmcnt(0) lgkmcnt(0)
	ds_write_b32 v24, v22
	v_add_u32_e32 v22, 24, v12
	v_cmp_gt_i32_e64 s[10:11], s34, v22
	s_and_saveexec_b64 s[12:13], s[10:11]
	s_cbranch_execz .LBB151_67
; %bb.66:
	v_mov_b32_e32 v12, 0x60
	v_mad_u64_u32 v[24:25], s[10:11], s24, v12, v[2:3]
	s_mul_i32 s10, s25, 0x60
	s_nop 0
	v_add_u32_e32 v25, s10, v25
	flat_load_dword v25, v[24:25]
.LBB151_67:
	s_or_b64 exec, exec, s[12:13]
	v_lshlrev_b32_e32 v30, 2, v0
	v_mov_b32_e32 v31, 0
	v_lshl_add_u64 v[2:3], v[2:3], 0, v[30:31]
	s_lshl_b64 s[10:11], s[34:35], 2
	v_mov_b32_e32 v0, s11
	v_subrev_co_u32_e64 v2, s[10:11], s10, v2
	v_add_u32_e32 v24, 0x420, v23
	s_nop 0
	v_subb_co_u32_e64 v3, s[10:11], v3, v0, s[10:11]
	s_mov_b64 s[10:11], 0x84
	s_nop 0
	v_lshl_add_u64 v[2:3], v[2:3], 0, s[10:11]
	v_add_u32_e32 v12, v13, v24
	v_cndmask_b32_e32 v9, v3, v9, vcc
	v_cndmask_b32_e32 v8, v2, v8, vcc
	s_waitcnt vmcnt(0) lgkmcnt(0)
	ds_write_b32 v12, v25
.LBB151_68:
	v_add_u32_e32 v0, v13, v11
	s_waitcnt lgkmcnt(0)
	s_barrier
	v_add_u32_e32 v2, v13, v21
	ds_read_b32 v30, v0
	ds_read_b32 v12, v1 offset:4544
	ds_read_b32 v31, v2
	v_lshlrev_b32_e32 v0, 2, v10
	v_add_u32_e32 v2, v13, v23
	v_lshlrev_b32_e32 v3, 2, v20
	v_add_u32_e32 v10, v13, v24
	v_lshlrev_b32_e32 v11, 2, v22
	ds_read_b32 v13, v0 offset:4544
	ds_read_b32 v20, v2
	ds_read_b32 v22, v3 offset:4544
	ds_read_b32 v21, v10
	ds_read_b32 v23, v11 offset:4544
	v_lshl_add_u32 v29, v1, 2, v15
	ds_read2_b32 v[10:11], v29 offset1:1
	ds_read_b128 v[0:3], v19 offset:128
	s_waitcnt lgkmcnt(6)
	v_pk_mul_f32 v[24:25], v[30:31], v[12:13]
	ds_read2_b32 v[12:13], v29 offset0:2 offset1:3
	v_add_f32_e32 v19, 0, v24
	s_waitcnt lgkmcnt(3)
	v_pk_mul_f32 v[20:21], v[20:21], v[22:23]
	v_add_f32_e32 v19, v19, v25
	v_add_f32_e32 v19, v19, v20
	;; [unrolled: 1-line block ×3, first 2 shown]
	s_waitcnt lgkmcnt(0)
	s_barrier
	ds_write_b32 v18, v19
	s_waitcnt lgkmcnt(0)
	s_barrier
	s_and_saveexec_b64 s[10:11], s[8:9]
	s_cbranch_execz .LBB151_70
; %bb.69:
	ds_read2_b32 v[20:21], v15 offset1:1
	ds_read2_b32 v[22:23], v15 offset0:2 offset1:3
	ds_read2_b32 v[24:25], v15 offset0:4 offset1:5
	;; [unrolled: 1-line block ×3, first 2 shown]
	s_waitcnt lgkmcnt(3)
	v_add_f32_e32 v19, v28, v20
	v_add_f32_e32 v19, v19, v21
	s_waitcnt lgkmcnt(2)
	v_add_f32_e32 v19, v19, v22
	v_add_f32_e32 v19, v19, v23
	;; [unrolled: 3-line block ×4, first 2 shown]
.LBB151_70:
	s_or_b64 exec, exec, s[10:11]
	v_fma_f32 v0, v10, v0, 0
	v_fmac_f32_e32 v0, v11, v1
	v_fmac_f32_e32 v0, v12, v2
	;; [unrolled: 1-line block ×3, first 2 shown]
	s_barrier
	ds_write_b32 v18, v0
	s_waitcnt lgkmcnt(0)
	s_barrier
	s_and_saveexec_b64 s[8:9], s[6:7]
	s_cbranch_execz .LBB151_72
; %bb.71:
	ds_read2_b32 v[0:1], v15 offset1:1
	ds_read2_b32 v[2:3], v15 offset0:2 offset1:3
	ds_read2_b32 v[10:11], v15 offset0:4 offset1:5
	;; [unrolled: 1-line block ×3, first 2 shown]
	s_waitcnt lgkmcnt(3)
	v_add_f32_e32 v0, v28, v0
	v_add_f32_e32 v0, v0, v1
	s_waitcnt lgkmcnt(2)
	v_add_f32_e32 v0, v0, v2
	v_add_f32_e32 v0, v0, v3
	;; [unrolled: 3-line block ×4, first 2 shown]
.LBB151_72:
	s_or_b64 exec, exec, s[8:9]
	s_load_dwordx2 s[0:1], s[0:1], 0x60
	s_mul_hi_u32 s6, s30, s26
	s_mul_i32 s27, s27, s26
	s_add_i32 s6, s6, s27
	s_mul_i32 s8, s30, s26
	s_mul_i32 s6, s6, s3
	s_mul_hi_u32 s7, s8, s3
	s_add_i32 s7, s7, s6
	s_mul_i32 s6, s8, s3
	s_lshl_b64 s[6:7], s[6:7], 2
	s_waitcnt lgkmcnt(0)
	s_add_u32 s3, s0, s6
	s_mul_i32 s0, s30, s2
	s_addc_u32 s7, s1, s7
	s_ashr_i32 s1, s0, 31
	s_lshl_b64 s[0:1], s[0:1], 2
	s_add_u32 s6, s3, s0
	v_cmp_le_i32_e32 vcc, s34, v27
	s_addc_u32 s7, s7, s1
	s_and_b64 vcc, s[40:41], vcc
	s_cmp_lt_i32 s2, 1
	v_lshlrev_b32_e32 v18, 2, v27
	s_barrier
	s_cbranch_scc1 .LBB151_79
; %bb.73:
	s_mul_i32 s0, s22, s37
	s_mul_hi_u32 s1, s22, s36
	s_add_i32 s0, s1, s0
	s_mul_i32 s1, s23, s36
	s_add_i32 s1, s0, s1
	s_mul_i32 s0, s22, s36
	s_lshl_b64 s[0:1], s[0:1], 2
	v_mov_b32_e32 v0, s1
	v_subrev_co_u32_e64 v20, s[0:1], s0, v4
	v_lshlrev_b64 v[2:3], 2, v[6:7]
	s_nop 0
	v_subb_co_u32_e64 v21, s[0:1], v5, v0, s[0:1]
	s_lshl_b64 s[0:1], s[38:39], 2
	s_nop 0
	v_mov_b32_e32 v1, s1
	v_subrev_co_u32_e64 v0, s[0:1], s0, v8
	v_lshlrev_b32_e32 v5, 2, v26
	s_nop 0
	v_subb_co_u32_e64 v1, s[0:1], v9, v1, s[0:1]
	s_movk_i32 s0, 0xff80
	s_mov_b32 s1, -1
	v_lshl_add_u64 v[0:1], v[0:1], 0, s[0:1]
	v_sub_co_u32_e64 v0, s[0:1], v0, v2
	s_ashr_i32 s35, s34, 31
	s_nop 0
	v_subb_co_u32_e64 v1, s[0:1], v1, v3, s[0:1]
	v_mad_u64_u32 v[2:3], s[0:1], s24, v5, 0
	v_mov_b32_e32 v4, v3
	v_mad_u64_u32 v[4:5], s[0:1], s25, v5, v[4:5]
	v_mov_b32_e32 v3, v4
	v_lshl_add_u64 v[0:1], v[2:3], 2, v[0:1]
	v_mov_b32_e32 v23, 0
	v_lshl_add_u64 v[2:3], s[34:35], 2, v[0:1]
	v_mov_b32_e32 v19, v23
	v_lshl_add_u64 v[2:3], v[2:3], 0, -4
	v_lshl_add_u64 v[0:1], v[0:1], 0, v[18:19]
	v_cndmask_b32_e32 v24, v0, v2, vcc
	v_lshrrev_b32_e32 v2, 2, v14
	v_and_b32_e32 v10, 15, v27
	s_movk_i32 s3, 0x10c
	v_and_b32_e32 v2, 0x7ffc, v2
	v_mad_u32_u24 v32, v10, s3, v2
	v_and_b32_e32 v2, 48, v27
	v_lshlrev_b32_e32 v2, 2, v2
	v_mad_u32_u24 v33, v10, s3, v2
	v_or_b32_e32 v2, 60, v18
	v_mad_u32_u24 v34, v10, s3, v2
	s_mul_i32 s3, s25, 12
	s_mul_hi_u32 s14, s24, 12
	s_add_i32 s15, s14, s3
	s_mul_i32 s3, s25, 0x48
	s_mul_hi_u32 s20, s24, 0x48
	s_add_i32 s21, s20, s3
	;; [unrolled: 3-line block ×8, first 2 shown]
	s_mul_i32 s3, s25, 0xc4
	s_mul_hi_u32 s33, s24, 0xc4
	v_mov_b32_e32 v0, 0x10c0
	s_add_i32 s43, s33, s3
	s_mul_i32 s3, s25, 0x84
	s_mul_hi_u32 s33, s24, 0x84
	v_cndmask_b32_e32 v25, v1, v3, vcc
	v_lshl_add_u32 v29, v26, 4, v0
	s_movk_i32 s0, 0x430
	v_mul_u32_u24_e32 v0, 0x10c, v10
	v_and_b32_e32 v1, 0x1fff0, v14
	s_lshl_b64 s[8:9], s[24:25], 2
	s_lshl_b64 s[10:11], s[24:25], 3
	;; [unrolled: 1-line block ×4, first 2 shown]
	s_add_i32 s45, s33, s3
	s_mul_i32 s3, s25, 0x44
	s_mul_hi_u32 s25, s24, 0x44
	v_add_u32_e32 v19, 0x10c0, v18
	v_add_u32_e32 v30, 0x11c0, v18
	v_mad_u32_u24 v31, v26, s0, v18
	v_cmp_gt_u32_e64 s[0:1], 64, v14
	s_mul_i32 s14, s24, 12
	s_mul_i32 s20, s24, 0x48
	;; [unrolled: 1-line block ×10, first 2 shown]
	s_add_i32 s25, s25, s3
	s_mulk_i32 s24, 0x44
	s_mov_b32 s3, 0
	v_add_u32_e32 v35, v0, v1
	s_branch .LBB151_75
.LBB151_74:                             ;   in Loop: Header=BB151_75 Depth=1
	s_or_b64 exec, exec, s[46:47]
	v_fmac_f32_e32 v28, v39, v0
	v_fmac_f32_e32 v28, v38, v1
	;; [unrolled: 1-line block ×15, first 2 shown]
	s_add_i32 s3, s3, 64
	s_add_i32 s2, s2, -1
	v_fmac_f32_e32 v28, v48, v15
	s_cmp_eq_u32 s2, 0
	v_lshl_add_u64 v[24:25], v[24:25], 0, s[12:13]
	s_barrier
	s_cbranch_scc1 .LBB151_79
.LBB151_75:                             ; =>This Inner Loop Header: Depth=1
	s_and_saveexec_b64 s[46:47], s[18:19]
	s_cbranch_execz .LBB151_77
; %bb.76:                               ;   in Loop: Header=BB151_75 Depth=1
	s_mul_i32 s33, s23, s3
	s_mul_hi_u32 s48, s22, s3
	s_add_i32 s49, s48, s33
	s_mul_i32 s48, s22, s3
	v_lshl_add_u64 v[0:1], s[48:49], 2, v[20:21]
	flat_load_dword v0, v[0:1]
	s_waitcnt vmcnt(0) lgkmcnt(0)
	ds_write_b32 v19, v0
.LBB151_77:                             ;   in Loop: Header=BB151_75 Depth=1
	s_or_b64 exec, exec, s[46:47]
	s_waitcnt lgkmcnt(0)
	s_barrier
	v_lshl_add_u64 v[0:1], v[24:25], 0, s[8:9]
	v_lshl_add_u64 v[2:3], v[24:25], 0, s[10:11]
	;; [unrolled: 1-line block ×3, first 2 shown]
	flat_load_dword v39, v[24:25]
	flat_load_dword v38, v[0:1]
	flat_load_dword v37, v[2:3]
	flat_load_dword v36, v[4:5]
	ds_read_b32 v12, v30
	ds_read_b128 v[0:3], v29
	v_lshl_add_u64 v[4:5], v[24:25], 0, s[16:17]
	v_lshl_add_u64 v[6:7], v[24:25], 0, s[24:25]
	;; [unrolled: 1-line block ×10, first 2 shown]
	s_waitcnt vmcnt(0) lgkmcnt(0)
	v_mul_f32_e32 v13, v39, v12
	v_mul_f32_e32 v14, v38, v12
	;; [unrolled: 1-line block ×4, first 2 shown]
	ds_write2_b32 v31, v13, v14 offset1:67
	ds_write2_b32 v31, v15, v12 offset0:134 offset1:201
	s_waitcnt lgkmcnt(0)
	s_barrier
	ds_read2_b32 v[12:13], v35 offset1:1
	ds_read2_b32 v[14:15], v35 offset0:2 offset1:3
	s_waitcnt lgkmcnt(0)
	s_barrier
	flat_load_dword v43, v[4:5]
	flat_load_dword v42, v[6:7]
	;; [unrolled: 1-line block ×4, first 2 shown]
	ds_read_b32 v22, v30
	ds_read_b128 v[4:7], v29 offset:64
	v_lshl_add_u64 v[8:9], v[24:25], 0, s[28:29]
	v_lshl_add_u64 v[10:11], v[24:25], 0, s[44:45]
	v_add_f32_e32 v12, 0, v12
	v_add_f32_e32 v12, v12, v13
	;; [unrolled: 1-line block ×3, first 2 shown]
	s_waitcnt vmcnt(0) lgkmcnt(0)
	v_mul_f32_e32 v44, v43, v22
	v_mul_f32_e32 v45, v42, v22
	;; [unrolled: 1-line block ×4, first 2 shown]
	ds_write2_b32 v31, v44, v45 offset1:67
	ds_write2_b32 v31, v46, v22 offset0:134 offset1:201
	s_waitcnt lgkmcnt(0)
	s_barrier
	ds_read2_b32 v[52:53], v35 offset1:1
	ds_read2_b32 v[54:55], v35 offset0:2 offset1:3
	s_waitcnt lgkmcnt(0)
	s_barrier
	flat_load_dword v47, v[8:9]
	flat_load_dword v46, v[10:11]
	;; [unrolled: 1-line block ×4, first 2 shown]
	ds_read_b32 v22, v30
	ds_read_b128 v[8:11], v29 offset:128
	s_waitcnt vmcnt(0) lgkmcnt(0)
	v_mul_f32_e32 v48, v47, v22
	v_mul_f32_e32 v49, v46, v22
	;; [unrolled: 1-line block ×4, first 2 shown]
	ds_write2_b32 v31, v48, v49 offset1:67
	ds_write2_b32 v31, v50, v22 offset0:134 offset1:201
	s_waitcnt lgkmcnt(0)
	s_barrier
	ds_read2_b32 v[64:65], v35 offset1:1
	ds_read2_b32 v[66:67], v35 offset0:2 offset1:3
	s_waitcnt lgkmcnt(0)
	s_barrier
	flat_load_dword v51, v[56:57]
	flat_load_dword v50, v[58:59]
	;; [unrolled: 1-line block ×4, first 2 shown]
	v_add_f32_e32 v22, v12, v15
	v_add_f32_e32 v12, 0, v52
	;; [unrolled: 1-line block ×5, first 2 shown]
	ds_read_b32 v52, v30
	ds_read_b128 v[12:15], v29 offset:192
	v_add_f32_e32 v53, 0, v64
	v_add_f32_e32 v53, v53, v65
	;; [unrolled: 1-line block ×4, first 2 shown]
	s_waitcnt vmcnt(0) lgkmcnt(0)
	v_mul_f32_e32 v53, v51, v52
	v_mul_f32_e32 v54, v50, v52
	;; [unrolled: 1-line block ×4, first 2 shown]
	ds_write2_b32 v31, v53, v54 offset1:67
	ds_write2_b32 v31, v55, v52 offset0:134 offset1:201
	s_waitcnt lgkmcnt(0)
	s_barrier
	ds_read2_b32 v[52:53], v35 offset1:1
	ds_read2_b32 v[54:55], v35 offset0:2 offset1:3
	s_waitcnt lgkmcnt(0)
	s_barrier
	ds_write2_b32 v32, v22, v56 offset1:16
	v_add_f32_e32 v22, 0, v52
	v_add_f32_e32 v22, v22, v53
	;; [unrolled: 1-line block ×4, first 2 shown]
	ds_write2_b32 v32, v57, v22 offset0:32 offset1:48
	s_waitcnt lgkmcnt(0)
	s_barrier
	s_and_saveexec_b64 s[46:47], s[0:1]
	s_cbranch_execz .LBB151_74
; %bb.78:                               ;   in Loop: Header=BB151_75 Depth=1
	ds_read2_b32 v[52:53], v33 offset1:1
	ds_read2_b32 v[54:55], v33 offset0:2 offset1:3
	ds_read2_b32 v[56:57], v33 offset0:4 offset1:5
	;; [unrolled: 1-line block ×4, first 2 shown]
	s_waitcnt lgkmcnt(4)
	v_add_f32_e32 v22, v52, v53
	s_waitcnt lgkmcnt(3)
	v_add_f32_e32 v22, v22, v54
	v_add_f32_e32 v22, v22, v55
	s_waitcnt lgkmcnt(2)
	v_add_f32_e32 v22, v22, v56
	;; [unrolled: 3-line block ×3, first 2 shown]
	v_add_f32_e32 v22, v22, v59
	ds_read2_b32 v[52:53], v33 offset0:10 offset1:11
	ds_read2_b32 v[54:55], v33 offset0:12 offset1:13
	ds_read_b32 v56, v33 offset:56
	s_waitcnt lgkmcnt(3)
	v_add_f32_e32 v22, v22, v60
	v_add_f32_e32 v22, v22, v61
	s_waitcnt lgkmcnt(2)
	v_add_f32_e32 v22, v22, v52
	ds_read_b32 v52, v34
	v_add_f32_e32 v22, v22, v53
	s_waitcnt lgkmcnt(2)
	v_add_f32_e32 v22, v22, v54
	v_add_f32_e32 v22, v22, v55
	s_waitcnt lgkmcnt(1)
	v_add_f32_e32 v22, v22, v56
	s_waitcnt lgkmcnt(0)
	v_add_f32_e32 v54, v22, v52
	v_add_u32_e32 v22, s3, v27
	v_lshl_add_u64 v[52:53], v[22:23], 2, s[6:7]
	global_store_dword v[52:53], v54, off
	s_branch .LBB151_74
.LBB151_79:
	s_movk_i32 s0, 0x10c
	v_mad_u32_u24 v0, v26, s0, v18
	s_nor_b64 s[0:1], s[4:5], vcc
	ds_write_b32 v0, v28
	s_waitcnt lgkmcnt(0)
	s_barrier
	s_and_saveexec_b64 s[2:3], s[0:1]
	s_cbranch_execz .LBB151_4
; %bb.80:
	ds_read2_b32 v[0:1], v18 offset1:67
	ds_read2_b32 v[2:3], v18 offset0:134 offset1:201
	s_waitcnt lgkmcnt(1)
	v_add_f32_e32 v0, v0, v1
	s_waitcnt lgkmcnt(0)
	v_add_f32_e32 v0, v0, v2
	v_add_f32_e32 v2, v0, v3
	v_lshl_add_u64 v[0:1], v[16:17], 2, s[6:7]
	global_store_dword v[0:1], v2, off
	s_endpgm
	.section	.rodata,"a",@progbits
	.p2align	6, 0x0
	.amdhsa_kernel _ZL26rocblas_hemvn_kernel_lowerILb0ELi64ELi4ELi33ELi32ELi16ElfPKPKfPfEviT6_lT7_lT5_lS6_lS7_lS5_lT8_i
		.amdhsa_group_segment_fixed_size 4800
		.amdhsa_private_segment_fixed_size 0
		.amdhsa_kernarg_size 368
		.amdhsa_user_sgpr_count 2
		.amdhsa_user_sgpr_dispatch_ptr 0
		.amdhsa_user_sgpr_queue_ptr 0
		.amdhsa_user_sgpr_kernarg_segment_ptr 1
		.amdhsa_user_sgpr_dispatch_id 0
		.amdhsa_user_sgpr_kernarg_preload_length 0
		.amdhsa_user_sgpr_kernarg_preload_offset 0
		.amdhsa_user_sgpr_private_segment_size 0
		.amdhsa_uses_dynamic_stack 0
		.amdhsa_enable_private_segment 0
		.amdhsa_system_sgpr_workgroup_id_x 1
		.amdhsa_system_sgpr_workgroup_id_y 0
		.amdhsa_system_sgpr_workgroup_id_z 1
		.amdhsa_system_sgpr_workgroup_info 0
		.amdhsa_system_vgpr_workitem_id 1
		.amdhsa_next_free_vgpr 68
		.amdhsa_next_free_sgpr 50
		.amdhsa_accum_offset 68
		.amdhsa_reserve_vcc 1
		.amdhsa_float_round_mode_32 0
		.amdhsa_float_round_mode_16_64 0
		.amdhsa_float_denorm_mode_32 3
		.amdhsa_float_denorm_mode_16_64 3
		.amdhsa_dx10_clamp 1
		.amdhsa_ieee_mode 1
		.amdhsa_fp16_overflow 0
		.amdhsa_tg_split 0
		.amdhsa_exception_fp_ieee_invalid_op 0
		.amdhsa_exception_fp_denorm_src 0
		.amdhsa_exception_fp_ieee_div_zero 0
		.amdhsa_exception_fp_ieee_overflow 0
		.amdhsa_exception_fp_ieee_underflow 0
		.amdhsa_exception_fp_ieee_inexact 0
		.amdhsa_exception_int_div_zero 0
	.end_amdhsa_kernel
	.section	.text._ZL26rocblas_hemvn_kernel_lowerILb0ELi64ELi4ELi33ELi32ELi16ElfPKPKfPfEviT6_lT7_lT5_lS6_lS7_lS5_lT8_i,"axG",@progbits,_ZL26rocblas_hemvn_kernel_lowerILb0ELi64ELi4ELi33ELi32ELi16ElfPKPKfPfEviT6_lT7_lT5_lS6_lS7_lS5_lT8_i,comdat
.Lfunc_end151:
	.size	_ZL26rocblas_hemvn_kernel_lowerILb0ELi64ELi4ELi33ELi32ELi16ElfPKPKfPfEviT6_lT7_lT5_lS6_lS7_lS5_lT8_i, .Lfunc_end151-_ZL26rocblas_hemvn_kernel_lowerILb0ELi64ELi4ELi33ELi32ELi16ElfPKPKfPfEviT6_lT7_lT5_lS6_lS7_lS5_lT8_i
                                        ; -- End function
	.set _ZL26rocblas_hemvn_kernel_lowerILb0ELi64ELi4ELi33ELi32ELi16ElfPKPKfPfEviT6_lT7_lT5_lS6_lS7_lS5_lT8_i.num_vgpr, 68
	.set _ZL26rocblas_hemvn_kernel_lowerILb0ELi64ELi4ELi33ELi32ELi16ElfPKPKfPfEviT6_lT7_lT5_lS6_lS7_lS5_lT8_i.num_agpr, 0
	.set _ZL26rocblas_hemvn_kernel_lowerILb0ELi64ELi4ELi33ELi32ELi16ElfPKPKfPfEviT6_lT7_lT5_lS6_lS7_lS5_lT8_i.numbered_sgpr, 50
	.set _ZL26rocblas_hemvn_kernel_lowerILb0ELi64ELi4ELi33ELi32ELi16ElfPKPKfPfEviT6_lT7_lT5_lS6_lS7_lS5_lT8_i.num_named_barrier, 0
	.set _ZL26rocblas_hemvn_kernel_lowerILb0ELi64ELi4ELi33ELi32ELi16ElfPKPKfPfEviT6_lT7_lT5_lS6_lS7_lS5_lT8_i.private_seg_size, 0
	.set _ZL26rocblas_hemvn_kernel_lowerILb0ELi64ELi4ELi33ELi32ELi16ElfPKPKfPfEviT6_lT7_lT5_lS6_lS7_lS5_lT8_i.uses_vcc, 1
	.set _ZL26rocblas_hemvn_kernel_lowerILb0ELi64ELi4ELi33ELi32ELi16ElfPKPKfPfEviT6_lT7_lT5_lS6_lS7_lS5_lT8_i.uses_flat_scratch, 0
	.set _ZL26rocblas_hemvn_kernel_lowerILb0ELi64ELi4ELi33ELi32ELi16ElfPKPKfPfEviT6_lT7_lT5_lS6_lS7_lS5_lT8_i.has_dyn_sized_stack, 0
	.set _ZL26rocblas_hemvn_kernel_lowerILb0ELi64ELi4ELi33ELi32ELi16ElfPKPKfPfEviT6_lT7_lT5_lS6_lS7_lS5_lT8_i.has_recursion, 0
	.set _ZL26rocblas_hemvn_kernel_lowerILb0ELi64ELi4ELi33ELi32ELi16ElfPKPKfPfEviT6_lT7_lT5_lS6_lS7_lS5_lT8_i.has_indirect_call, 0
	.section	.AMDGPU.csdata,"",@progbits
; Kernel info:
; codeLenInByte = 5592
; TotalNumSgprs: 56
; NumVgprs: 68
; NumAgprs: 0
; TotalNumVgprs: 68
; ScratchSize: 0
; MemoryBound: 0
; FloatMode: 240
; IeeeMode: 1
; LDSByteSize: 4800 bytes/workgroup (compile time only)
; SGPRBlocks: 6
; VGPRBlocks: 8
; NumSGPRsForWavesPerEU: 56
; NumVGPRsForWavesPerEU: 68
; AccumOffset: 68
; Occupancy: 7
; WaveLimiterHint : 1
; COMPUTE_PGM_RSRC2:SCRATCH_EN: 0
; COMPUTE_PGM_RSRC2:USER_SGPR: 2
; COMPUTE_PGM_RSRC2:TRAP_HANDLER: 0
; COMPUTE_PGM_RSRC2:TGID_X_EN: 1
; COMPUTE_PGM_RSRC2:TGID_Y_EN: 0
; COMPUTE_PGM_RSRC2:TGID_Z_EN: 1
; COMPUTE_PGM_RSRC2:TIDIG_COMP_CNT: 1
; COMPUTE_PGM_RSRC3_GFX90A:ACCUM_OFFSET: 16
; COMPUTE_PGM_RSRC3_GFX90A:TG_SPLIT: 0
	.section	.text._ZL36rocblas_hemvn_kernel_lower_block_sumILi64ElfPKPffEviT1_lS3_lT2_lT0_lPT3_i,"axG",@progbits,_ZL36rocblas_hemvn_kernel_lower_block_sumILi64ElfPKPffEviT1_lS3_lT2_lT0_lPT3_i,comdat
	.globl	_ZL36rocblas_hemvn_kernel_lower_block_sumILi64ElfPKPffEviT1_lS3_lT2_lT0_lPT3_i ; -- Begin function _ZL36rocblas_hemvn_kernel_lower_block_sumILi64ElfPKPffEviT1_lS3_lT2_lT0_lPT3_i
	.p2align	8
	.type	_ZL36rocblas_hemvn_kernel_lower_block_sumILi64ElfPKPffEviT1_lS3_lT2_lT0_lPT3_i,@function
_ZL36rocblas_hemvn_kernel_lower_block_sumILi64ElfPKPffEviT1_lS3_lT2_lT0_lPT3_i: ; @_ZL36rocblas_hemvn_kernel_lower_block_sumILi64ElfPKPffEviT1_lS3_lT2_lT0_lPT3_i
; %bb.0:
	s_mov_b32 s14, s3
	s_load_dwordx2 s[10:11], s[0:1], 0x0
	s_load_dword s3, s[0:1], 0x10
	s_mov_b32 s15, 0
	s_waitcnt lgkmcnt(0)
	v_cmp_eq_f32_e64 s[4:5], s11, 0
	v_cmp_eq_f32_e64 s[6:7], s3, 1.0
	s_and_b64 s[4:5], s[4:5], s[6:7]
	s_and_b64 vcc, exec, s[4:5]
	s_cbranch_vccnz .LBB152_19
; %bb.1:
	s_load_dwordx2 s[8:9], s[0:1], 0x20
	s_load_dwordx4 s[4:7], s[0:1], 0x28
	s_lshl_b64 s[12:13], s[14:15], 3
	v_lshl_or_b32 v3, s2, 6, v0
	s_waitcnt lgkmcnt(0)
	s_add_u32 s8, s8, s12
	s_addc_u32 s9, s9, s13
	s_load_dwordx2 s[8:9], s[8:9], 0x0
	s_lshl_b64 s[4:5], s[4:5], 2
	v_cmp_neq_f32_e64 s[12:13], s11, 0
	s_waitcnt lgkmcnt(0)
	s_add_u32 s8, s8, s4
	s_addc_u32 s9, s9, s5
	s_and_b64 vcc, exec, s[12:13]
	v_cmp_gt_i32_e64 s[4:5], s10, v3
	s_cbranch_vccnz .LBB152_6
; %bb.2:
	s_mov_b64 s[16:17], 0
	s_mov_b64 s[12:13], 0
                                        ; implicit-def: $vgpr4
                                        ; implicit-def: $vgpr0_vgpr1
	s_and_saveexec_b64 s[18:19], s[4:5]
	s_cbranch_execz .LBB152_7
; %bb.3:
	v_ashrrev_i32_e32 v0, 31, v3
	v_cmp_eq_f32_e64 s[4:5], s3, 0
	v_mul_lo_u32 v2, s7, v3
	v_mul_lo_u32 v5, s6, v0
	v_mad_u64_u32 v[0:1], s[12:13], s6, v3, 0
	v_mov_b32_e32 v4, 0
	v_add3_u32 v1, v1, v5, v2
	s_and_b64 vcc, exec, s[4:5]
	s_cbranch_vccnz .LBB152_5
; %bb.4:
	v_lshl_add_u64 v[4:5], v[0:1], 2, s[8:9]
	flat_load_dword v2, v[4:5]
	s_waitcnt vmcnt(0) lgkmcnt(0)
	v_mul_f32_e32 v4, s3, v2
.LBB152_5:
	s_mov_b64 s[12:13], exec
	s_or_b64 exec, exec, s[18:19]
	s_and_b64 vcc, exec, s[16:17]
	s_cbranch_vccnz .LBB152_8
	s_branch .LBB152_17
.LBB152_6:
	s_mov_b64 s[12:13], 0
                                        ; implicit-def: $vgpr4
                                        ; implicit-def: $vgpr0_vgpr1
	s_cbranch_execnz .LBB152_8
	s_branch .LBB152_17
.LBB152_7:
	s_or_b64 exec, exec, s[18:19]
	s_and_b64 vcc, exec, s[16:17]
	s_cbranch_vccz .LBB152_17
.LBB152_8:
	v_cmp_gt_i32_e32 vcc, s10, v3
                                        ; implicit-def: $vgpr4
                                        ; implicit-def: $vgpr0_vgpr1
	s_and_saveexec_b64 s[4:5], vcc
	s_cbranch_execz .LBB152_16
; %bb.9:
	s_load_dword s15, s[0:1], 0x50
	v_mov_b32_e32 v2, 0
	s_waitcnt lgkmcnt(0)
	s_cmp_ge_i32 s2, s15
	s_cbranch_scc1 .LBB152_12
; %bb.10:
	s_ashr_i32 s17, s10, 31
	s_mul_i32 s18, s10, s2
	s_load_dwordx2 s[0:1], s[0:1], 0x40
	v_add_u32_e32 v0, s18, v3
	s_mul_hi_u32 s18, s10, s14
	s_mul_i32 s19, s17, s14
	s_mov_b32 s16, s10
	s_add_i32 s18, s18, s19
	s_mul_i32 s10, s10, s14
	s_mul_i32 s18, s18, s15
	s_mul_hi_u32 s14, s10, s15
	s_add_i32 s19, s14, s18
	s_mul_i32 s18, s10, s15
	s_lshl_b64 s[18:19], s[18:19], 2
	s_waitcnt lgkmcnt(0)
	s_add_u32 s0, s0, s18
	v_ashrrev_i32_e32 v1, 31, v0
	s_addc_u32 s1, s1, s19
	v_lshl_add_u64 v[0:1], v[0:1], 2, s[0:1]
	s_lshl_b64 s[0:1], s[16:17], 2
	v_mov_b32_e32 v2, 0
.LBB152_11:                             ; =>This Inner Loop Header: Depth=1
	global_load_dword v4, v[0:1], off
	s_add_i32 s2, s2, 1
	v_lshl_add_u64 v[0:1], v[0:1], 0, s[0:1]
	s_cmp_ge_i32 s2, s15
	s_waitcnt vmcnt(0)
	v_add_f32_e32 v2, v2, v4
	s_cbranch_scc0 .LBB152_11
.LBB152_12:
	v_cmp_eq_f32_e64 s[0:1], s3, 0
	v_ashrrev_i32_e32 v0, 31, v3
	s_and_b64 vcc, exec, s[0:1]
	v_mul_lo_u32 v5, s7, v3
	v_mul_lo_u32 v6, s6, v0
	s_cbranch_vccz .LBB152_20
; %bb.13:
	v_mad_u64_u32 v[0:1], s[0:1], s6, v3, 0
	v_mul_f32_e32 v4, s11, v2
	v_add3_u32 v1, v1, v6, v5
	s_cbranch_execnz .LBB152_15
.LBB152_14:
	v_mad_u64_u32 v[0:1], s[0:1], s6, v3, 0
	v_add3_u32 v1, v1, v6, v5
	v_lshl_add_u64 v[4:5], v[0:1], 2, s[8:9]
	flat_load_dword v3, v[4:5]
	s_mov_b32 s2, s11
	s_waitcnt vmcnt(0) lgkmcnt(0)
	v_pk_mul_f32 v[2:3], s[2:3], v[2:3]
	s_nop 0
	v_add_f32_e32 v4, v2, v3
.LBB152_15:
	s_or_b64 s[12:13], s[12:13], exec
.LBB152_16:
	s_or_b64 exec, exec, s[4:5]
.LBB152_17:
	s_and_saveexec_b64 s[0:1], s[12:13]
	s_cbranch_execz .LBB152_19
; %bb.18:
	v_lshl_add_u64 v[0:1], v[0:1], 2, s[8:9]
	flat_store_dword v[0:1], v4
.LBB152_19:
	s_endpgm
.LBB152_20:
                                        ; implicit-def: $vgpr4
                                        ; implicit-def: $vgpr0_vgpr1
	s_branch .LBB152_14
	.section	.rodata,"a",@progbits
	.p2align	6, 0x0
	.amdhsa_kernel _ZL36rocblas_hemvn_kernel_lower_block_sumILi64ElfPKPffEviT1_lS3_lT2_lT0_lPT3_i
		.amdhsa_group_segment_fixed_size 0
		.amdhsa_private_segment_fixed_size 0
		.amdhsa_kernarg_size 336
		.amdhsa_user_sgpr_count 2
		.amdhsa_user_sgpr_dispatch_ptr 0
		.amdhsa_user_sgpr_queue_ptr 0
		.amdhsa_user_sgpr_kernarg_segment_ptr 1
		.amdhsa_user_sgpr_dispatch_id 0
		.amdhsa_user_sgpr_kernarg_preload_length 0
		.amdhsa_user_sgpr_kernarg_preload_offset 0
		.amdhsa_user_sgpr_private_segment_size 0
		.amdhsa_uses_dynamic_stack 0
		.amdhsa_enable_private_segment 0
		.amdhsa_system_sgpr_workgroup_id_x 1
		.amdhsa_system_sgpr_workgroup_id_y 0
		.amdhsa_system_sgpr_workgroup_id_z 1
		.amdhsa_system_sgpr_workgroup_info 0
		.amdhsa_system_vgpr_workitem_id 0
		.amdhsa_next_free_vgpr 7
		.amdhsa_next_free_sgpr 20
		.amdhsa_accum_offset 8
		.amdhsa_reserve_vcc 1
		.amdhsa_float_round_mode_32 0
		.amdhsa_float_round_mode_16_64 0
		.amdhsa_float_denorm_mode_32 3
		.amdhsa_float_denorm_mode_16_64 3
		.amdhsa_dx10_clamp 1
		.amdhsa_ieee_mode 1
		.amdhsa_fp16_overflow 0
		.amdhsa_tg_split 0
		.amdhsa_exception_fp_ieee_invalid_op 0
		.amdhsa_exception_fp_denorm_src 0
		.amdhsa_exception_fp_ieee_div_zero 0
		.amdhsa_exception_fp_ieee_overflow 0
		.amdhsa_exception_fp_ieee_underflow 0
		.amdhsa_exception_fp_ieee_inexact 0
		.amdhsa_exception_int_div_zero 0
	.end_amdhsa_kernel
	.section	.text._ZL36rocblas_hemvn_kernel_lower_block_sumILi64ElfPKPffEviT1_lS3_lT2_lT0_lPT3_i,"axG",@progbits,_ZL36rocblas_hemvn_kernel_lower_block_sumILi64ElfPKPffEviT1_lS3_lT2_lT0_lPT3_i,comdat
.Lfunc_end152:
	.size	_ZL36rocblas_hemvn_kernel_lower_block_sumILi64ElfPKPffEviT1_lS3_lT2_lT0_lPT3_i, .Lfunc_end152-_ZL36rocblas_hemvn_kernel_lower_block_sumILi64ElfPKPffEviT1_lS3_lT2_lT0_lPT3_i
                                        ; -- End function
	.set _ZL36rocblas_hemvn_kernel_lower_block_sumILi64ElfPKPffEviT1_lS3_lT2_lT0_lPT3_i.num_vgpr, 7
	.set _ZL36rocblas_hemvn_kernel_lower_block_sumILi64ElfPKPffEviT1_lS3_lT2_lT0_lPT3_i.num_agpr, 0
	.set _ZL36rocblas_hemvn_kernel_lower_block_sumILi64ElfPKPffEviT1_lS3_lT2_lT0_lPT3_i.numbered_sgpr, 20
	.set _ZL36rocblas_hemvn_kernel_lower_block_sumILi64ElfPKPffEviT1_lS3_lT2_lT0_lPT3_i.num_named_barrier, 0
	.set _ZL36rocblas_hemvn_kernel_lower_block_sumILi64ElfPKPffEviT1_lS3_lT2_lT0_lPT3_i.private_seg_size, 0
	.set _ZL36rocblas_hemvn_kernel_lower_block_sumILi64ElfPKPffEviT1_lS3_lT2_lT0_lPT3_i.uses_vcc, 1
	.set _ZL36rocblas_hemvn_kernel_lower_block_sumILi64ElfPKPffEviT1_lS3_lT2_lT0_lPT3_i.uses_flat_scratch, 0
	.set _ZL36rocblas_hemvn_kernel_lower_block_sumILi64ElfPKPffEviT1_lS3_lT2_lT0_lPT3_i.has_dyn_sized_stack, 0
	.set _ZL36rocblas_hemvn_kernel_lower_block_sumILi64ElfPKPffEviT1_lS3_lT2_lT0_lPT3_i.has_recursion, 0
	.set _ZL36rocblas_hemvn_kernel_lower_block_sumILi64ElfPKPffEviT1_lS3_lT2_lT0_lPT3_i.has_indirect_call, 0
	.section	.AMDGPU.csdata,"",@progbits
; Kernel info:
; codeLenInByte = 604
; TotalNumSgprs: 26
; NumVgprs: 7
; NumAgprs: 0
; TotalNumVgprs: 7
; ScratchSize: 0
; MemoryBound: 0
; FloatMode: 240
; IeeeMode: 1
; LDSByteSize: 0 bytes/workgroup (compile time only)
; SGPRBlocks: 3
; VGPRBlocks: 0
; NumSGPRsForWavesPerEU: 26
; NumVGPRsForWavesPerEU: 7
; AccumOffset: 8
; Occupancy: 8
; WaveLimiterHint : 1
; COMPUTE_PGM_RSRC2:SCRATCH_EN: 0
; COMPUTE_PGM_RSRC2:USER_SGPR: 2
; COMPUTE_PGM_RSRC2:TRAP_HANDLER: 0
; COMPUTE_PGM_RSRC2:TGID_X_EN: 1
; COMPUTE_PGM_RSRC2:TGID_Y_EN: 0
; COMPUTE_PGM_RSRC2:TGID_Z_EN: 1
; COMPUTE_PGM_RSRC2:TIDIG_COMP_CNT: 0
; COMPUTE_PGM_RSRC3_GFX90A:ACCUM_OFFSET: 1
; COMPUTE_PGM_RSRC3_GFX90A:TG_SPLIT: 0
	.section	.text._ZL26rocblas_hemvn_kernel_lowerILb0ELi64ELi4ELi33ELi32ELi16EifPKPKfPfEviT6_lT7_lT5_lS6_lS7_lS5_lT8_i,"axG",@progbits,_ZL26rocblas_hemvn_kernel_lowerILb0ELi64ELi4ELi33ELi32ELi16EifPKPKfPfEviT6_lT7_lT5_lS6_lS7_lS5_lT8_i,comdat
	.globl	_ZL26rocblas_hemvn_kernel_lowerILb0ELi64ELi4ELi33ELi32ELi16EifPKPKfPfEviT6_lT7_lT5_lS6_lS7_lS5_lT8_i ; -- Begin function _ZL26rocblas_hemvn_kernel_lowerILb0ELi64ELi4ELi33ELi32ELi16EifPKPKfPfEviT6_lT7_lT5_lS6_lS7_lS5_lT8_i
	.p2align	8
	.type	_ZL26rocblas_hemvn_kernel_lowerILb0ELi64ELi4ELi33ELi32ELi16EifPKPKfPfEviT6_lT7_lT5_lS6_lS7_lS5_lT8_i,@function
_ZL26rocblas_hemvn_kernel_lowerILb0ELi64ELi4ELi33ELi32ELi16EifPKPKfPfEviT6_lT7_lT5_lS6_lS7_lS5_lT8_i: ; @_ZL26rocblas_hemvn_kernel_lowerILb0ELi64ELi4ELi33ELi32ELi16EifPKPKfPfEviT6_lT7_lT5_lS6_lS7_lS5_lT8_i
; %bb.0:
	s_load_dwordx2 s[4:5], s[0:1], 0x7c
	s_add_u32 s8, s0, 0x70
	s_mov_b32 s24, s3
	s_addc_u32 s9, s1, 0
	s_waitcnt lgkmcnt(0)
	s_and_b32 s3, s5, 0xffff
	s_lshr_b32 s5, s4, 16
	s_and_b32 s4, s4, 0xffff
	s_mul_i32 s4, s5, s4
	s_mul_i32 s4, s4, s3
	s_cmpk_lg_i32 s4, 0x100
	s_cbranch_scc1 .LBB153_4
; %bb.1:
	s_load_dwordx2 s[26:27], s[0:1], 0x0
	s_load_dword s3, s[0:1], 0x50
	s_waitcnt lgkmcnt(0)
	v_cmp_eq_f32_e64 s[4:5], s27, 0
	v_cmp_eq_f32_e64 s[6:7], s3, 1.0
	s_and_b64 s[6:7], s[4:5], s[6:7]
	s_and_b64 vcc, exec, s[6:7]
	s_cbranch_vccnz .LBB153_4
; %bb.2:
	s_and_b64 vcc, exec, s[4:5]
	s_cbranch_vccz .LBB153_5
; %bb.3:
	s_cbranch_execz .LBB153_6
.LBB153_4:
	s_endpgm
.LBB153_5:
.LBB153_6:
	s_load_dwordx4 s[4:7], s[0:1], 0x10
	s_load_dword s27, s[8:9], 0x0
	s_load_dwordx4 s[12:15], s[0:1], 0x30
	s_mov_b32 s25, 0
	s_lshl_b64 s[8:9], s[24:25], 3
	s_waitcnt lgkmcnt(0)
	s_add_u32 s4, s4, s8
	s_addc_u32 s5, s5, s9
	s_add_u32 s8, s12, s8
	s_addc_u32 s9, s13, s9
	s_load_dwordx2 s[10:11], s[8:9], 0x0
	s_load_dword s3, s[0:1], 0x40
	v_and_b32_e32 v18, 0x3ff, v0
	s_load_dwordx2 s[8:9], s[4:5], 0x0
	s_lshl_b64 s[4:5], s[14:15], 2
	s_waitcnt lgkmcnt(0)
	s_add_u32 s4, s10, s4
	s_addc_u32 s5, s11, s5
	s_ashr_i32 s25, s26, 31
	s_lshr_b32 s11, s25, 26
	s_lshl_b32 s30, s2, 6
	s_add_i32 s11, s26, s11
	s_andn2_b32 s11, s11, 63
	v_add_u32_e32 v16, s30, v18
	v_bfe_u32 v17, v0, 10, 10
	s_add_i32 s10, s27, -1
	s_sub_i32 s11, s26, s11
	v_mul_lo_u32 v0, s3, v16
	s_cmp_eq_u32 s2, s10
	v_ashrrev_i32_e32 v1, 31, v0
	s_cselect_b32 s28, s11, 0
	v_lshl_add_u64 v[4:5], v[0:1], 2, s[4:5]
	v_cmp_ne_u32_e64 s[4:5], 0, v17
	v_cmp_eq_u32_e64 s[18:19], 0, v17
	s_and_saveexec_b64 s[10:11], s[18:19]
	s_cbranch_execz .LBB153_10
; %bb.7:
	s_cmp_eq_u32 s28, 0
	s_cselect_b64 s[12:13], -1, 0
	v_cmp_gt_i32_e32 vcc, s28, v18
	s_or_b64 s[14:15], s[12:13], vcc
	v_mov_b32_e32 v0, 0
	s_and_saveexec_b64 s[12:13], s[14:15]
	s_cbranch_execz .LBB153_9
; %bb.8:
	flat_load_dword v0, v[4:5]
.LBB153_9:
	s_or_b64 exec, exec, s[12:13]
	v_lshlrev_b32_e32 v1, 2, v18
	s_waitcnt vmcnt(0) lgkmcnt(0)
	ds_write_b32 v1, v0 offset:4544
.LBB153_10:
	s_or_b64 exec, exec, s[10:11]
	s_load_dword s22, s[0:1], 0x20
	s_lshl_b64 s[6:7], s[6:7], 2
	s_add_u32 s8, s8, s6
	s_addc_u32 s9, s9, s7
	s_ashr_i32 s31, s30, 31
	v_lshl_add_u32 v14, v17, 6, v18
	s_lshl_b64 s[6:7], s[30:31], 2
	v_and_b32_e32 v2, 31, v18
	v_lshrrev_b32_e32 v12, 5, v14
	s_add_u32 s6, s8, s6
	s_waitcnt lgkmcnt(0)
	s_mul_i32 s34, s22, s30
	s_addc_u32 s7, s9, s7
	v_mad_u64_u32 v[6:7], s[8:9], s22, v12, v[2:3]
	s_ashr_i32 s35, s34, 31
	v_ashrrev_i32_e32 v7, 31, v6
	s_cmp_lg_u32 s28, 0
	v_lshl_add_u64 v[0:1], v[6:7], 2, s[6:7]
	s_cselect_b64 s[36:37], -1, 0
	s_cmp_eq_u32 s28, 0
	v_lshl_add_u64 v[8:9], s[34:35], 2, v[0:1]
	s_cselect_b64 s[20:21], -1, 0
	s_mov_b64 s[6:7], -1
	s_and_b64 vcc, exec, s[36:37]
	s_cbranch_vccnz .LBB153_12
; %bb.11:
	s_lshl_b32 s6, s22, 3
	s_ashr_i32 s7, s6, 31
	s_ashr_i32 s23, s22, 31
	v_lshl_add_u64 v[0:1], s[6:7], 2, v[8:9]
	s_lshl_b64 s[6:7], s[22:23], 5
	v_lshl_add_u64 v[10:11], v[0:1], 0, s[6:7]
	v_lshl_add_u64 v[20:21], v[10:11], 0, s[6:7]
	flat_load_dword v3, v[8:9]
	flat_load_dword v13, v[0:1]
	flat_load_dword v15, v[10:11]
	flat_load_dword v19, v[20:21]
	v_mul_u32_u24_e32 v0, 0x84, v12
	v_lshl_add_u32 v0, v2, 2, v0
	s_mov_b64 s[6:7], 0
	s_waitcnt vmcnt(0) lgkmcnt(0)
	ds_write_b32 v0, v3
	ds_write_b32 v0, v13 offset:1056
	ds_write_b32 v0, v15 offset:2112
	;; [unrolled: 1-line block ×3, first 2 shown]
.LBB153_12:
	s_andn2_b64 vcc, exec, s[6:7]
	v_lshlrev_b32_e32 v0, 2, v2
	s_cbranch_vccnz .LBB153_22
; %bb.13:
	v_sub_co_u32_e32 v10, vcc, v8, v0
	s_ashr_i32 s29, s28, 31
	s_nop 0
	v_subbrev_co_u32_e32 v11, vcc, 0, v9, vcc
	v_lshl_add_u64 v[10:11], s[28:29], 2, v[10:11]
	v_lshl_add_u64 v[10:11], v[10:11], 0, -4
	v_cmp_gt_i32_e32 vcc, s28, v2
	v_mov_b32_e32 v3, 0
	v_cmp_gt_i32_e64 s[6:7], s28, v12
	v_cndmask_b32_e32 v11, v11, v9, vcc
	v_cndmask_b32_e32 v10, v10, v8, vcc
	v_mov_b32_e32 v13, 0
	s_and_saveexec_b64 s[8:9], s[6:7]
	s_cbranch_execz .LBB153_15
; %bb.14:
	flat_load_dword v13, v[10:11]
.LBB153_15:
	s_or_b64 exec, exec, s[8:9]
	s_movk_i32 s6, 0x84
	v_mad_u32_u24 v15, v12, s6, v0
	s_waitcnt vmcnt(0) lgkmcnt(0)
	ds_write_b32 v15, v13
	v_add_u32_e32 v13, 8, v12
	v_mul_u32_u24_e32 v1, 0x84, v12
	v_cmp_gt_i32_e64 s[6:7], s28, v13
	s_and_saveexec_b64 s[8:9], s[6:7]
	s_cbranch_execz .LBB153_17
; %bb.16:
	s_lshl_b32 s6, s22, 3
	s_ashr_i32 s7, s6, 31
	v_lshl_add_u64 v[20:21], s[6:7], 2, v[10:11]
	flat_load_dword v3, v[20:21]
.LBB153_17:
	s_or_b64 exec, exec, s[8:9]
	v_add_u32_e32 v1, v1, v0
	s_waitcnt vmcnt(0) lgkmcnt(0)
	ds_write_b32 v1, v3 offset:1056
	v_add_u32_e32 v3, 16, v12
	v_cmp_gt_i32_e64 s[6:7], s28, v3
	v_mov_b32_e32 v3, 0
	v_mov_b32_e32 v13, 0
	s_and_saveexec_b64 s[8:9], s[6:7]
	s_cbranch_execz .LBB153_19
; %bb.18:
	s_lshl_b32 s6, s22, 4
	s_ashr_i32 s7, s6, 31
	v_lshl_add_u64 v[20:21], s[6:7], 2, v[10:11]
	flat_load_dword v13, v[20:21]
.LBB153_19:
	s_or_b64 exec, exec, s[8:9]
	s_waitcnt vmcnt(0) lgkmcnt(0)
	ds_write_b32 v1, v13 offset:2112
	v_add_u32_e32 v13, 24, v12
	v_cmp_gt_i32_e64 s[6:7], s28, v13
	s_and_saveexec_b64 s[8:9], s[6:7]
	s_cbranch_execz .LBB153_21
; %bb.20:
	s_mul_i32 s6, s22, 24
	s_ashr_i32 s7, s6, 31
	v_lshl_add_u64 v[20:21], s[6:7], 2, v[10:11]
	flat_load_dword v3, v[20:21]
.LBB153_21:
	s_or_b64 exec, exec, s[8:9]
	s_waitcnt vmcnt(0) lgkmcnt(0)
	ds_write_b32 v1, v3 offset:3168
	v_mov_b32_e32 v1, 0
	v_lshl_add_u64 v[10:11], v[10:11], 0, v[0:1]
	s_lshl_b64 s[6:7], s[28:29], 2
	v_mov_b32_e32 v1, s7
	v_subrev_co_u32_e64 v10, s[6:7], s6, v10
	s_nop 1
	v_subb_co_u32_e64 v11, s[6:7], v11, v1, s[6:7]
	v_lshl_add_u64 v[10:11], v[10:11], 0, 4
	v_cndmask_b32_e32 v9, v11, v9, vcc
	v_cndmask_b32_e32 v8, v10, v8, vcc
.LBB153_22:
	v_lshlrev_b32_e32 v13, 2, v12
	v_lshl_or_b32 v1, v2, 7, v0
	v_cmp_lt_u32_e64 s[8:9], v13, v2
	s_waitcnt lgkmcnt(0)
	s_barrier
	s_and_saveexec_b64 s[6:7], s[8:9]
	s_cbranch_execz .LBB153_24
; %bb.23:
	s_movk_i32 s10, 0x210
	v_mad_u32_u24 v3, v12, s10, v0
	ds_read_b32 v3, v3
	v_lshl_add_u32 v10, v13, 2, v1
	s_waitcnt lgkmcnt(0)
	ds_write_b32 v10, v3
.LBB153_24:
	s_or_b64 exec, exec, s[6:7]
	v_or_b32_e32 v3, 1, v13
	v_cmp_lt_u32_e64 s[10:11], v3, v2
	s_and_saveexec_b64 s[6:7], s[10:11]
	s_cbranch_execz .LBB153_26
; %bb.25:
	s_movk_i32 s12, 0x84
	v_mad_u32_u24 v10, v3, s12, v0
	ds_read_b32 v10, v10
	v_lshl_add_u32 v11, v13, 2, v1
	s_waitcnt lgkmcnt(0)
	ds_write_b32 v11, v10 offset:4
.LBB153_26:
	s_or_b64 exec, exec, s[6:7]
	v_or_b32_e32 v10, 2, v13
	v_cmp_lt_u32_e64 s[12:13], v10, v2
	s_and_saveexec_b64 s[6:7], s[12:13]
	s_cbranch_execz .LBB153_28
; %bb.27:
	s_movk_i32 s14, 0x84
	v_mad_u32_u24 v10, v10, s14, v0
	ds_read_b32 v10, v10
	v_lshl_add_u32 v11, v13, 2, v1
	s_waitcnt lgkmcnt(0)
	ds_write_b32 v11, v10 offset:8
.LBB153_28:
	s_or_b64 exec, exec, s[6:7]
	v_or_b32_e32 v11, 3, v13
	v_cmp_lt_u32_e64 s[14:15], v11, v2
	v_cmp_ge_u32_e32 vcc, v11, v2
                                        ; implicit-def: $vgpr10
	s_and_saveexec_b64 s[6:7], vcc
	s_xor_b64 s[6:7], exec, s[6:7]
; %bb.29:
	v_mul_u32_u24_e32 v10, 0x84, v11
                                        ; implicit-def: $vgpr1
                                        ; implicit-def: $vgpr11
; %bb.30:
	s_andn2_saveexec_b64 s[6:7], s[6:7]
	s_cbranch_execz .LBB153_32
; %bb.31:
	s_movk_i32 s16, 0x84
	v_mad_u32_u24 v10, v11, s16, v0
	ds_read_b32 v15, v10
	v_lshl_add_u32 v1, v13, 2, v1
	v_mul_u32_u24_e32 v10, 0x84, v11
	s_waitcnt lgkmcnt(0)
	ds_write_b32 v1, v15 offset:12
.LBB153_32:
	s_or_b64 exec, exec, s[6:7]
	s_movk_i32 s6, 0x210
	v_mad_u32_u24 v1, v12, s6, v0
	s_movk_i32 s6, 0x84
	v_mad_u32_u24 v11, v3, s6, v0
	s_waitcnt lgkmcnt(0)
	s_barrier
	ds_read2_b32 v[28:29], v11 offset1:33
	v_lshlrev_b32_e32 v20, 2, v13
	ds_read_b32 v22, v1
	ds_read_b128 v[24:27], v20 offset:4544
	v_add_u32_e32 v21, v0, v10
	ds_read_b32 v11, v21
	s_waitcnt lgkmcnt(3)
	v_mov_b32_e32 v23, v28
	v_mov_b32_e32 v10, v29
	s_waitcnt lgkmcnt(1)
	v_pk_mul_f32 v[22:23], v[22:23], v[24:25]
	v_mov_b32_e32 v24, 0
	v_add_f32_e32 v1, 0, v22
	v_add_f32_e32 v1, v1, v23
	s_waitcnt lgkmcnt(0)
	v_pk_mul_f32 v[10:11], v[10:11], v[26:27]
	v_cmp_gt_u32_e64 s[6:7], 32, v14
	v_add_f32_e32 v1, v1, v10
	v_mul_u32_u24_e32 v10, 33, v2
	v_lshlrev_b32_e32 v15, 2, v10
	v_add_f32_e32 v1, v1, v11
	v_lshl_add_u32 v19, v12, 2, v15
	s_barrier
	ds_write_b32 v19, v1
	s_waitcnt lgkmcnt(0)
	s_barrier
	s_and_saveexec_b64 s[16:17], s[6:7]
	s_cbranch_execz .LBB153_34
; %bb.33:
	ds_read2_b32 v[10:11], v15 offset1:1
	ds_read2_b32 v[22:23], v15 offset0:2 offset1:3
	ds_read2_b32 v[24:25], v15 offset0:4 offset1:5
	;; [unrolled: 1-line block ×3, first 2 shown]
	s_waitcnt lgkmcnt(3)
	v_add_f32_e32 v1, v10, v11
	s_waitcnt lgkmcnt(2)
	v_add_f32_e32 v1, v1, v22
	v_add_f32_e32 v1, v1, v23
	s_waitcnt lgkmcnt(1)
	v_add_f32_e32 v1, v1, v24
	;; [unrolled: 3-line block ×3, first 2 shown]
	v_add_f32_e32 v24, v1, v27
.LBB153_34:
	s_or_b64 exec, exec, s[16:17]
	s_lshl_b32 s38, s22, 5
	s_ashr_i32 s39, s38, 31
	v_cndmask_b32_e64 v1, 0, 1, s[20:21]
	v_lshl_add_u64 v[10:11], s[38:39], 2, v[8:9]
	s_mov_b64 s[40:41], 0x80
	v_cmp_ne_u32_e64 s[16:17], 1, v1
	s_andn2_b64 vcc, exec, s[20:21]
	s_mov_b64 s[20:21], -1
	s_barrier
	s_cbranch_vccnz .LBB153_36
; %bb.35:
	s_lshl_b32 s20, s22, 3
	s_ashr_i32 s21, s20, 31
	s_ashr_i32 s23, s22, 31
	v_lshl_add_u64 v[8:9], s[20:21], 2, v[10:11]
	s_lshl_b64 s[20:21], s[22:23], 5
	v_lshl_add_u64 v[22:23], v[8:9], 0, s[20:21]
	v_lshl_add_u64 v[26:27], v[22:23], 0, s[20:21]
	flat_load_dword v1, v[10:11] offset:128
	flat_load_dword v25, v[8:9] offset:128
	;; [unrolled: 1-line block ×4, first 2 shown]
	s_movk_i32 s20, 0x84
	v_mad_u32_u24 v8, v12, s20, v0
	s_mov_b64 s[20:21], 0
	s_waitcnt vmcnt(0) lgkmcnt(0)
	ds_write_b32 v8, v1
	ds_write_b32 v8, v25 offset:1056
	ds_write_b32 v8, v28 offset:2112
	;; [unrolled: 1-line block ×3, first 2 shown]
.LBB153_36:
	s_andn2_b64 vcc, exec, s[20:21]
	v_lshl_add_u64 v[8:9], v[10:11], 0, s[40:41]
	s_cbranch_vccnz .LBB153_46
; %bb.37:
	v_sub_co_u32_e32 v10, vcc, v10, v0
	s_ashr_i32 s29, s28, 31
	s_nop 0
	v_subbrev_co_u32_e32 v11, vcc, 0, v11, vcc
	v_or_b32_e32 v1, 32, v2
	v_lshl_add_u64 v[10:11], s[28:29], 2, v[10:11]
	v_lshl_add_u64 v[10:11], v[10:11], 0, -4
	v_cmp_gt_i32_e32 vcc, s28, v1
	s_sub_i32 s23, s28, 32
	v_mov_b32_e32 v22, 0
	v_cndmask_b32_e32 v11, v11, v9, vcc
	v_cndmask_b32_e32 v10, v10, v8, vcc
	v_cmp_gt_i32_e64 s[20:21], s23, v12
	v_mov_b32_e32 v23, 0
	s_and_saveexec_b64 s[40:41], s[20:21]
	s_cbranch_execz .LBB153_39
; %bb.38:
	flat_load_dword v23, v[10:11]
.LBB153_39:
	s_or_b64 exec, exec, s[40:41]
	s_movk_i32 s20, 0x84
	v_mad_u32_u24 v25, v12, s20, v0
	s_waitcnt vmcnt(0) lgkmcnt(0)
	ds_write_b32 v25, v23
	v_add_u32_e32 v23, 8, v12
	v_mul_u32_u24_e32 v1, 0x84, v12
	v_cmp_gt_i32_e64 s[20:21], s23, v23
	s_and_saveexec_b64 s[40:41], s[20:21]
	s_cbranch_execz .LBB153_41
; %bb.40:
	s_lshl_b32 s20, s22, 3
	s_ashr_i32 s21, s20, 31
	v_lshl_add_u64 v[22:23], s[20:21], 2, v[10:11]
	flat_load_dword v22, v[22:23]
.LBB153_41:
	s_or_b64 exec, exec, s[40:41]
	v_add_u32_e32 v1, v1, v0
	s_waitcnt vmcnt(0) lgkmcnt(0)
	ds_write_b32 v1, v22 offset:1056
	v_add_u32_e32 v22, 16, v12
	v_cmp_gt_i32_e64 s[20:21], s23, v22
	v_mov_b32_e32 v22, 0
	v_mov_b32_e32 v23, 0
	s_and_saveexec_b64 s[40:41], s[20:21]
	s_cbranch_execz .LBB153_43
; %bb.42:
	s_lshl_b32 s20, s22, 4
	s_ashr_i32 s21, s20, 31
	v_lshl_add_u64 v[26:27], s[20:21], 2, v[10:11]
	flat_load_dword v23, v[26:27]
.LBB153_43:
	s_or_b64 exec, exec, s[40:41]
	s_waitcnt vmcnt(0) lgkmcnt(0)
	ds_write_b32 v1, v23 offset:2112
	v_add_u32_e32 v23, 24, v12
	v_cmp_gt_i32_e64 s[20:21], s23, v23
	s_and_saveexec_b64 s[40:41], s[20:21]
	s_cbranch_execz .LBB153_45
; %bb.44:
	s_mul_i32 s20, s22, 24
	s_ashr_i32 s21, s20, 31
	v_lshl_add_u64 v[22:23], s[20:21], 2, v[10:11]
	flat_load_dword v22, v[22:23]
.LBB153_45:
	s_or_b64 exec, exec, s[40:41]
	s_waitcnt vmcnt(0) lgkmcnt(0)
	ds_write_b32 v1, v22 offset:3168
	v_mov_b32_e32 v1, 0
	v_lshl_add_u64 v[10:11], v[10:11], 0, v[0:1]
	s_lshl_b64 s[20:21], s[28:29], 2
	v_mov_b32_e32 v1, s21
	v_subrev_co_u32_e64 v10, s[20:21], s20, v10
	s_nop 1
	v_subb_co_u32_e64 v11, s[20:21], v11, v1, s[20:21]
	s_mov_b64 s[20:21], 0x84
	s_nop 0
	v_lshl_add_u64 v[10:11], v[10:11], 0, s[20:21]
	v_cndmask_b32_e32 v9, v11, v9, vcc
	v_cndmask_b32_e32 v8, v10, v8, vcc
.LBB153_46:
	v_mul_u32_u24_e32 v1, 0x210, v12
	v_add_u32_e32 v20, 0x11c0, v20
	v_mul_u32_u24_e32 v3, 0x84, v3
	v_add_u32_e32 v1, v0, v1
	s_waitcnt lgkmcnt(0)
	s_barrier
	s_and_saveexec_b64 s[20:21], s[8:9]
	s_cbranch_execnz .LBB153_55
; %bb.47:
	s_or_b64 exec, exec, s[20:21]
	v_add_u32_e32 v3, v0, v3
	s_and_saveexec_b64 s[8:9], s[10:11]
	s_cbranch_execnz .LBB153_56
.LBB153_48:
	s_or_b64 exec, exec, s[8:9]
	s_and_saveexec_b64 s[8:9], s[12:13]
	s_cbranch_execnz .LBB153_57
.LBB153_49:
	s_or_b64 exec, exec, s[8:9]
	s_and_saveexec_b64 s[8:9], s[14:15]
	s_cbranch_execz .LBB153_51
.LBB153_50:
	ds_read_b32 v10, v21
	v_lshl_add_u32 v11, v13, 2, v15
	s_waitcnt lgkmcnt(0)
	ds_write_b32 v11, v10 offset:12
.LBB153_51:
	s_or_b64 exec, exec, s[8:9]
	s_waitcnt lgkmcnt(0)
	s_barrier
	ds_read2_b32 v[30:31], v3 offset1:33
	ds_read_b32 v10, v1
	ds_read_b128 v[26:29], v20 offset:128
	ds_read_b32 v23, v21
	v_cmp_eq_u32_e64 s[8:9], 1, v12
	s_waitcnt lgkmcnt(3)
	v_mov_b32_e32 v11, v30
	v_mov_b32_e32 v22, v31
	s_waitcnt lgkmcnt(1)
	v_pk_mul_f32 v[10:11], v[10:11], v[26:27]
	s_waitcnt lgkmcnt(0)
	v_add_f32_e32 v1, 0, v10
	v_add_f32_e32 v1, v1, v11
	v_pk_mul_f32 v[10:11], v[22:23], v[28:29]
	s_barrier
	v_add_f32_e32 v1, v1, v10
	v_add_f32_e32 v1, v1, v11
	ds_write_b32 v19, v1
	s_waitcnt lgkmcnt(0)
	s_barrier
	s_and_saveexec_b64 s[10:11], s[8:9]
	s_cbranch_execz .LBB153_53
; %bb.52:
	ds_read2_b32 v[10:11], v15 offset1:1
	ds_read2_b32 v[22:23], v15 offset0:2 offset1:3
	ds_read2_b32 v[24:25], v15 offset0:4 offset1:5
	;; [unrolled: 1-line block ×3, first 2 shown]
	s_waitcnt lgkmcnt(3)
	v_add_f32_e32 v1, v10, v11
	s_waitcnt lgkmcnt(2)
	v_add_f32_e32 v1, v1, v22
	v_add_f32_e32 v1, v1, v23
	s_waitcnt lgkmcnt(1)
	v_add_f32_e32 v1, v1, v24
	;; [unrolled: 3-line block ×3, first 2 shown]
	v_add_f32_e32 v24, v1, v27
.LBB153_53:
	s_or_b64 exec, exec, s[10:11]
	s_lshl_b64 s[10:11], s[38:39], 2
	v_mov_b32_e32 v1, s11
	v_subrev_co_u32_e64 v8, s[10:11], s10, v8
	s_and_b64 vcc, exec, s[16:17]
	s_nop 0
	v_subb_co_u32_e64 v9, s[10:11], v9, v1, s[10:11]
	s_barrier
	s_cbranch_vccnz .LBB153_58
; %bb.54:
	s_lshl_b32 s10, s22, 3
	s_ashr_i32 s11, s10, 31
	s_ashr_i32 s23, s22, 31
	v_lshl_add_u64 v[10:11], s[10:11], 2, v[8:9]
	s_lshl_b64 s[10:11], s[22:23], 5
	v_lshl_add_u64 v[22:23], v[10:11], 0, s[10:11]
	v_lshl_add_u64 v[26:27], v[22:23], 0, s[10:11]
	flat_load_dword v1, v[8:9]
	flat_load_dword v3, v[10:11]
	;; [unrolled: 1-line block ×4, first 2 shown]
	s_movk_i32 s10, 0x84
	v_mov_b32_e32 v22, 0x420
	v_mov_b32_e32 v25, 0x840
	;; [unrolled: 1-line block ×3, first 2 shown]
	v_mul_u32_u24_e32 v11, 0x84, v12
	v_add_u32_e32 v10, 8, v12
	v_add_u32_e32 v21, 16, v12
	;; [unrolled: 1-line block ×3, first 2 shown]
	v_mad_u32_u24 v27, v12, s10, v0
	v_mad_u32_u24 v22, v12, s10, v22
	;; [unrolled: 1-line block ×4, first 2 shown]
	v_add_u32_e32 v30, v0, v22
	v_add_u32_e32 v31, v0, v25
	;; [unrolled: 1-line block ×3, first 2 shown]
	s_waitcnt vmcnt(0) lgkmcnt(0)
	ds_write_b32 v27, v1
	ds_write_b32 v30, v3
	;; [unrolled: 1-line block ×4, first 2 shown]
	s_cbranch_execz .LBB153_59
	s_branch .LBB153_68
.LBB153_55:
	ds_read_b32 v10, v1
	v_lshl_add_u32 v11, v13, 2, v15
	s_waitcnt lgkmcnt(0)
	ds_write_b32 v11, v10
	s_or_b64 exec, exec, s[20:21]
	v_add_u32_e32 v3, v0, v3
	s_and_saveexec_b64 s[8:9], s[10:11]
	s_cbranch_execz .LBB153_48
.LBB153_56:
	ds_read_b32 v10, v3
	v_lshl_add_u32 v11, v13, 2, v15
	s_waitcnt lgkmcnt(0)
	ds_write_b32 v11, v10 offset:4
	s_or_b64 exec, exec, s[8:9]
	s_and_saveexec_b64 s[8:9], s[12:13]
	s_cbranch_execz .LBB153_49
.LBB153_57:
	ds_read_b32 v10, v3 offset:132
	v_lshl_add_u32 v11, v13, 2, v15
	s_waitcnt lgkmcnt(0)
	ds_write_b32 v11, v10 offset:8
	s_or_b64 exec, exec, s[8:9]
	s_and_saveexec_b64 s[8:9], s[14:15]
	s_cbranch_execnz .LBB153_50
	s_branch .LBB153_51
.LBB153_58:
                                        ; implicit-def: $vgpr11
                                        ; implicit-def: $vgpr10
                                        ; implicit-def: $vgpr22
                                        ; implicit-def: $vgpr21
                                        ; implicit-def: $vgpr25
                                        ; implicit-def: $vgpr23
                                        ; implicit-def: $vgpr26
.LBB153_59:
	v_or_b32_e32 v10, 32, v2
	v_lshlrev_b32_e32 v2, 2, v10
	v_sub_co_u32_e32 v2, vcc, v8, v2
	s_ashr_i32 s29, s28, 31
	s_nop 0
	v_subbrev_co_u32_e32 v3, vcc, 0, v9, vcc
	v_lshl_add_u64 v[2:3], s[28:29], 2, v[2:3]
	v_lshl_add_u64 v[2:3], v[2:3], 0, -4
	v_cmp_gt_i32_e32 vcc, s28, v10
	v_mov_b32_e32 v1, 0
	v_cmp_gt_i32_e64 s[10:11], s28, v12
	v_cndmask_b32_e32 v3, v3, v9, vcc
	v_cndmask_b32_e32 v2, v2, v8, vcc
	v_mov_b32_e32 v10, 0
	s_and_saveexec_b64 s[12:13], s[10:11]
	s_cbranch_execz .LBB153_61
; %bb.60:
	flat_load_dword v10, v[2:3]
.LBB153_61:
	s_or_b64 exec, exec, s[12:13]
	s_movk_i32 s10, 0x84
	v_mad_u32_u24 v21, v12, s10, v0
	s_waitcnt vmcnt(0) lgkmcnt(0)
	ds_write_b32 v21, v10
	v_add_u32_e32 v10, 8, v12
	v_mul_u32_u24_e32 v11, 0x84, v12
	v_cmp_gt_i32_e64 s[10:11], s28, v10
	s_and_saveexec_b64 s[12:13], s[10:11]
	s_cbranch_execz .LBB153_63
; %bb.62:
	s_lshl_b32 s10, s22, 3
	s_ashr_i32 s11, s10, 31
	v_lshl_add_u64 v[22:23], s[10:11], 2, v[2:3]
	flat_load_dword v1, v[22:23]
.LBB153_63:
	s_or_b64 exec, exec, s[12:13]
	v_add_u32_e32 v22, 0x420, v11
	v_add_u32_e32 v21, v0, v22
	s_waitcnt vmcnt(0) lgkmcnt(0)
	ds_write_b32 v21, v1
	v_add_u32_e32 v21, 16, v12
	v_cmp_gt_i32_e64 s[10:11], s28, v21
	v_mov_b32_e32 v1, 0
	v_mov_b32_e32 v23, 0
	s_and_saveexec_b64 s[12:13], s[10:11]
	s_cbranch_execz .LBB153_65
; %bb.64:
	s_lshl_b32 s10, s22, 4
	s_ashr_i32 s11, s10, 31
	v_lshl_add_u64 v[26:27], s[10:11], 2, v[2:3]
	flat_load_dword v23, v[26:27]
.LBB153_65:
	s_or_b64 exec, exec, s[12:13]
	v_add_u32_e32 v25, 0x420, v22
	v_add_u32_e32 v26, v0, v25
	s_waitcnt vmcnt(0) lgkmcnt(0)
	ds_write_b32 v26, v23
	v_add_u32_e32 v23, 24, v12
	v_cmp_gt_i32_e64 s[10:11], s28, v23
	s_and_saveexec_b64 s[12:13], s[10:11]
	s_cbranch_execz .LBB153_67
; %bb.66:
	s_mul_i32 s10, s22, 24
	s_ashr_i32 s11, s10, 31
	v_lshl_add_u64 v[26:27], s[10:11], 2, v[2:3]
	flat_load_dword v1, v[26:27]
.LBB153_67:
	s_or_b64 exec, exec, s[12:13]
	v_add_u32_e32 v26, 0x420, v25
	v_add_u32_e32 v12, v0, v26
	s_waitcnt vmcnt(0) lgkmcnt(0)
	ds_write_b32 v12, v1
	v_mov_b32_e32 v1, 0
	v_lshl_add_u64 v[2:3], v[2:3], 0, v[0:1]
	s_lshl_b64 s[10:11], s[28:29], 2
	v_mov_b32_e32 v1, s11
	v_subrev_co_u32_e64 v2, s[10:11], s10, v2
	s_nop 1
	v_subb_co_u32_e64 v3, s[10:11], v3, v1, s[10:11]
	s_mov_b64 s[10:11], 0x84
	s_nop 0
	v_lshl_add_u64 v[2:3], v[2:3], 0, s[10:11]
	v_cndmask_b32_e32 v9, v3, v9, vcc
	v_cndmask_b32_e32 v8, v2, v8, vcc
.LBB153_68:
	v_add_u32_e32 v1, v0, v11
	s_waitcnt lgkmcnt(0)
	s_barrier
	v_add_u32_e32 v2, v0, v22
	ds_read_b32 v28, v1
	ds_read_b32 v22, v13 offset:4544
	ds_read_b32 v29, v2
	v_lshlrev_b32_e32 v1, 2, v10
	v_add_u32_e32 v2, v0, v25
	v_lshlrev_b32_e32 v3, 2, v21
	v_add_u32_e32 v0, v0, v26
	v_lshlrev_b32_e32 v10, 2, v23
	ds_read_b32 v23, v1 offset:4544
	ds_read_b32 v26, v2
	ds_read_b32 v30, v3 offset:4544
	ds_read_b32 v27, v0
	ds_read_b32 v31, v10 offset:4544
	v_lshl_add_u32 v12, v13, 2, v15
	ds_read2_b32 v[10:11], v12 offset1:1
	ds_read_b128 v[0:3], v20 offset:128
	s_waitcnt lgkmcnt(6)
	v_pk_mul_f32 v[20:21], v[28:29], v[22:23]
	ds_read2_b32 v[12:13], v12 offset0:2 offset1:3
	v_add_f32_e32 v20, 0, v20
	s_waitcnt lgkmcnt(3)
	v_pk_mul_f32 v[22:23], v[26:27], v[30:31]
	v_add_f32_e32 v20, v20, v21
	v_add_f32_e32 v20, v20, v22
	;; [unrolled: 1-line block ×3, first 2 shown]
	s_waitcnt lgkmcnt(0)
	s_barrier
	ds_write_b32 v19, v20
	s_waitcnt lgkmcnt(0)
	s_barrier
	s_and_saveexec_b64 s[10:11], s[8:9]
	s_cbranch_execz .LBB153_70
; %bb.69:
	ds_read2_b32 v[20:21], v15 offset1:1
	ds_read2_b32 v[22:23], v15 offset0:2 offset1:3
	ds_read2_b32 v[26:27], v15 offset0:4 offset1:5
	;; [unrolled: 1-line block ×3, first 2 shown]
	s_waitcnt lgkmcnt(3)
	v_add_f32_e32 v20, v24, v20
	v_add_f32_e32 v20, v20, v21
	s_waitcnt lgkmcnt(2)
	v_add_f32_e32 v20, v20, v22
	v_add_f32_e32 v20, v20, v23
	;; [unrolled: 3-line block ×4, first 2 shown]
.LBB153_70:
	s_or_b64 exec, exec, s[10:11]
	v_fma_f32 v0, v10, v0, 0
	v_fmac_f32_e32 v0, v11, v1
	v_fmac_f32_e32 v0, v12, v2
	;; [unrolled: 1-line block ×3, first 2 shown]
	s_barrier
	ds_write_b32 v19, v0
	s_waitcnt lgkmcnt(0)
	s_barrier
	s_and_saveexec_b64 s[8:9], s[6:7]
	s_cbranch_execz .LBB153_72
; %bb.71:
	ds_read2_b32 v[0:1], v15 offset1:1
	ds_read2_b32 v[2:3], v15 offset0:2 offset1:3
	ds_read2_b32 v[10:11], v15 offset0:4 offset1:5
	;; [unrolled: 1-line block ×3, first 2 shown]
	s_waitcnt lgkmcnt(3)
	v_add_f32_e32 v0, v24, v0
	v_add_f32_e32 v0, v0, v1
	s_waitcnt lgkmcnt(2)
	v_add_f32_e32 v0, v0, v2
	v_add_f32_e32 v0, v0, v3
	s_waitcnt lgkmcnt(1)
	v_add_f32_e32 v0, v0, v10
	v_add_f32_e32 v0, v0, v11
	s_waitcnt lgkmcnt(0)
	v_add_f32_e32 v0, v0, v12
	v_add_f32_e32 v24, v0, v13
.LBB153_72:
	s_or_b64 exec, exec, s[8:9]
	s_load_dwordx2 s[0:1], s[0:1], 0x60
	s_mul_hi_u32 s6, s26, s24
	s_mul_i32 s25, s25, s24
	s_add_i32 s6, s6, s25
	s_mul_i32 s8, s26, s24
	s_mul_i32 s6, s6, s27
	s_mul_hi_u32 s7, s8, s27
	s_add_i32 s7, s7, s6
	s_mul_i32 s6, s8, s27
	s_lshl_b64 s[6:7], s[6:7], 2
	s_waitcnt lgkmcnt(0)
	s_add_u32 s6, s0, s6
	s_mul_i32 s0, s26, s2
	s_addc_u32 s7, s1, s7
	s_ashr_i32 s1, s0, 31
	s_lshl_b64 s[0:1], s[0:1], 2
	s_add_u32 s6, s6, s0
	v_cmp_le_i32_e32 vcc, s28, v18
	s_addc_u32 s7, s7, s1
	s_and_b64 vcc, s[36:37], vcc
	s_cmp_lt_i32 s2, 1
	v_lshlrev_b32_e32 v25, 2, v18
	s_barrier
	s_cbranch_scc1 .LBB153_79
; %bb.73:
	s_mul_i32 s0, s3, s30
	s_ashr_i32 s1, s0, 31
	s_lshl_b64 s[0:1], s[0:1], 2
	v_mov_b32_e32 v0, s1
	v_subrev_co_u32_e64 v20, s[0:1], s0, v4
	v_lshlrev_b64 v[2:3], 2, v[6:7]
	s_nop 0
	v_subb_co_u32_e64 v21, s[0:1], v5, v0, s[0:1]
	s_lshl_b64 s[0:1], s[34:35], 2
	s_nop 0
	v_mov_b32_e32 v1, s1
	v_subrev_co_u32_e64 v0, s[0:1], s0, v8
	s_ashr_i32 s29, s28, 31
	s_nop 0
	v_subb_co_u32_e64 v1, s[0:1], v9, v1, s[0:1]
	s_movk_i32 s0, 0xff80
	s_mov_b32 s1, -1
	v_lshl_add_u64 v[0:1], v[0:1], 0, s[0:1]
	v_sub_co_u32_e64 v0, s[0:1], v0, v2
	v_mul_lo_u32 v2, v17, s22
	v_lshl_add_u32 v2, v2, 2, v18
	v_subb_co_u32_e64 v1, s[0:1], v1, v3, s[0:1]
	v_ashrrev_i32_e32 v3, 31, v2
	v_lshl_add_u64 v[0:1], v[2:3], 2, v[0:1]
	v_sub_co_u32_e64 v2, s[0:1], v0, v25
	v_and_b32_e32 v4, 15, v18
	s_nop 0
	v_subbrev_co_u32_e64 v3, s[0:1], 0, v1, s[0:1]
	v_lshl_add_u64 v[2:3], s[28:29], 2, v[2:3]
	v_lshl_add_u64 v[2:3], v[2:3], 0, -4
	v_cndmask_b32_e32 v22, v0, v2, vcc
	v_lshrrev_b32_e32 v2, 2, v14
	s_movk_i32 s8, 0x10c
	v_and_b32_e32 v2, 0x7ffc, v2
	v_mad_u32_u24 v30, v4, s8, v2
	v_and_b32_e32 v2, 48, v18
	v_mov_b32_e32 v0, 0x10c0
	v_lshlrev_b32_e32 v2, 2, v2
	v_cndmask_b32_e32 v23, v1, v3, vcc
	v_lshl_add_u32 v27, v17, 4, v0
	s_movk_i32 s0, 0x430
	v_mul_u32_u24_e32 v0, 0x10c, v4
	v_and_b32_e32 v1, 0x1fff0, v14
	v_mad_u32_u24 v31, v4, s8, v2
	v_or_b32_e32 v2, 60, v25
	s_ashr_i32 s23, s22, 31
	v_mov_b32_e32 v19, 0
	s_lshl_b32 s3, s3, 6
	v_add_u32_e32 v26, 0x10c0, v25
	v_add_u32_e32 v28, 0x11c0, v25
	v_mad_u32_u24 v29, v17, s0, v25
	v_cmp_gt_u32_e64 s[0:1], 64, v14
	v_mad_u32_u24 v32, v4, s8, v2
	s_lshl_b64 s[8:9], s[22:23], 2
	s_lshl_b64 s[10:11], s[22:23], 3
	;; [unrolled: 1-line block ×3, first 2 shown]
	s_mul_hi_i32 s15, s22, 12
	s_mul_i32 s14, s22, 12
	s_lshl_b64 s[16:17], s[22:23], 6
	s_mul_hi_i32 s21, s22, 0x48
	s_mul_i32 s20, s22, 0x48
	s_mul_hi_i32 s25, s22, 0x4c
	s_mul_i32 s24, s22, 0x4c
	s_lshl_b64 s[26:27], s[22:23], 7
	s_mul_hi_i32 s29, s22, 0x88
	s_mul_i32 s28, s22, 0x88
	s_mul_hi_i32 s31, s22, 0x8c
	s_mul_i32 s30, s22, 0x8c
	;; [unrolled: 2-line block ×7, first 2 shown]
	s_mul_hi_i32 s23, s22, 0x44
	s_mulk_i32 s22, 0x44
	s_mov_b32 s44, 0
	v_add_u32_e32 v33, v0, v1
	s_branch .LBB153_75
.LBB153_74:                             ;   in Loop: Header=BB153_75 Depth=1
	s_or_b64 exec, exec, s[46:47]
	v_fmac_f32_e32 v24, v37, v0
	v_fmac_f32_e32 v24, v36, v1
	;; [unrolled: 1-line block ×15, first 2 shown]
	s_add_i32 s2, s2, -1
	s_add_i32 s44, s44, s3
	v_fmac_f32_e32 v24, v46, v15
	v_lshl_add_u64 v[22:23], v[22:23], 0, s[12:13]
	s_cmp_eq_u32 s2, 0
	v_add_u32_e32 v18, 64, v18
	s_barrier
	s_cbranch_scc1 .LBB153_79
.LBB153_75:                             ; =>This Inner Loop Header: Depth=1
	s_and_saveexec_b64 s[46:47], s[18:19]
	s_cbranch_execz .LBB153_77
; %bb.76:                               ;   in Loop: Header=BB153_75 Depth=1
	s_ashr_i32 s45, s44, 31
	v_lshl_add_u64 v[0:1], s[44:45], 2, v[20:21]
	flat_load_dword v0, v[0:1]
	s_waitcnt vmcnt(0) lgkmcnt(0)
	ds_write_b32 v26, v0
.LBB153_77:                             ;   in Loop: Header=BB153_75 Depth=1
	s_or_b64 exec, exec, s[46:47]
	s_waitcnt lgkmcnt(0)
	s_barrier
	v_lshl_add_u64 v[0:1], v[22:23], 0, s[8:9]
	v_lshl_add_u64 v[2:3], v[22:23], 0, s[10:11]
	;; [unrolled: 1-line block ×3, first 2 shown]
	flat_load_dword v37, v[22:23]
	flat_load_dword v36, v[0:1]
	;; [unrolled: 1-line block ×4, first 2 shown]
	ds_read_b32 v12, v28
	ds_read_b128 v[0:3], v27
	v_lshl_add_u64 v[4:5], v[22:23], 0, s[16:17]
	v_lshl_add_u64 v[6:7], v[22:23], 0, s[22:23]
	;; [unrolled: 1-line block ×10, first 2 shown]
	s_waitcnt vmcnt(0) lgkmcnt(0)
	v_mul_f32_e32 v13, v37, v12
	v_mul_f32_e32 v14, v36, v12
	;; [unrolled: 1-line block ×4, first 2 shown]
	ds_write2_b32 v29, v13, v14 offset1:67
	ds_write2_b32 v29, v15, v12 offset0:134 offset1:201
	s_waitcnt lgkmcnt(0)
	s_barrier
	ds_read2_b32 v[12:13], v33 offset1:1
	ds_read2_b32 v[14:15], v33 offset0:2 offset1:3
	s_waitcnt lgkmcnt(0)
	s_barrier
	flat_load_dword v41, v[4:5]
	flat_load_dword v40, v[6:7]
	;; [unrolled: 1-line block ×4, first 2 shown]
	ds_read_b32 v42, v28
	ds_read_b128 v[4:7], v27 offset:64
	v_lshl_add_u64 v[8:9], v[22:23], 0, s[26:27]
	v_lshl_add_u64 v[10:11], v[22:23], 0, s[42:43]
	v_add_f32_e32 v12, 0, v12
	v_add_f32_e32 v12, v12, v13
	;; [unrolled: 1-line block ×3, first 2 shown]
	s_waitcnt vmcnt(0) lgkmcnt(0)
	v_mul_f32_e32 v43, v41, v42
	v_mul_f32_e32 v44, v40, v42
	;; [unrolled: 1-line block ×4, first 2 shown]
	ds_write2_b32 v29, v43, v44 offset1:67
	ds_write2_b32 v29, v45, v42 offset0:134 offset1:201
	s_waitcnt lgkmcnt(0)
	s_barrier
	ds_read2_b32 v[50:51], v33 offset1:1
	ds_read2_b32 v[52:53], v33 offset0:2 offset1:3
	s_waitcnt lgkmcnt(0)
	s_barrier
	flat_load_dword v45, v[8:9]
	flat_load_dword v44, v[10:11]
	flat_load_dword v43, v[46:47]
	flat_load_dword v42, v[48:49]
	ds_read_b32 v46, v28
	ds_read_b128 v[8:11], v27 offset:128
	s_waitcnt vmcnt(0) lgkmcnt(0)
	v_mul_f32_e32 v47, v45, v46
	v_mul_f32_e32 v48, v44, v46
	;; [unrolled: 1-line block ×4, first 2 shown]
	ds_write2_b32 v29, v47, v48 offset1:67
	ds_write2_b32 v29, v49, v46 offset0:134 offset1:201
	s_waitcnt lgkmcnt(0)
	s_barrier
	ds_read2_b32 v[62:63], v33 offset1:1
	ds_read2_b32 v[64:65], v33 offset0:2 offset1:3
	s_waitcnt lgkmcnt(0)
	s_barrier
	flat_load_dword v49, v[54:55]
	flat_load_dword v48, v[56:57]
	;; [unrolled: 1-line block ×4, first 2 shown]
	v_add_f32_e32 v54, v12, v15
	v_add_f32_e32 v12, 0, v50
	;; [unrolled: 1-line block ×5, first 2 shown]
	ds_read_b32 v50, v28
	ds_read_b128 v[12:15], v27 offset:192
	v_add_f32_e32 v51, 0, v62
	v_add_f32_e32 v51, v51, v63
	;; [unrolled: 1-line block ×4, first 2 shown]
	s_waitcnt vmcnt(0) lgkmcnt(0)
	v_mul_f32_e32 v51, v49, v50
	v_mul_f32_e32 v52, v48, v50
	;; [unrolled: 1-line block ×4, first 2 shown]
	ds_write2_b32 v29, v51, v52 offset1:67
	ds_write2_b32 v29, v53, v50 offset0:134 offset1:201
	s_waitcnt lgkmcnt(0)
	s_barrier
	ds_read2_b32 v[50:51], v33 offset1:1
	ds_read2_b32 v[52:53], v33 offset0:2 offset1:3
	s_waitcnt lgkmcnt(0)
	s_barrier
	v_add_f32_e32 v50, 0, v50
	v_add_f32_e32 v50, v50, v51
	v_add_f32_e32 v50, v50, v52
	v_add_f32_e32 v50, v50, v53
	ds_write2_b32 v30, v54, v55 offset1:16
	ds_write2_b32 v30, v56, v50 offset0:32 offset1:48
	s_waitcnt lgkmcnt(0)
	s_barrier
	s_and_saveexec_b64 s[46:47], s[0:1]
	s_cbranch_execz .LBB153_74
; %bb.78:                               ;   in Loop: Header=BB153_75 Depth=1
	ds_read2_b32 v[50:51], v31 offset1:1
	ds_read2_b32 v[52:53], v31 offset0:2 offset1:3
	ds_read2_b32 v[54:55], v31 offset0:4 offset1:5
	;; [unrolled: 1-line block ×4, first 2 shown]
	s_waitcnt lgkmcnt(4)
	v_add_f32_e32 v50, v50, v51
	s_waitcnt lgkmcnt(3)
	v_add_f32_e32 v50, v50, v52
	v_add_f32_e32 v50, v50, v53
	s_waitcnt lgkmcnt(2)
	v_add_f32_e32 v50, v50, v54
	;; [unrolled: 3-line block ×3, first 2 shown]
	v_add_f32_e32 v54, v50, v57
	ds_read2_b32 v[50:51], v31 offset0:10 offset1:11
	ds_read2_b32 v[52:53], v31 offset0:12 offset1:13
	ds_read_b32 v55, v31 offset:56
	s_waitcnt lgkmcnt(3)
	v_add_f32_e32 v54, v54, v58
	v_add_f32_e32 v54, v54, v59
	s_waitcnt lgkmcnt(2)
	v_add_f32_e32 v50, v54, v50
	ds_read_b32 v54, v32
	v_add_f32_e32 v50, v50, v51
	s_waitcnt lgkmcnt(2)
	v_add_f32_e32 v50, v50, v52
	v_add_f32_e32 v50, v50, v53
	s_waitcnt lgkmcnt(1)
	v_add_f32_e32 v50, v50, v55
	s_waitcnt lgkmcnt(0)
	v_add_f32_e32 v52, v50, v54
	v_lshl_add_u64 v[50:51], v[18:19], 2, s[6:7]
	global_store_dword v[50:51], v52, off
	s_branch .LBB153_74
.LBB153_79:
	s_movk_i32 s0, 0x10c
	v_mad_u32_u24 v0, v17, s0, v25
	s_nor_b64 s[0:1], s[4:5], vcc
	ds_write_b32 v0, v24
	s_waitcnt lgkmcnt(0)
	s_barrier
	s_and_saveexec_b64 s[2:3], s[0:1]
	s_cbranch_execz .LBB153_4
; %bb.80:
	ds_read2_b32 v[0:1], v25 offset1:67
	ds_read2_b32 v[2:3], v25 offset0:134 offset1:201
	v_ashrrev_i32_e32 v17, 31, v16
	s_waitcnt lgkmcnt(1)
	v_add_f32_e32 v0, v0, v1
	s_waitcnt lgkmcnt(0)
	v_add_f32_e32 v0, v0, v2
	v_add_f32_e32 v2, v0, v3
	v_lshl_add_u64 v[0:1], v[16:17], 2, s[6:7]
	global_store_dword v[0:1], v2, off
	s_endpgm
	.section	.rodata,"a",@progbits
	.p2align	6, 0x0
	.amdhsa_kernel _ZL26rocblas_hemvn_kernel_lowerILb0ELi64ELi4ELi33ELi32ELi16EifPKPKfPfEviT6_lT7_lT5_lS6_lS7_lS5_lT8_i
		.amdhsa_group_segment_fixed_size 4800
		.amdhsa_private_segment_fixed_size 0
		.amdhsa_kernarg_size 368
		.amdhsa_user_sgpr_count 2
		.amdhsa_user_sgpr_dispatch_ptr 0
		.amdhsa_user_sgpr_queue_ptr 0
		.amdhsa_user_sgpr_kernarg_segment_ptr 1
		.amdhsa_user_sgpr_dispatch_id 0
		.amdhsa_user_sgpr_kernarg_preload_length 0
		.amdhsa_user_sgpr_kernarg_preload_offset 0
		.amdhsa_user_sgpr_private_segment_size 0
		.amdhsa_uses_dynamic_stack 0
		.amdhsa_enable_private_segment 0
		.amdhsa_system_sgpr_workgroup_id_x 1
		.amdhsa_system_sgpr_workgroup_id_y 0
		.amdhsa_system_sgpr_workgroup_id_z 1
		.amdhsa_system_sgpr_workgroup_info 0
		.amdhsa_system_vgpr_workitem_id 1
		.amdhsa_next_free_vgpr 66
		.amdhsa_next_free_sgpr 48
		.amdhsa_accum_offset 68
		.amdhsa_reserve_vcc 1
		.amdhsa_float_round_mode_32 0
		.amdhsa_float_round_mode_16_64 0
		.amdhsa_float_denorm_mode_32 3
		.amdhsa_float_denorm_mode_16_64 3
		.amdhsa_dx10_clamp 1
		.amdhsa_ieee_mode 1
		.amdhsa_fp16_overflow 0
		.amdhsa_tg_split 0
		.amdhsa_exception_fp_ieee_invalid_op 0
		.amdhsa_exception_fp_denorm_src 0
		.amdhsa_exception_fp_ieee_div_zero 0
		.amdhsa_exception_fp_ieee_overflow 0
		.amdhsa_exception_fp_ieee_underflow 0
		.amdhsa_exception_fp_ieee_inexact 0
		.amdhsa_exception_int_div_zero 0
	.end_amdhsa_kernel
	.section	.text._ZL26rocblas_hemvn_kernel_lowerILb0ELi64ELi4ELi33ELi32ELi16EifPKPKfPfEviT6_lT7_lT5_lS6_lS7_lS5_lT8_i,"axG",@progbits,_ZL26rocblas_hemvn_kernel_lowerILb0ELi64ELi4ELi33ELi32ELi16EifPKPKfPfEviT6_lT7_lT5_lS6_lS7_lS5_lT8_i,comdat
.Lfunc_end153:
	.size	_ZL26rocblas_hemvn_kernel_lowerILb0ELi64ELi4ELi33ELi32ELi16EifPKPKfPfEviT6_lT7_lT5_lS6_lS7_lS5_lT8_i, .Lfunc_end153-_ZL26rocblas_hemvn_kernel_lowerILb0ELi64ELi4ELi33ELi32ELi16EifPKPKfPfEviT6_lT7_lT5_lS6_lS7_lS5_lT8_i
                                        ; -- End function
	.set _ZL26rocblas_hemvn_kernel_lowerILb0ELi64ELi4ELi33ELi32ELi16EifPKPKfPfEviT6_lT7_lT5_lS6_lS7_lS5_lT8_i.num_vgpr, 66
	.set _ZL26rocblas_hemvn_kernel_lowerILb0ELi64ELi4ELi33ELi32ELi16EifPKPKfPfEviT6_lT7_lT5_lS6_lS7_lS5_lT8_i.num_agpr, 0
	.set _ZL26rocblas_hemvn_kernel_lowerILb0ELi64ELi4ELi33ELi32ELi16EifPKPKfPfEviT6_lT7_lT5_lS6_lS7_lS5_lT8_i.numbered_sgpr, 48
	.set _ZL26rocblas_hemvn_kernel_lowerILb0ELi64ELi4ELi33ELi32ELi16EifPKPKfPfEviT6_lT7_lT5_lS6_lS7_lS5_lT8_i.num_named_barrier, 0
	.set _ZL26rocblas_hemvn_kernel_lowerILb0ELi64ELi4ELi33ELi32ELi16EifPKPKfPfEviT6_lT7_lT5_lS6_lS7_lS5_lT8_i.private_seg_size, 0
	.set _ZL26rocblas_hemvn_kernel_lowerILb0ELi64ELi4ELi33ELi32ELi16EifPKPKfPfEviT6_lT7_lT5_lS6_lS7_lS5_lT8_i.uses_vcc, 1
	.set _ZL26rocblas_hemvn_kernel_lowerILb0ELi64ELi4ELi33ELi32ELi16EifPKPKfPfEviT6_lT7_lT5_lS6_lS7_lS5_lT8_i.uses_flat_scratch, 0
	.set _ZL26rocblas_hemvn_kernel_lowerILb0ELi64ELi4ELi33ELi32ELi16EifPKPKfPfEviT6_lT7_lT5_lS6_lS7_lS5_lT8_i.has_dyn_sized_stack, 0
	.set _ZL26rocblas_hemvn_kernel_lowerILb0ELi64ELi4ELi33ELi32ELi16EifPKPKfPfEviT6_lT7_lT5_lS6_lS7_lS5_lT8_i.has_recursion, 0
	.set _ZL26rocblas_hemvn_kernel_lowerILb0ELi64ELi4ELi33ELi32ELi16EifPKPKfPfEviT6_lT7_lT5_lS6_lS7_lS5_lT8_i.has_indirect_call, 0
	.section	.AMDGPU.csdata,"",@progbits
; Kernel info:
; codeLenInByte = 5404
; TotalNumSgprs: 54
; NumVgprs: 66
; NumAgprs: 0
; TotalNumVgprs: 66
; ScratchSize: 0
; MemoryBound: 0
; FloatMode: 240
; IeeeMode: 1
; LDSByteSize: 4800 bytes/workgroup (compile time only)
; SGPRBlocks: 6
; VGPRBlocks: 8
; NumSGPRsForWavesPerEU: 54
; NumVGPRsForWavesPerEU: 66
; AccumOffset: 68
; Occupancy: 7
; WaveLimiterHint : 1
; COMPUTE_PGM_RSRC2:SCRATCH_EN: 0
; COMPUTE_PGM_RSRC2:USER_SGPR: 2
; COMPUTE_PGM_RSRC2:TRAP_HANDLER: 0
; COMPUTE_PGM_RSRC2:TGID_X_EN: 1
; COMPUTE_PGM_RSRC2:TGID_Y_EN: 0
; COMPUTE_PGM_RSRC2:TGID_Z_EN: 1
; COMPUTE_PGM_RSRC2:TIDIG_COMP_CNT: 1
; COMPUTE_PGM_RSRC3_GFX90A:ACCUM_OFFSET: 16
; COMPUTE_PGM_RSRC3_GFX90A:TG_SPLIT: 0
	.section	.text._ZL36rocblas_hemvn_kernel_lower_block_sumILi64EifPKPffEviT1_lS3_lT2_lT0_lPT3_i,"axG",@progbits,_ZL36rocblas_hemvn_kernel_lower_block_sumILi64EifPKPffEviT1_lS3_lT2_lT0_lPT3_i,comdat
	.globl	_ZL36rocblas_hemvn_kernel_lower_block_sumILi64EifPKPffEviT1_lS3_lT2_lT0_lPT3_i ; -- Begin function _ZL36rocblas_hemvn_kernel_lower_block_sumILi64EifPKPffEviT1_lS3_lT2_lT0_lPT3_i
	.p2align	8
	.type	_ZL36rocblas_hemvn_kernel_lower_block_sumILi64EifPKPffEviT1_lS3_lT2_lT0_lPT3_i,@function
_ZL36rocblas_hemvn_kernel_lower_block_sumILi64EifPKPffEviT1_lS3_lT2_lT0_lPT3_i: ; @_ZL36rocblas_hemvn_kernel_lower_block_sumILi64EifPKPffEviT1_lS3_lT2_lT0_lPT3_i
; %bb.0:
	s_mov_b32 s12, s3
	s_load_dwordx2 s[8:9], s[0:1], 0x0
	s_load_dword s3, s[0:1], 0x10
	s_mov_b32 s13, 0
	s_waitcnt lgkmcnt(0)
	v_cmp_eq_f32_e64 s[4:5], s9, 0
	v_cmp_eq_f32_e64 s[6:7], s3, 1.0
	s_and_b64 s[4:5], s[4:5], s[6:7]
	s_and_b64 vcc, exec, s[4:5]
	s_cbranch_vccnz .LBB154_19
; %bb.1:
	s_load_dwordx4 s[4:7], s[0:1], 0x20
	s_load_dword s18, s[0:1], 0x30
	s_lshl_b64 s[10:11], s[12:13], 3
	v_lshl_or_b32 v3, s2, 6, v0
	s_waitcnt lgkmcnt(0)
	s_add_u32 s4, s4, s10
	s_addc_u32 s5, s5, s11
	s_load_dwordx2 s[4:5], s[4:5], 0x0
	s_lshl_b64 s[6:7], s[6:7], 2
	v_cmp_neq_f32_e64 s[10:11], s9, 0
	s_waitcnt lgkmcnt(0)
	s_add_u32 s6, s4, s6
	s_addc_u32 s7, s5, s7
	s_and_b64 vcc, exec, s[10:11]
	v_cmp_gt_i32_e64 s[4:5], s8, v3
	s_cbranch_vccnz .LBB154_6
; %bb.2:
	s_mov_b64 s[14:15], 0
	s_mov_b64 s[10:11], 0
                                        ; implicit-def: $vgpr4
                                        ; implicit-def: $vgpr0_vgpr1
	s_and_saveexec_b64 s[16:17], s[4:5]
	s_cbranch_execz .LBB154_7
; %bb.3:
	v_cmp_eq_f32_e64 s[4:5], s3, 0
	v_mul_lo_u32 v0, s18, v3
	v_mov_b32_e32 v4, 0
	v_ashrrev_i32_e32 v1, 31, v0
	s_and_b64 vcc, exec, s[4:5]
	s_cbranch_vccnz .LBB154_5
; %bb.4:
	v_lshl_add_u64 v[4:5], v[0:1], 2, s[6:7]
	flat_load_dword v2, v[4:5]
	s_waitcnt vmcnt(0) lgkmcnt(0)
	v_mul_f32_e32 v4, s3, v2
.LBB154_5:
	s_mov_b64 s[10:11], exec
	s_or_b64 exec, exec, s[16:17]
	s_and_b64 vcc, exec, s[14:15]
	s_cbranch_vccnz .LBB154_8
	s_branch .LBB154_17
.LBB154_6:
	s_mov_b64 s[10:11], 0
                                        ; implicit-def: $vgpr4
                                        ; implicit-def: $vgpr0_vgpr1
	s_cbranch_execnz .LBB154_8
	s_branch .LBB154_17
.LBB154_7:
	s_or_b64 exec, exec, s[16:17]
	s_and_b64 vcc, exec, s[14:15]
	s_cbranch_vccz .LBB154_17
.LBB154_8:
	v_cmp_gt_i32_e32 vcc, s8, v3
                                        ; implicit-def: $vgpr4
                                        ; implicit-def: $vgpr0_vgpr1
	s_and_saveexec_b64 s[4:5], vcc
	s_cbranch_execz .LBB154_16
; %bb.9:
	s_load_dword s13, s[0:1], 0x50
	v_mov_b32_e32 v2, 0
	s_waitcnt lgkmcnt(0)
	s_cmp_ge_i32 s2, s13
	s_cbranch_scc1 .LBB154_12
; %bb.10:
	s_ashr_i32 s15, s8, 31
	s_mul_i32 s16, s8, s2
	s_load_dwordx2 s[0:1], s[0:1], 0x40
	v_add_u32_e32 v0, s16, v3
	s_mul_hi_u32 s16, s8, s12
	s_mul_i32 s17, s15, s12
	s_mov_b32 s14, s8
	s_add_i32 s16, s16, s17
	s_mul_i32 s8, s8, s12
	s_mul_i32 s16, s16, s13
	s_mul_hi_u32 s12, s8, s13
	s_add_i32 s17, s12, s16
	s_mul_i32 s16, s8, s13
	s_lshl_b64 s[16:17], s[16:17], 2
	s_waitcnt lgkmcnt(0)
	s_add_u32 s0, s0, s16
	v_ashrrev_i32_e32 v1, 31, v0
	s_addc_u32 s1, s1, s17
	v_lshl_add_u64 v[0:1], v[0:1], 2, s[0:1]
	s_lshl_b64 s[0:1], s[14:15], 2
	v_mov_b32_e32 v2, 0
.LBB154_11:                             ; =>This Inner Loop Header: Depth=1
	global_load_dword v4, v[0:1], off
	s_add_i32 s2, s2, 1
	v_lshl_add_u64 v[0:1], v[0:1], 0, s[0:1]
	s_cmp_ge_i32 s2, s13
	s_waitcnt vmcnt(0)
	v_add_f32_e32 v2, v2, v4
	s_cbranch_scc0 .LBB154_11
.LBB154_12:
	v_cmp_eq_f32_e64 s[0:1], s3, 0
	v_mul_lo_u32 v0, s18, v3
	s_and_b64 vcc, exec, s[0:1]
	v_ashrrev_i32_e32 v1, 31, v0
	s_cbranch_vccz .LBB154_20
; %bb.13:
	v_mul_f32_e32 v4, s9, v2
	s_cbranch_execnz .LBB154_15
.LBB154_14:
	v_lshl_add_u64 v[4:5], v[0:1], 2, s[6:7]
	flat_load_dword v3, v[4:5]
	s_mov_b32 s2, s9
	s_waitcnt vmcnt(0) lgkmcnt(0)
	v_pk_mul_f32 v[2:3], s[2:3], v[2:3]
	s_nop 0
	v_add_f32_e32 v4, v2, v3
.LBB154_15:
	s_or_b64 s[10:11], s[10:11], exec
.LBB154_16:
	s_or_b64 exec, exec, s[4:5]
.LBB154_17:
	s_and_saveexec_b64 s[0:1], s[10:11]
	s_cbranch_execz .LBB154_19
; %bb.18:
	v_lshl_add_u64 v[0:1], v[0:1], 2, s[6:7]
	flat_store_dword v[0:1], v4
.LBB154_19:
	s_endpgm
.LBB154_20:
                                        ; implicit-def: $vgpr4
	s_branch .LBB154_14
	.section	.rodata,"a",@progbits
	.p2align	6, 0x0
	.amdhsa_kernel _ZL36rocblas_hemvn_kernel_lower_block_sumILi64EifPKPffEviT1_lS3_lT2_lT0_lPT3_i
		.amdhsa_group_segment_fixed_size 0
		.amdhsa_private_segment_fixed_size 0
		.amdhsa_kernarg_size 336
		.amdhsa_user_sgpr_count 2
		.amdhsa_user_sgpr_dispatch_ptr 0
		.amdhsa_user_sgpr_queue_ptr 0
		.amdhsa_user_sgpr_kernarg_segment_ptr 1
		.amdhsa_user_sgpr_dispatch_id 0
		.amdhsa_user_sgpr_kernarg_preload_length 0
		.amdhsa_user_sgpr_kernarg_preload_offset 0
		.amdhsa_user_sgpr_private_segment_size 0
		.amdhsa_uses_dynamic_stack 0
		.amdhsa_enable_private_segment 0
		.amdhsa_system_sgpr_workgroup_id_x 1
		.amdhsa_system_sgpr_workgroup_id_y 0
		.amdhsa_system_sgpr_workgroup_id_z 1
		.amdhsa_system_sgpr_workgroup_info 0
		.amdhsa_system_vgpr_workitem_id 0
		.amdhsa_next_free_vgpr 6
		.amdhsa_next_free_sgpr 19
		.amdhsa_accum_offset 8
		.amdhsa_reserve_vcc 1
		.amdhsa_float_round_mode_32 0
		.amdhsa_float_round_mode_16_64 0
		.amdhsa_float_denorm_mode_32 3
		.amdhsa_float_denorm_mode_16_64 3
		.amdhsa_dx10_clamp 1
		.amdhsa_ieee_mode 1
		.amdhsa_fp16_overflow 0
		.amdhsa_tg_split 0
		.amdhsa_exception_fp_ieee_invalid_op 0
		.amdhsa_exception_fp_denorm_src 0
		.amdhsa_exception_fp_ieee_div_zero 0
		.amdhsa_exception_fp_ieee_overflow 0
		.amdhsa_exception_fp_ieee_underflow 0
		.amdhsa_exception_fp_ieee_inexact 0
		.amdhsa_exception_int_div_zero 0
	.end_amdhsa_kernel
	.section	.text._ZL36rocblas_hemvn_kernel_lower_block_sumILi64EifPKPffEviT1_lS3_lT2_lT0_lPT3_i,"axG",@progbits,_ZL36rocblas_hemvn_kernel_lower_block_sumILi64EifPKPffEviT1_lS3_lT2_lT0_lPT3_i,comdat
.Lfunc_end154:
	.size	_ZL36rocblas_hemvn_kernel_lower_block_sumILi64EifPKPffEviT1_lS3_lT2_lT0_lPT3_i, .Lfunc_end154-_ZL36rocblas_hemvn_kernel_lower_block_sumILi64EifPKPffEviT1_lS3_lT2_lT0_lPT3_i
                                        ; -- End function
	.set _ZL36rocblas_hemvn_kernel_lower_block_sumILi64EifPKPffEviT1_lS3_lT2_lT0_lPT3_i.num_vgpr, 6
	.set _ZL36rocblas_hemvn_kernel_lower_block_sumILi64EifPKPffEviT1_lS3_lT2_lT0_lPT3_i.num_agpr, 0
	.set _ZL36rocblas_hemvn_kernel_lower_block_sumILi64EifPKPffEviT1_lS3_lT2_lT0_lPT3_i.numbered_sgpr, 19
	.set _ZL36rocblas_hemvn_kernel_lower_block_sumILi64EifPKPffEviT1_lS3_lT2_lT0_lPT3_i.num_named_barrier, 0
	.set _ZL36rocblas_hemvn_kernel_lower_block_sumILi64EifPKPffEviT1_lS3_lT2_lT0_lPT3_i.private_seg_size, 0
	.set _ZL36rocblas_hemvn_kernel_lower_block_sumILi64EifPKPffEviT1_lS3_lT2_lT0_lPT3_i.uses_vcc, 1
	.set _ZL36rocblas_hemvn_kernel_lower_block_sumILi64EifPKPffEviT1_lS3_lT2_lT0_lPT3_i.uses_flat_scratch, 0
	.set _ZL36rocblas_hemvn_kernel_lower_block_sumILi64EifPKPffEviT1_lS3_lT2_lT0_lPT3_i.has_dyn_sized_stack, 0
	.set _ZL36rocblas_hemvn_kernel_lower_block_sumILi64EifPKPffEviT1_lS3_lT2_lT0_lPT3_i.has_recursion, 0
	.set _ZL36rocblas_hemvn_kernel_lower_block_sumILi64EifPKPffEviT1_lS3_lT2_lT0_lPT3_i.has_indirect_call, 0
	.section	.AMDGPU.csdata,"",@progbits
; Kernel info:
; codeLenInByte = 540
; TotalNumSgprs: 25
; NumVgprs: 6
; NumAgprs: 0
; TotalNumVgprs: 6
; ScratchSize: 0
; MemoryBound: 0
; FloatMode: 240
; IeeeMode: 1
; LDSByteSize: 0 bytes/workgroup (compile time only)
; SGPRBlocks: 3
; VGPRBlocks: 0
; NumSGPRsForWavesPerEU: 25
; NumVGPRsForWavesPerEU: 6
; AccumOffset: 8
; Occupancy: 8
; WaveLimiterHint : 1
; COMPUTE_PGM_RSRC2:SCRATCH_EN: 0
; COMPUTE_PGM_RSRC2:USER_SGPR: 2
; COMPUTE_PGM_RSRC2:TRAP_HANDLER: 0
; COMPUTE_PGM_RSRC2:TGID_X_EN: 1
; COMPUTE_PGM_RSRC2:TGID_Y_EN: 0
; COMPUTE_PGM_RSRC2:TGID_Z_EN: 1
; COMPUTE_PGM_RSRC2:TIDIG_COMP_CNT: 0
; COMPUTE_PGM_RSRC3_GFX90A:ACCUM_OFFSET: 1
; COMPUTE_PGM_RSRC3_GFX90A:TG_SPLIT: 0
	.section	.text._ZL50rocblas_symv_kernel_upper_double_buffered_diagonalILi32ELi4E24rocblas_internal_val_ptrIdEPKPKdPKPdEvbiT1_lT2_lllSA_lllS9_lT3_llli,"axG",@progbits,_ZL50rocblas_symv_kernel_upper_double_buffered_diagonalILi32ELi4E24rocblas_internal_val_ptrIdEPKPKdPKPdEvbiT1_lT2_lllSA_lllS9_lT3_llli,comdat
	.globl	_ZL50rocblas_symv_kernel_upper_double_buffered_diagonalILi32ELi4E24rocblas_internal_val_ptrIdEPKPKdPKPdEvbiT1_lT2_lllSA_lllS9_lT3_llli ; -- Begin function _ZL50rocblas_symv_kernel_upper_double_buffered_diagonalILi32ELi4E24rocblas_internal_val_ptrIdEPKPKdPKPdEvbiT1_lT2_lllSA_lllS9_lT3_llli
	.p2align	8
	.type	_ZL50rocblas_symv_kernel_upper_double_buffered_diagonalILi32ELi4E24rocblas_internal_val_ptrIdEPKPKdPKPdEvbiT1_lT2_lllSA_lllS9_lT3_llli,@function
_ZL50rocblas_symv_kernel_upper_double_buffered_diagonalILi32ELi4E24rocblas_internal_val_ptrIdEPKPKdPKPdEvbiT1_lT2_lllSA_lllS9_lT3_llli: ; @_ZL50rocblas_symv_kernel_upper_double_buffered_diagonalILi32ELi4E24rocblas_internal_val_ptrIdEPKPKdPKPdEvbiT1_lT2_lllSA_lllS9_lT3_llli
; %bb.0:
	s_mov_b32 s18, s3
	s_load_dword s3, s[0:1], 0x0
	s_load_dwordx8 s[4:11], s[0:1], 0x8
	s_load_dwordx2 s[16:17], s[0:1], 0x28
	s_load_dwordx4 s[12:15], s[0:1], 0x58
	s_waitcnt lgkmcnt(0)
	s_bitcmp1_b32 s3, 0
	s_cselect_b64 s[22:23], -1, 0
	s_xor_b64 s[20:21], s[22:23], -1
	s_and_b64 vcc, exec, s[22:23]
	v_mov_b64_e32 v[2:3], s[4:5]
	s_cbranch_vccnz .LBB155_2
; %bb.1:
	s_mul_i32 s3, s7, s18
	s_mul_hi_u32 s7, s6, s18
	s_add_i32 s7, s7, s3
	s_mul_i32 s6, s6, s18
	s_lshl_b64 s[6:7], s[6:7], 3
	s_add_u32 s4, s4, s6
	s_addc_u32 s5, s5, s7
	v_mov_b64_e32 v[2:3], s[4:5]
	flat_load_dwordx2 v[2:3], v[2:3]
.LBB155_2:
	s_andn2_b64 vcc, exec, s[20:21]
	v_mov_b64_e32 v[4:5], s[12:13]
	s_cbranch_vccnz .LBB155_4
; %bb.3:
	s_mul_i32 s3, s15, s18
	s_mul_hi_u32 s4, s14, s18
	s_add_i32 s5, s4, s3
	s_mul_i32 s4, s14, s18
	s_lshl_b64 s[4:5], s[4:5], 3
	s_add_u32 s4, s12, s4
	s_addc_u32 s5, s13, s5
	v_mov_b64_e32 v[4:5], s[4:5]
	flat_load_dwordx2 v[4:5], v[4:5]
.LBB155_4:
	s_waitcnt vmcnt(0) lgkmcnt(0)
	v_cmp_neq_f64_e32 vcc, 0, v[2:3]
	v_cmp_neq_f64_e64 s[4:5], 1.0, v[4:5]
	s_or_b64 s[4:5], vcc, s[4:5]
	s_and_saveexec_b64 s[6:7], s[4:5]
	s_cbranch_execz .LBB155_39
; %bb.5:
	s_mov_b32 s19, 0
	v_cmp_neq_f64_e64 s[4:5], 0, v[2:3]
	v_cmp_eq_f64_e32 vcc, 0, v[2:3]
	v_mov_b64_e32 v[6:7], s[18:19]
	s_and_saveexec_b64 s[6:7], vcc
	s_xor_b64 s[6:7], exec, s[6:7]
; %bb.6:
	v_mov_b64_e32 v[6:7], s[18:19]
; %bb.7:
	s_or_saveexec_b64 s[12:13], s[6:7]
	s_load_dwordx2 s[6:7], s[0:1], 0x68
	v_mov_b64_e32 v[10:11], 0
	v_mov_b64_e32 v[8:9], 0
	s_xor_b64 exec, exec, s[12:13]
	s_cbranch_execz .LBB155_9
; %bb.8:
	s_lshl_b64 s[14:15], s[18:19], 3
	s_add_u32 s8, s8, s14
	s_addc_u32 s9, s9, s15
	s_load_dwordx2 s[8:9], s[8:9], 0x0
	s_lshl_b64 s[10:11], s[10:11], 3
	s_waitcnt lgkmcnt(0)
	s_add_u32 s8, s8, s10
	s_addc_u32 s9, s9, s11
	v_mov_b64_e32 v[8:9], s[8:9]
.LBB155_9:
	s_or_b64 exec, exec, s[12:13]
	s_load_dwordx4 s[8:11], s[0:1], 0x38
	s_load_dwordx2 s[12:13], s[0:1], 0x48
	s_and_saveexec_b64 s[14:15], s[4:5]
	s_cbranch_execz .LBB155_11
; %bb.10:
	s_waitcnt lgkmcnt(0)
	v_mov_b32_e32 v10, s8
	v_mov_b32_e32 v11, s9
	v_lshl_add_u64 v[10:11], v[6:7], 3, v[10:11]
	global_load_dwordx2 v[10:11], v[10:11], off
	s_waitcnt vmcnt(0)
	v_lshl_add_u64 v[10:11], s[10:11], 3, v[10:11]
.LBB155_11:
	s_or_b64 exec, exec, s[14:15]
	s_waitcnt lgkmcnt(0)
	v_lshl_add_u64 v[6:7], v[6:7], 3, s[6:7]
	global_load_dwordx2 v[6:7], v[6:7], off
	s_load_dwordx4 s[4:7], s[0:1], 0x70
	s_lshl_b32 s8, s2, 5
	s_ashr_i32 s9, s8, 31
	v_and_b32_e32 v18, 0x3ff, v0
	v_bfe_u32 v19, v0, 10, 10
	s_waitcnt lgkmcnt(0)
	s_mul_i32 s0, s6, s9
	s_mul_hi_u32 s1, s6, s8
	s_mul_i32 s2, s7, s8
	s_add_i32 s0, s1, s0
	s_add_i32 s1, s0, s2
	s_mul_i32 s0, s6, s8
	s_waitcnt vmcnt(0)
	v_lshl_add_u64 v[0:1], s[4:5], 3, v[6:7]
	v_lshl_add_u64 v[0:1], s[0:1], 3, v[0:1]
	s_and_saveexec_b64 s[0:1], vcc
	s_xor_b64 s[0:1], exec, s[0:1]
	s_cbranch_execz .LBB155_15
; %bb.12:
	v_cmp_eq_u32_e32 vcc, 0, v19
	s_and_saveexec_b64 s[2:3], vcc
	s_cbranch_execz .LBB155_14
; %bb.13:
	v_mad_u64_u32 v[2:3], s[4:5], s6, v18, 0
	v_mov_b32_e32 v6, v3
	v_mad_u64_u32 v[6:7], s[4:5], s7, v18, v[6:7]
	v_mov_b32_e32 v3, v6
	v_lshl_add_u64 v[0:1], v[2:3], 3, v[0:1]
	flat_load_dwordx2 v[2:3], v[0:1]
	s_waitcnt vmcnt(0) lgkmcnt(0)
	v_mul_f64 v[2:3], v[4:5], v[2:3]
	flat_store_dwordx2 v[0:1], v[2:3]
.LBB155_14:
	s_or_b64 exec, exec, s[2:3]
                                        ; implicit-def: $vgpr19
                                        ; implicit-def: $vgpr18
                                        ; implicit-def: $vgpr2_vgpr3
                                        ; implicit-def: $vgpr4_vgpr5
                                        ; implicit-def: $vgpr0_vgpr1
                                        ; implicit-def: $vgpr8_vgpr9
                                        ; implicit-def: $vgpr10_vgpr11
.LBB155_15:
	s_andn2_saveexec_b64 s[0:1], s[0:1]
	s_cbranch_execz .LBB155_39
; %bb.16:
	v_cmp_eq_u32_e32 vcc, 0, v19
	v_mov_b64_e32 v[6:7], 0
	s_and_saveexec_b64 s[2:3], vcc
	s_cbranch_execz .LBB155_20
; %bb.17:
	v_mov_b64_e32 v[6:7], 0
	v_cmp_neq_f64_e64 s[0:1], 0, v[4:5]
	s_and_saveexec_b64 s[4:5], s[0:1]
	s_cbranch_execz .LBB155_19
; %bb.18:
	v_mad_u64_u32 v[6:7], s[0:1], s6, v18, 0
	v_mov_b32_e32 v12, v7
	v_mad_u64_u32 v[12:13], s[0:1], s7, v18, v[12:13]
	v_mov_b32_e32 v7, v12
	v_lshl_add_u64 v[6:7], v[6:7], 3, v[0:1]
	flat_load_dwordx2 v[6:7], v[6:7]
	s_waitcnt vmcnt(0) lgkmcnt(0)
	v_mul_f64 v[6:7], v[4:5], v[6:7]
.LBB155_19:
	s_or_b64 exec, exec, s[4:5]
	s_mul_i32 s0, s12, s9
	s_mul_hi_u32 s1, s12, s8
	s_add_i32 s0, s1, s0
	s_mul_i32 s1, s13, s8
	s_add_i32 s1, s0, s1
	s_mul_i32 s0, s12, s8
	v_lshl_add_u64 v[10:11], s[0:1], 3, v[10:11]
	v_mad_u64_u32 v[12:13], s[0:1], s12, v18, 0
	v_mov_b32_e32 v14, v13
	v_mad_u64_u32 v[14:15], s[0:1], s13, v18, v[14:15]
	v_mov_b32_e32 v13, v14
	v_lshl_add_u64 v[10:11], v[12:13], 3, v[10:11]
	flat_load_dwordx2 v[10:11], v[10:11]
	v_lshlrev_b32_e32 v12, 3, v18
	s_waitcnt vmcnt(0) lgkmcnt(0)
	ds_write_b64 v12, v[10:11] offset:10240
.LBB155_20:
	s_or_b64 exec, exec, s[2:3]
	s_add_u32 s0, s16, 1
	s_addc_u32 s1, s17, 0
	s_mul_i32 s2, s0, s9
	s_mul_hi_u32 s3, s0, s8
	s_add_i32 s2, s3, s2
	s_mul_i32 s1, s1, s8
	s_add_i32 s1, s2, s1
	s_mul_i32 s0, s0, s8
	v_lshl_add_u64 v[8:9], s[0:1], 3, v[8:9]
	v_mad_u64_u32 v[10:11], s[0:1], s16, v19, 0
	v_mov_b32_e32 v12, v11
	v_mad_u64_u32 v[12:13], s[0:1], s17, v19, v[12:13]
	v_mov_b32_e32 v11, v12
	v_lshl_add_u64 v[10:11], v[10:11], 3, v[8:9]
	v_lshlrev_b32_e32 v8, 3, v18
	v_mov_b32_e32 v9, 0
	v_cmp_lt_u32_e64 s[0:1], 15, v18
	s_mul_i32 s10, s17, 12
	s_mul_hi_u32 s11, s16, 12
	s_mul_i32 s2, s16, 12
                                        ; implicit-def: $sgpr4_sgpr5
                                        ; implicit-def: $sgpr8_sgpr9
	s_and_saveexec_b64 s[12:13], s[0:1]
	s_xor_b64 s[0:1], exec, s[12:13]
; %bb.21:
	s_lshl_b64 s[4:5], s[16:17], 2
	s_lshl_b64 s[8:9], s[16:17], 3
	s_add_i32 s3, s11, s10
; %bb.22:
	s_or_saveexec_b64 s[0:1], s[0:1]
	v_lshl_add_u64 v[10:11], v[10:11], 0, v[8:9]
	v_mov_b64_e32 v[12:13], s[2:3]
	v_mov_b64_e32 v[14:15], s[8:9]
	;; [unrolled: 1-line block ×3, first 2 shown]
	v_lshlrev_b32_e32 v9, 8, v19
	s_xor_b64 exec, exec, s[0:1]
	s_cbranch_execz .LBB155_24
; %bb.23:
	s_lshl_b64 s[4:5], s[16:17], 5
	v_lshl_add_u64 v[12:13], v[10:11], 0, s[4:5]
	v_lshl_add_u64 v[14:15], v[12:13], 0, s[4:5]
	;; [unrolled: 1-line block ×3, first 2 shown]
	flat_load_dwordx2 v[20:21], v[10:11]
	flat_load_dwordx2 v[22:23], v[12:13]
	;; [unrolled: 1-line block ×4, first 2 shown]
	v_lshl_add_u32 v16, v18, 3, v9
	s_lshl_b64 s[4:5], s[16:17], 2
	s_lshl_b64 s[8:9], s[16:17], 3
	s_add_i32 s3, s11, s10
	v_mov_b64_e32 v[12:13], s[2:3]
	v_mov_b64_e32 v[14:15], s[8:9]
	s_waitcnt vmcnt(0) lgkmcnt(0)
	ds_write2st64_b64 v16, v[20:21], v[22:23] offset1:2
	ds_write2st64_b64 v16, v[24:25], v[26:27] offset0:4 offset1:6
	v_mov_b64_e32 v[16:17], s[4:5]
.LBB155_24:
	s_or_b64 exec, exec, s[0:1]
	s_lshl_b64 s[0:1], s[16:17], 7
	v_lshl_add_u64 v[10:11], v[10:11], 0, s[0:1]
	v_lshl_add_u64 v[16:17], v[16:17], 3, v[10:11]
	;; [unrolled: 1-line block ×4, first 2 shown]
	flat_load_dwordx2 v[20:21], v[10:11]
	flat_load_dwordx2 v[22:23], v[16:17]
	;; [unrolled: 1-line block ×4, first 2 shown]
	v_sub_u32_e32 v13, v18, v19
	s_movk_i32 s0, 0xf8
	v_sub_u32_e32 v14, 0, v13
	v_add_u32_e32 v10, 0x1000, v9
	v_add_u32_e32 v11, 0x1400, v9
	;; [unrolled: 1-line block ×4, first 2 shown]
	v_mad_u32_u24 v16, v18, s0, v8
	v_max_i32_e32 v15, v13, v14
	v_add_u32_e32 v10, v8, v10
	v_add_u32_e32 v11, v8, v11
	;; [unrolled: 1-line block ×4, first 2 shown]
	v_cmp_lt_u32_e64 s[0:1], 16, v15
	v_lshl_add_u32 v14, v19, 3, v16
	s_waitcnt vmcnt(0) lgkmcnt(0)
	ds_write_b64 v10, v[20:21]
	ds_write_b64 v11, v[22:23]
	;; [unrolled: 1-line block ×4, first 2 shown]
	s_waitcnt lgkmcnt(0)
	s_barrier
	s_and_saveexec_b64 s[2:3], s[0:1]
	s_cbranch_execnz .LBB155_40
; %bb.25:
	s_or_b64 exec, exec, s[2:3]
	v_cmp_lt_u32_e64 s[0:1], 20, v15
	s_and_saveexec_b64 s[2:3], s[0:1]
	s_cbranch_execnz .LBB155_41
.LBB155_26:
	s_or_b64 exec, exec, s[2:3]
	v_cmp_lt_u32_e64 s[0:1], 24, v15
	s_and_saveexec_b64 s[2:3], s[0:1]
	s_cbranch_execnz .LBB155_42
.LBB155_27:
	s_or_b64 exec, exec, s[2:3]
	v_cmp_lt_u32_e64 s[0:1], 28, v15
	s_and_saveexec_b64 s[2:3], s[0:1]
	s_cbranch_execz .LBB155_29
.LBB155_28:
	ds_read_b64 v[16:17], v14 offset:224
	s_waitcnt lgkmcnt(0)
	ds_write_b64 v9, v[16:17]
.LBB155_29:
	s_or_b64 exec, exec, s[2:3]
	v_lshlrev_b32_e32 v13, 5, v19
	v_cmp_ge_u32_e64 s[0:1], v18, v19
	s_and_saveexec_b64 s[2:3], s[0:1]
	s_cbranch_execz .LBB155_31
; %bb.30:
	ds_read_b64 v[16:17], v14
	v_lshl_add_u32 v20, v13, 3, v8
	s_waitcnt lgkmcnt(0)
	ds_write_b64 v20, v[16:17]
.LBB155_31:
	s_or_b64 exec, exec, s[2:3]
	v_cmp_lt_u32_e64 s[0:1], 4, v15
	v_lshl_add_u32 v16, v19, 8, v8
	s_and_saveexec_b64 s[2:3], s[0:1]
	s_cbranch_execz .LBB155_33
; %bb.32:
	ds_read_b64 v[20:21], v14 offset:32
	s_waitcnt lgkmcnt(0)
	ds_write_b64 v16, v[20:21] offset:1024
.LBB155_33:
	s_or_b64 exec, exec, s[2:3]
	v_cmp_lt_u32_e64 s[0:1], 8, v15
	s_and_saveexec_b64 s[2:3], s[0:1]
	s_cbranch_execz .LBB155_35
; %bb.34:
	ds_read_b64 v[20:21], v14 offset:64
	s_waitcnt lgkmcnt(0)
	ds_write_b64 v16, v[20:21] offset:2048
.LBB155_35:
	s_or_b64 exec, exec, s[2:3]
	v_cmp_lt_u32_e64 s[0:1], 12, v15
	v_mov_b32_e32 v15, 0xc00
	v_lshl_add_u32 v15, v19, 8, v15
	v_add_u32_e32 v15, v8, v15
	s_and_saveexec_b64 s[2:3], s[0:1]
	s_cbranch_execz .LBB155_37
; %bb.36:
	ds_read_b64 v[20:21], v14 offset:96
	s_waitcnt lgkmcnt(0)
	ds_write_b64 v15, v[20:21]
.LBB155_37:
	s_or_b64 exec, exec, s[2:3]
	s_waitcnt lgkmcnt(0)
	s_barrier
	ds_read2st64_b64 v[20:23], v16 offset1:2
	v_lshlrev_b32_e32 v14, 3, v19
	v_add_u32_e32 v19, 0x2800, v14
	ds_read2_b64 v[24:27], v19 offset1:4
	ds_read_b64 v[16:17], v16 offset:2048
	ds_read2_b64 v[28:31], v19 offset0:8 offset1:12
	s_waitcnt lgkmcnt(2)
	v_fma_f64 v[24:25], v[20:21], v[24:25], 0
	v_fmac_f64_e32 v[24:25], v[22:23], v[26:27]
	ds_read_b64 v[26:27], v15
	s_waitcnt lgkmcnt(1)
	v_fmac_f64_e32 v[24:25], v[16:17], v[28:29]
	ds_read2_b64 v[14:17], v19 offset0:16 offset1:20
	ds_read2_b64 v[20:23], v19 offset0:24 offset1:28
	ds_read_b64 v[28:29], v10
	ds_read_b64 v[10:11], v11
	;; [unrolled: 1-line block ×4, first 2 shown]
	v_add_lshl_u32 v9, v13, v18, 3
	s_waitcnt lgkmcnt(6)
	v_fmac_f64_e32 v[24:25], v[26:27], v[30:31]
	s_waitcnt lgkmcnt(3)
	v_fmac_f64_e32 v[24:25], v[28:29], v[14:15]
	;; [unrolled: 2-line block ×5, first 2 shown]
	ds_write_b64 v9, v[24:25] offset:8192
	s_waitcnt lgkmcnt(0)
	s_barrier
	s_and_saveexec_b64 s[0:1], vcc
	s_cbranch_execz .LBB155_39
; %bb.38:
	v_add_u32_e32 v12, 0x2000, v8
	ds_read2_b64 v[8:11], v12 offset1:32
	ds_read2_b64 v[12:15], v12 offset0:64 offset1:96
	v_cmp_neq_f64_e32 vcc, 0, v[4:5]
	v_mad_u64_u32 v[4:5], s[0:1], s6, v18, 0
	s_waitcnt lgkmcnt(1)
	v_add_f64 v[8:9], v[8:9], 0
	v_add_f64 v[8:9], v[8:9], v[10:11]
	s_waitcnt lgkmcnt(0)
	v_add_f64 v[8:9], v[8:9], v[12:13]
	v_add_f64 v[8:9], v[8:9], v[14:15]
	v_mul_f64 v[10:11], v[2:3], v[8:9]
	v_fmac_f64_e32 v[6:7], v[2:3], v[8:9]
	v_cndmask_b32_e32 v2, v10, v6, vcc
	v_mov_b32_e32 v6, v5
	v_cndmask_b32_e32 v3, v11, v7, vcc
	v_mad_u64_u32 v[6:7], s[0:1], s7, v18, v[6:7]
	v_mov_b32_e32 v5, v6
	v_lshl_add_u64 v[0:1], v[4:5], 3, v[0:1]
	flat_store_dwordx2 v[0:1], v[2:3]
.LBB155_39:
	s_endpgm
.LBB155_40:
	ds_read_b64 v[16:17], v14 offset:128
	s_waitcnt lgkmcnt(0)
	ds_write_b64 v10, v[16:17]
	s_or_b64 exec, exec, s[2:3]
	v_cmp_lt_u32_e64 s[0:1], 20, v15
	s_and_saveexec_b64 s[2:3], s[0:1]
	s_cbranch_execz .LBB155_26
.LBB155_41:
	ds_read_b64 v[16:17], v14 offset:160
	s_waitcnt lgkmcnt(0)
	ds_write_b64 v11, v[16:17]
	s_or_b64 exec, exec, s[2:3]
	v_cmp_lt_u32_e64 s[0:1], 24, v15
	s_and_saveexec_b64 s[2:3], s[0:1]
	s_cbranch_execz .LBB155_27
.LBB155_42:
	ds_read_b64 v[16:17], v14 offset:192
	s_waitcnt lgkmcnt(0)
	ds_write_b64 v12, v[16:17]
	s_or_b64 exec, exec, s[2:3]
	v_cmp_lt_u32_e64 s[0:1], 28, v15
	s_and_saveexec_b64 s[2:3], s[0:1]
	s_cbranch_execnz .LBB155_28
	s_branch .LBB155_29
	.section	.rodata,"a",@progbits
	.p2align	6, 0x0
	.amdhsa_kernel _ZL50rocblas_symv_kernel_upper_double_buffered_diagonalILi32ELi4E24rocblas_internal_val_ptrIdEPKPKdPKPdEvbiT1_lT2_lllSA_lllS9_lT3_llli
		.amdhsa_group_segment_fixed_size 10496
		.amdhsa_private_segment_fixed_size 0
		.amdhsa_kernarg_size 140
		.amdhsa_user_sgpr_count 2
		.amdhsa_user_sgpr_dispatch_ptr 0
		.amdhsa_user_sgpr_queue_ptr 0
		.amdhsa_user_sgpr_kernarg_segment_ptr 1
		.amdhsa_user_sgpr_dispatch_id 0
		.amdhsa_user_sgpr_kernarg_preload_length 0
		.amdhsa_user_sgpr_kernarg_preload_offset 0
		.amdhsa_user_sgpr_private_segment_size 0
		.amdhsa_uses_dynamic_stack 0
		.amdhsa_enable_private_segment 0
		.amdhsa_system_sgpr_workgroup_id_x 1
		.amdhsa_system_sgpr_workgroup_id_y 0
		.amdhsa_system_sgpr_workgroup_id_z 1
		.amdhsa_system_sgpr_workgroup_info 0
		.amdhsa_system_vgpr_workitem_id 1
		.amdhsa_next_free_vgpr 36
		.amdhsa_next_free_sgpr 24
		.amdhsa_accum_offset 36
		.amdhsa_reserve_vcc 1
		.amdhsa_float_round_mode_32 0
		.amdhsa_float_round_mode_16_64 0
		.amdhsa_float_denorm_mode_32 3
		.amdhsa_float_denorm_mode_16_64 3
		.amdhsa_dx10_clamp 1
		.amdhsa_ieee_mode 1
		.amdhsa_fp16_overflow 0
		.amdhsa_tg_split 0
		.amdhsa_exception_fp_ieee_invalid_op 0
		.amdhsa_exception_fp_denorm_src 0
		.amdhsa_exception_fp_ieee_div_zero 0
		.amdhsa_exception_fp_ieee_overflow 0
		.amdhsa_exception_fp_ieee_underflow 0
		.amdhsa_exception_fp_ieee_inexact 0
		.amdhsa_exception_int_div_zero 0
	.end_amdhsa_kernel
	.section	.text._ZL50rocblas_symv_kernel_upper_double_buffered_diagonalILi32ELi4E24rocblas_internal_val_ptrIdEPKPKdPKPdEvbiT1_lT2_lllSA_lllS9_lT3_llli,"axG",@progbits,_ZL50rocblas_symv_kernel_upper_double_buffered_diagonalILi32ELi4E24rocblas_internal_val_ptrIdEPKPKdPKPdEvbiT1_lT2_lllSA_lllS9_lT3_llli,comdat
.Lfunc_end155:
	.size	_ZL50rocblas_symv_kernel_upper_double_buffered_diagonalILi32ELi4E24rocblas_internal_val_ptrIdEPKPKdPKPdEvbiT1_lT2_lllSA_lllS9_lT3_llli, .Lfunc_end155-_ZL50rocblas_symv_kernel_upper_double_buffered_diagonalILi32ELi4E24rocblas_internal_val_ptrIdEPKPKdPKPdEvbiT1_lT2_lllSA_lllS9_lT3_llli
                                        ; -- End function
	.set _ZL50rocblas_symv_kernel_upper_double_buffered_diagonalILi32ELi4E24rocblas_internal_val_ptrIdEPKPKdPKPdEvbiT1_lT2_lllSA_lllS9_lT3_llli.num_vgpr, 36
	.set _ZL50rocblas_symv_kernel_upper_double_buffered_diagonalILi32ELi4E24rocblas_internal_val_ptrIdEPKPKdPKPdEvbiT1_lT2_lllSA_lllS9_lT3_llli.num_agpr, 0
	.set _ZL50rocblas_symv_kernel_upper_double_buffered_diagonalILi32ELi4E24rocblas_internal_val_ptrIdEPKPKdPKPdEvbiT1_lT2_lllSA_lllS9_lT3_llli.numbered_sgpr, 24
	.set _ZL50rocblas_symv_kernel_upper_double_buffered_diagonalILi32ELi4E24rocblas_internal_val_ptrIdEPKPKdPKPdEvbiT1_lT2_lllSA_lllS9_lT3_llli.num_named_barrier, 0
	.set _ZL50rocblas_symv_kernel_upper_double_buffered_diagonalILi32ELi4E24rocblas_internal_val_ptrIdEPKPKdPKPdEvbiT1_lT2_lllSA_lllS9_lT3_llli.private_seg_size, 0
	.set _ZL50rocblas_symv_kernel_upper_double_buffered_diagonalILi32ELi4E24rocblas_internal_val_ptrIdEPKPKdPKPdEvbiT1_lT2_lllSA_lllS9_lT3_llli.uses_vcc, 1
	.set _ZL50rocblas_symv_kernel_upper_double_buffered_diagonalILi32ELi4E24rocblas_internal_val_ptrIdEPKPKdPKPdEvbiT1_lT2_lllSA_lllS9_lT3_llli.uses_flat_scratch, 0
	.set _ZL50rocblas_symv_kernel_upper_double_buffered_diagonalILi32ELi4E24rocblas_internal_val_ptrIdEPKPKdPKPdEvbiT1_lT2_lllSA_lllS9_lT3_llli.has_dyn_sized_stack, 0
	.set _ZL50rocblas_symv_kernel_upper_double_buffered_diagonalILi32ELi4E24rocblas_internal_val_ptrIdEPKPKdPKPdEvbiT1_lT2_lllSA_lllS9_lT3_llli.has_recursion, 0
	.set _ZL50rocblas_symv_kernel_upper_double_buffered_diagonalILi32ELi4E24rocblas_internal_val_ptrIdEPKPKdPKPdEvbiT1_lT2_lllSA_lllS9_lT3_llli.has_indirect_call, 0
	.section	.AMDGPU.csdata,"",@progbits
; Kernel info:
; codeLenInByte = 1960
; TotalNumSgprs: 30
; NumVgprs: 36
; NumAgprs: 0
; TotalNumVgprs: 36
; ScratchSize: 0
; MemoryBound: 0
; FloatMode: 240
; IeeeMode: 1
; LDSByteSize: 10496 bytes/workgroup (compile time only)
; SGPRBlocks: 3
; VGPRBlocks: 4
; NumSGPRsForWavesPerEU: 30
; NumVGPRsForWavesPerEU: 36
; AccumOffset: 36
; Occupancy: 8
; WaveLimiterHint : 1
; COMPUTE_PGM_RSRC2:SCRATCH_EN: 0
; COMPUTE_PGM_RSRC2:USER_SGPR: 2
; COMPUTE_PGM_RSRC2:TRAP_HANDLER: 0
; COMPUTE_PGM_RSRC2:TGID_X_EN: 1
; COMPUTE_PGM_RSRC2:TGID_Y_EN: 0
; COMPUTE_PGM_RSRC2:TGID_Z_EN: 1
; COMPUTE_PGM_RSRC2:TIDIG_COMP_CNT: 1
; COMPUTE_PGM_RSRC3_GFX90A:ACCUM_OFFSET: 8
; COMPUTE_PGM_RSRC3_GFX90A:TG_SPLIT: 0
	.section	.text._ZL54rocblas_symv_kernel_upper_double_buffered_non_diagonalILi32ELi4ELi4E24rocblas_internal_val_ptrIdEPKPKdPKPdEvbiT2_lT3_lllSA_lllT4_llli,"axG",@progbits,_ZL54rocblas_symv_kernel_upper_double_buffered_non_diagonalILi32ELi4ELi4E24rocblas_internal_val_ptrIdEPKPKdPKPdEvbiT2_lT3_lllSA_lllT4_llli,comdat
	.globl	_ZL54rocblas_symv_kernel_upper_double_buffered_non_diagonalILi32ELi4ELi4E24rocblas_internal_val_ptrIdEPKPKdPKPdEvbiT2_lT3_lllSA_lllT4_llli ; -- Begin function _ZL54rocblas_symv_kernel_upper_double_buffered_non_diagonalILi32ELi4ELi4E24rocblas_internal_val_ptrIdEPKPKdPKPdEvbiT2_lT3_lllSA_lllT4_llli
	.p2align	8
	.type	_ZL54rocblas_symv_kernel_upper_double_buffered_non_diagonalILi32ELi4ELi4E24rocblas_internal_val_ptrIdEPKPKdPKPdEvbiT2_lT3_lllSA_lllT4_llli,@function
_ZL54rocblas_symv_kernel_upper_double_buffered_non_diagonalILi32ELi4ELi4E24rocblas_internal_val_ptrIdEPKPKdPKPdEvbiT2_lT3_lllSA_lllT4_llli: ; @_ZL54rocblas_symv_kernel_upper_double_buffered_non_diagonalILi32ELi4ELi4E24rocblas_internal_val_ptrIdEPKPKdPKPdEvbiT2_lT3_lllSA_lllT4_llli
; %bb.0:
	s_load_dword s5, s[0:1], 0x0
	s_load_dwordx8 s[8:15], s[0:1], 0x8
	s_load_dwordx2 s[16:17], s[0:1], 0x28
	s_waitcnt lgkmcnt(0)
	s_bitcmp1_b32 s5, 0
	s_cselect_b64 s[6:7], -1, 0
	s_and_b64 vcc, exec, s[6:7]
	v_mov_b64_e32 v[2:3], s[8:9]
	s_cbranch_vccnz .LBB156_2
; %bb.1:
	s_mul_i32 s5, s11, s4
	s_mul_hi_u32 s6, s10, s4
	s_add_i32 s7, s6, s5
	s_mul_i32 s6, s10, s4
	s_lshl_b64 s[6:7], s[6:7], 3
	s_add_u32 s6, s8, s6
	s_addc_u32 s7, s9, s7
	v_mov_b64_e32 v[2:3], s[6:7]
	flat_load_dwordx2 v[2:3], v[2:3]
.LBB156_2:
	s_waitcnt vmcnt(0) lgkmcnt(0)
	v_cmp_neq_f64_e32 vcc, 0, v[2:3]
	s_and_saveexec_b64 s[6:7], vcc
	s_cbranch_execz .LBB156_23
; %bb.3:
	s_load_dword s6, s[0:1], 0x84
	s_mov_b32 s5, 0
	s_cmp_eq_u32 s2, 0
	s_waitcnt lgkmcnt(0)
	v_cvt_f32_u32_e32 v1, s6
	v_rcp_iflag_f32_e32 v1, v1
	s_nop 0
	v_mul_f32_e32 v1, 0x4f7ffffe, v1
	v_cvt_u32_f32_e32 v1, v1
	s_nop 0
	v_readfirstlane_b32 s7, v1
	s_cbranch_scc1 .LBB156_23
; %bb.4:
	s_sub_i32 s8, 0, s6
	s_mul_i32 s8, s8, s7
	s_mul_hi_u32 s8, s7, s8
	s_load_dwordx4 s[24:27], s[0:1], 0x38
	s_load_dwordx2 s[10:11], s[0:1], 0x48
	s_add_i32 s7, s7, s8
	s_lshl_b64 s[4:5], s[4:5], 3
	s_add_u32 s20, s12, s4
	s_addc_u32 s21, s13, s5
	s_waitcnt lgkmcnt(0)
	s_add_u32 s8, s24, s4
	s_addc_u32 s9, s25, s5
	s_load_dwordx2 s[18:19], s[8:9], 0x0
	s_load_dwordx2 s[22:23], s[0:1], 0x58
	s_lshl_b64 s[12:13], s[26:27], 3
	v_and_b32_e32 v60, 0x3ff, v0
	v_bfe_u32 v0, v0, 10, 10
	s_waitcnt lgkmcnt(0)
	s_add_u32 s28, s18, s12
	s_addc_u32 s29, s19, s13
	s_add_u32 s22, s22, s4
	s_addc_u32 s23, s23, s5
	s_lshl_b32 s8, s2, 5
	s_mul_hi_u32 s7, s2, s7
	s_ashr_i32 s9, s8, 31
	v_cmp_eq_u32_e32 vcc, 0, v0
	s_and_saveexec_b64 s[4:5], vcc
	s_cbranch_execz .LBB156_6
; %bb.5:
	s_mul_i32 s24, s10, s9
	s_mul_hi_u32 s25, s10, s8
	s_add_i32 s24, s25, s24
	s_mul_i32 s25, s11, s8
	s_add_i32 s25, s24, s25
	s_mul_i32 s24, s10, s8
	v_mad_u64_u32 v[4:5], s[26:27], s10, v60, 0
	s_lshl_b64 s[24:25], s[24:25], 3
	v_mov_b32_e32 v6, v5
	s_add_u32 s24, s28, s24
	v_mad_u64_u32 v[6:7], s[26:27], s11, v60, v[6:7]
	s_addc_u32 s25, s29, s25
	v_mov_b32_e32 v5, v6
	v_lshl_add_u64 v[4:5], v[4:5], 3, s[24:25]
	flat_load_dwordx2 v[4:5], v[4:5]
	v_lshlrev_b32_e32 v1, 3, v60
	s_waitcnt vmcnt(0) lgkmcnt(0)
	ds_write_b64 v1, v[4:5] offset:6144
.LBB156_6:
	s_or_b64 exec, exec, s[4:5]
	s_mul_i32 s4, s7, s6
	s_sub_i32 s4, s2, s4
	s_add_i32 s5, s7, 1
	s_sub_i32 s24, s4, s6
	s_cmp_ge_u32 s4, s6
	s_cselect_b32 s5, s5, s7
	s_cselect_b32 s4, s24, s4
	s_add_i32 s7, s5, 1
	s_cmp_ge_u32 s4, s6
	s_cselect_b32 s24, s7, s5
	s_add_i32 s4, s6, -1
	s_cmp_lg_u32 s3, s4
	s_mov_b32 s37, s24
	s_cbranch_scc1 .LBB156_8
; %bb.7:
	s_mul_i32 s4, s24, s6
	s_sub_i32 s2, s2, s4
	s_add_i32 s37, s2, s24
.LBB156_8:
	s_cmp_eq_u32 s37, 0
	s_cbranch_scc1 .LBB156_23
; %bb.9:
	s_load_dwordx4 s[4:7], s[0:1], 0x60
	s_load_dwordx2 s[26:27], s[22:23], 0x0
	v_lshl_add_u32 v8, v0, 5, v60
	v_and_b32_e32 v0, 15, v60
	v_lshrrev_b32_e32 v61, 4, v8
	s_waitcnt lgkmcnt(0)
	s_lshl_b64 s[0:1], s[4:5], 3
	s_add_u32 s33, s26, s0
	s_addc_u32 s34, s27, s1
	s_cmp_lt_i32 s37, 1
	s_barrier
	s_cbranch_scc1 .LBB156_16
; %bb.10:
	s_load_dwordx2 s[20:21], s[20:21], 0x0
	s_mul_i32 s3, s3, s24
	s_lshl_b32 s4, s3, 5
	s_lshl_b64 s[24:25], s[14:15], 3
	s_ashr_i32 s5, s4, 31
	s_waitcnt lgkmcnt(0)
	s_add_u32 s2, s20, s24
	s_mul_i32 s0, s16, s9
	s_mul_hi_u32 s1, s16, s8
	s_addc_u32 s3, s21, s25
	s_add_i32 s0, s1, s0
	s_mul_i32 s1, s17, s8
	s_add_i32 s1, s0, s1
	s_mul_i32 s0, s16, s8
	s_lshl_b64 s[0:1], s[0:1], 3
	s_add_u32 s35, s2, s0
	v_lshlrev_b32_e32 v5, 2, v61
	v_mov_b32_e32 v1, 0
	s_addc_u32 s36, s3, s1
	v_mad_u64_u32 v[6:7], s[0:1], s16, v5, v[0:1]
	s_lshl_b64 s[2:3], s[4:5], 3
	v_mov_b32_e32 v4, v7
	s_add_u32 s22, s35, s2
	v_mad_u64_u32 v[4:5], s[0:1], s17, v5, v[4:5]
	s_addc_u32 s23, s36, s3
	v_mov_b32_e32 v7, v4
	v_lshl_add_u64 v[4:5], v[6:7], 3, s[22:23]
	s_lshl_b64 s[0:1], s[16:17], 3
	v_lshl_add_u64 v[10:11], v[4:5], 0, s[0:1]
	v_lshl_add_u64 v[12:13], v[10:11], 0, s[0:1]
	;; [unrolled: 1-line block ×3, first 2 shown]
	flat_load_dwordx2 v[18:19], v[4:5]
	flat_load_dwordx2 v[20:21], v[10:11]
	;; [unrolled: 1-line block ×4, first 2 shown]
	v_mad_u64_u32 v[4:5], s[14:15], s10, v0, 0
	v_mov_b32_e32 v10, v5
	v_mad_u64_u32 v[10:11], s[14:15], s11, v0, v[10:11]
	s_mul_i32 s14, s6, s5
	s_mul_hi_u32 s15, s6, s4
	s_add_i32 s14, s15, s14
	s_mul_i32 s15, s7, s4
	s_add_i32 s15, s14, s15
	s_mul_i32 s14, s6, s4
	s_lshl_b64 s[14:15], s[14:15], 3
	s_add_u32 s26, s33, s14
	s_mul_i32 s5, s10, s5
	s_mul_hi_u32 s14, s10, s4
	s_addc_u32 s27, s34, s15
	s_add_i32 s5, s14, s5
	s_mul_i32 s14, s11, s4
	s_add_i32 s5, s5, s14
	s_mul_i32 s4, s10, s4
	s_lshl_b64 s[30:31], s[4:5], 3
	s_add_u32 s28, s28, s30
	v_mov_b32_e32 v5, v10
	s_addc_u32 s29, s29, s31
	v_lshl_add_u64 v[4:5], v[4:5], 3, s[28:29]
	flat_load_dwordx2 v[26:27], v[4:5]
	v_mov_b32_e32 v4, 0x1000
	v_mov_b32_e32 v5, 0x1800
	v_lshl_or_b32 v63, v0, 3, v4
	v_lshl_add_u32 v65, v61, 5, v5
	v_lshl_add_u32 v62, v60, 3, v4
	v_mad_u64_u32 v[4:5], s[4:5], s6, v60, 0
	v_mov_b32_e32 v10, v5
	v_mad_u64_u32 v[10:11], s[4:5], s7, v60, v[10:11]
	v_lshlrev_b32_e32 v64, 8, v61
	v_mov_b32_e32 v5, v10
	v_mov_b64_e32 v[10:11], 0
	s_cmp_eq_u32 s37, 1
	s_cbranch_scc1 .LBB156_17
; %bb.11:
	v_lshlrev_b32_e32 v8, 1, v8
	v_and_b32_e32 v8, 0x1ffe0, v8
	v_mov_b32_e32 v9, v1
	v_lshl_add_u64 v[8:9], s[8:9], 3, v[8:9]
	v_mov_b64_e32 v[10:11], s[24:25]
	v_mad_u64_u32 v[12:13], s[22:23], s16, v8, v[10:11]
	v_mul_lo_u32 v14, s16, v9
	v_mul_lo_u32 v15, s17, v8
	v_add3_u32 v13, v15, v13, v14
	v_lshlrev_b32_e32 v14, 3, v0
	v_mov_b32_e32 v15, v1
	v_lshl_add_u64 v[12:13], v[12:13], 0, v[14:15]
	v_lshl_add_u64 v[28:29], s[20:21], 0, v[12:13]
	;; [unrolled: 1-line block ×3, first 2 shown]
	v_mad_u64_u32 v[16:17], s[22:23], s16, v12, v[10:11]
	v_mul_lo_u32 v1, s16, v13
	v_mul_lo_u32 v12, s17, v12
	v_add3_u32 v17, v12, v17, v1
	v_lshl_add_u64 v[12:13], v[16:17], 0, v[14:15]
	v_lshl_add_u64 v[32:33], s[20:21], 0, v[12:13]
	;; [unrolled: 1-line block ×3, first 2 shown]
	v_mad_u64_u32 v[16:17], s[22:23], s16, v12, v[10:11]
	v_mul_lo_u32 v1, s16, v13
	v_mul_lo_u32 v12, s17, v12
	v_lshl_add_u64 v[8:9], v[8:9], 0, 8
	v_add3_u32 v17, v12, v17, v1
	v_mad_u64_u32 v[10:11], s[22:23], s16, v8, v[10:11]
	v_mul_lo_u32 v1, s16, v9
	v_mul_lo_u32 v8, s17, v8
	v_add3_u32 v11, v8, v11, v1
	v_lshl_add_u64 v[12:13], v[16:17], 0, v[14:15]
	v_lshl_add_u64 v[8:9], v[10:11], 0, v[14:15]
	s_lshl_b64 s[4:5], s[10:11], 8
	s_lshl_b64 s[14:15], s[6:7], 8
	s_add_i32 s37, s37, -1
	v_lshl_add_u64 v[40:41], s[20:21], 0, v[12:13]
	v_lshl_add_u64 v[42:43], s[20:21], 0, v[8:9]
	;; [unrolled: 1-line block ×3, first 2 shown]
	s_mov_b64 s[20:21], 0x100
	s_add_u32 s24, s18, s30
	v_lshl_add_u64 v[10:11], v[8:9], 0, s[20:21]
	v_mov_b64_e32 v[12:13], s[18:19]
	s_addc_u32 s25, s19, s31
	v_mad_u64_u32 v[44:45], s[18:19], s10, v10, v[12:13]
	s_mov_b64 s[18:19], 0x80
	v_mul_lo_u32 v1, s10, v11
	v_mul_lo_u32 v11, s11, v10
	v_lshl_add_u64 v[8:9], v[8:9], 0, s[18:19]
	v_add3_u32 v45, v11, v45, v1
	v_mul_lo_u32 v1, s10, v9
	v_mul_lo_u32 v9, s11, v8
	v_mad_u64_u32 v[46:47], s[18:19], s10, v8, v[12:13]
	v_add3_u32 v47, v9, v47, v1
	v_mov_b64_e32 v[8:9], 0
	v_mov_b64_e32 v[16:17], s[26:27]
	;; [unrolled: 1-line block ×5, first 2 shown]
.LBB156_12:                             ; =>This Inner Loop Header: Depth=1
	v_lshl_add_u64 v[48:49], v[28:29], 0, s[2:3]
	flat_load_dwordx2 v[52:53], v[48:49] offset:128
	v_lshl_add_u64 v[66:67], v[42:43], 0, s[2:3]
	flat_load_dwordx2 v[54:55], v[66:67] offset:128
	v_lshl_add_u64 v[68:69], v[32:33], 0, s[2:3]
	v_lshl_add_u64 v[30:31], v[46:47], 0, s[12:13]
	flat_load_dwordx2 v[56:57], v[68:69] offset:128
	v_lshl_add_u64 v[70:71], v[40:41], 0, s[2:3]
	flat_load_dwordx2 v[50:51], v[30:31]
	flat_load_dwordx2 v[58:59], v[70:71] offset:128
	flat_load_dwordx2 v[38:39], v[48:49] offset:256
	;; [unrolled: 1-line block ×4, first 2 shown]
	s_nop 0
	flat_load_dwordx2 v[30:31], v[70:71] offset:256
	v_lshl_add_u64 v[48:49], v[44:45], 0, s[12:13]
	flat_load_dwordx2 v[48:49], v[48:49]
	ds_read_b128 v[66:69], v65
	ds_read_b128 v[70:73], v65 offset:16
	v_add_u32_e32 v1, v63, v64
	s_waitcnt lgkmcnt(0)
	s_barrier
	s_waitcnt vmcnt(0)
	v_fma_f64 v[74:75], v[18:19], v[66:67], 0
	v_fmac_f64_e32 v[74:75], v[20:21], v[68:69]
	v_fmac_f64_e32 v[74:75], v[22:23], v[70:71]
	;; [unrolled: 1-line block ×3, first 2 shown]
	v_fma_f64 v[66:67], v[52:53], v[66:67], 0
	v_fmac_f64_e32 v[66:67], v[54:55], v[68:69]
	v_fmac_f64_e32 v[66:67], v[56:57], v[70:71]
	;; [unrolled: 1-line block ×3, first 2 shown]
	ds_write2_b64 v1, v[74:75], v[66:67] offset1:16
	s_waitcnt lgkmcnt(0)
	s_barrier
	s_and_saveexec_b64 s[18:19], vcc
	s_cbranch_execz .LBB156_14
; %bb.13:                               ;   in Loop: Header=BB156_12 Depth=1
	ds_read2_b64 v[66:69], v62 offset1:32
	ds_read2_b64 v[70:73], v62 offset0:64 offset1:96
	ds_read2_b64 v[74:77], v62 offset0:128 offset1:160
	;; [unrolled: 1-line block ×3, first 2 shown]
	s_waitcnt lgkmcnt(3)
	v_add_f64 v[66:67], v[66:67], 0
	v_add_f64 v[66:67], v[66:67], v[68:69]
	s_waitcnt lgkmcnt(2)
	v_add_f64 v[66:67], v[66:67], v[70:71]
	v_add_f64 v[66:67], v[66:67], v[72:73]
	;; [unrolled: 3-line block ×4, first 2 shown]
	v_lshl_add_u64 v[68:69], v[4:5], 3, v[16:17]
	v_mul_f64 v[66:67], v[2:3], v[66:67]
	flat_atomic_add_f64 v[68:69], v[66:67]
	v_lshl_add_u64 v[16:17], v[16:17], 0, s[14:15]
.LBB156_14:                             ;   in Loop: Header=BB156_12 Depth=1
	s_or_b64 exec, exec, s[18:19]
	s_add_i32 s37, s37, -1
	s_add_u32 s35, s35, 0x100
	s_addc_u32 s36, s36, 0
	s_add_u32 s24, s24, s4
	s_addc_u32 s25, s25, s5
	;; [unrolled: 2-line block ×3, first 2 shown]
	s_add_u32 s22, s35, s2
	v_fmac_f64_e32 v[8:9], v[26:27], v[18:19]
	v_fmac_f64_e32 v[14:15], v[26:27], v[20:21]
	;; [unrolled: 1-line block ×4, first 2 shown]
	s_addc_u32 s23, s36, s3
	v_fmac_f64_e32 v[8:9], v[50:51], v[52:53]
	v_fmac_f64_e32 v[14:15], v[50:51], v[54:55]
	v_fmac_f64_e32 v[12:13], v[50:51], v[56:57]
	v_fmac_f64_e32 v[10:11], v[50:51], v[58:59]
	v_lshl_add_u64 v[28:29], v[28:29], 0, s[20:21]
	v_lshl_add_u64 v[32:33], v[32:33], 0, s[20:21]
	;; [unrolled: 1-line block ×5, first 2 shown]
	s_cmp_eq_u32 s37, 0
	v_lshl_add_u64 v[46:47], v[46:47], 0, s[4:5]
	s_cbranch_scc1 .LBB156_18
; %bb.15:                               ;   in Loop: Header=BB156_12 Depth=1
	v_mov_b64_e32 v[26:27], v[48:49]
	v_mov_b64_e32 v[18:19], v[38:39]
	;; [unrolled: 1-line block ×5, first 2 shown]
	s_branch .LBB156_12
.LBB156_16:
	v_mov_b64_e32 v[10:11], 0
	v_mov_b64_e32 v[12:13], 0
	;; [unrolled: 1-line block ×4, first 2 shown]
	s_branch .LBB156_21
.LBB156_17:
	v_mov_b64_e32 v[16:17], s[26:27]
	s_waitcnt vmcnt(0) lgkmcnt(0)
	v_mov_b64_e32 v[30:31], v[24:25]
	v_mov_b64_e32 v[34:35], v[22:23]
	;; [unrolled: 1-line block ×8, first 2 shown]
.LBB156_18:
	v_or_b32_e32 v1, 16, v0
	v_lshl_add_u64 v[28:29], v[6:7], 3, s[22:23]
	v_mad_u64_u32 v[24:25], s[2:3], s10, v1, 0
	v_lshl_add_u64 v[32:33], s[16:17], 3, v[28:29]
	v_mov_b32_e32 v26, v25
	v_lshl_add_u64 v[40:41], v[32:33], 0, s[0:1]
	v_lshl_add_u64 v[42:43], v[40:41], 0, s[0:1]
	v_mad_u64_u32 v[26:27], s[0:1], s11, v1, v[26:27]
	v_mov_b32_e32 v25, v26
	flat_load_dwordx2 v[22:23], v[28:29] offset:128
	flat_load_dwordx2 v[20:21], v[32:33] offset:128
	;; [unrolled: 1-line block ×4, first 2 shown]
	v_lshl_add_u64 v[24:25], v[24:25], 3, s[28:29]
	flat_load_dwordx2 v[24:25], v[24:25]
	ds_read_b128 v[26:29], v65
	ds_read_b128 v[40:43], v65 offset:16
	v_fmac_f64_e32 v[8:9], v[48:49], v[38:39]
	v_fmac_f64_e32 v[14:15], v[48:49], v[36:37]
	;; [unrolled: 1-line block ×3, first 2 shown]
	s_waitcnt lgkmcnt(0)
	v_fma_f64 v[32:33], v[38:39], v[26:27], 0
	v_fmac_f64_e32 v[32:33], v[36:37], v[28:29]
	v_fmac_f64_e32 v[32:33], v[34:35], v[40:41]
	;; [unrolled: 1-line block ×3, first 2 shown]
	v_add_u32_e32 v1, v63, v64
	v_fmac_f64_e32 v[32:33], v[30:31], v[42:43]
	s_barrier
	s_waitcnt vmcnt(0)
	v_fma_f64 v[26:27], v[22:23], v[26:27], 0
	v_fmac_f64_e32 v[26:27], v[20:21], v[28:29]
	v_fmac_f64_e32 v[26:27], v[18:19], v[40:41]
	;; [unrolled: 1-line block ×3, first 2 shown]
	ds_write2_b64 v1, v[32:33], v[26:27] offset1:16
	s_waitcnt lgkmcnt(0)
	s_barrier
	s_and_saveexec_b64 s[0:1], vcc
	s_cbranch_execz .LBB156_20
; %bb.19:
	ds_read2_b64 v[26:29], v62 offset1:32
	ds_read2_b64 v[30:33], v62 offset0:64 offset1:96
	ds_read2_b64 v[34:37], v62 offset0:128 offset1:160
	;; [unrolled: 1-line block ×3, first 2 shown]
	v_lshl_add_u64 v[4:5], v[4:5], 3, v[16:17]
	s_waitcnt lgkmcnt(3)
	v_add_f64 v[26:27], v[26:27], 0
	v_add_f64 v[26:27], v[26:27], v[28:29]
	s_waitcnt lgkmcnt(2)
	v_add_f64 v[26:27], v[26:27], v[30:31]
	v_add_f64 v[26:27], v[26:27], v[32:33]
	;; [unrolled: 3-line block ×4, first 2 shown]
	v_mul_f64 v[16:17], v[2:3], v[26:27]
	flat_atomic_add_f64 v[4:5], v[16:17]
.LBB156_20:
	s_or_b64 exec, exec, s[0:1]
	v_fmac_f64_e32 v[8:9], v[24:25], v[22:23]
	v_fmac_f64_e32 v[14:15], v[24:25], v[20:21]
	;; [unrolled: 1-line block ×4, first 2 shown]
.LBB156_21:
	v_lshlrev_b32_e32 v1, 9, v61
	v_lshl_or_b32 v1, v0, 3, v1
	ds_write2_b64 v1, v[8:9], v[14:15] offset1:16
	ds_write2_b64 v1, v[12:13], v[10:11] offset0:32 offset1:48
	s_waitcnt lgkmcnt(0)
	s_barrier
	s_and_b64 exec, exec, vcc
	s_cbranch_execz .LBB156_23
; %bb.22:
	v_add_u32_e32 v4, 1, v60
	v_lshlrev_b32_e32 v16, 7, v60
	v_and_b32_e32 v4, 15, v4
	v_lshl_or_b32 v6, v4, 3, v16
	v_add_u32_e32 v4, 2, v60
	v_and_b32_e32 v4, 15, v4
	v_lshl_or_b32 v1, v0, 3, v16
	v_lshl_or_b32 v8, v4, 3, v16
	ds_read_b64 v[4:5], v1
	ds_read_b64 v[6:7], v6
	;; [unrolled: 1-line block ×3, first 2 shown]
	v_add_u32_e32 v1, 3, v60
	v_and_b32_e32 v1, 15, v1
	s_waitcnt lgkmcnt(0)
	v_add_f64 v[4:5], v[4:5], 0
	v_add_f64 v[4:5], v[4:5], v[6:7]
	v_add_u32_e32 v6, 5, v60
	v_and_b32_e32 v6, 15, v6
	v_lshl_or_b32 v1, v1, 3, v16
	v_add_f64 v[4:5], v[4:5], v[8:9]
	v_lshl_or_b32 v8, v6, 3, v16
	v_add_u32_e32 v6, 6, v60
	ds_read_b64 v[10:11], v1
	v_and_b32_e32 v6, 15, v6
	v_add_u32_e32 v1, 4, v60
	v_lshl_or_b32 v12, v6, 3, v16
	v_add_u32_e32 v6, 7, v60
	v_and_b32_e32 v1, 15, v1
	v_and_b32_e32 v6, 15, v6
	v_lshl_or_b32 v1, v1, 3, v16
	v_lshl_or_b32 v14, v6, 3, v16
	ds_read_b64 v[6:7], v1
	ds_read_b64 v[8:9], v8
	ds_read_b64 v[12:13], v12
	ds_read_b64 v[14:15], v14
	v_add_u32_e32 v1, 9, v60
	s_waitcnt lgkmcnt(0)
	v_add_f64 v[4:5], v[4:5], v[10:11]
	v_and_b32_e32 v1, 15, v1
	v_add_f64 v[4:5], v[4:5], v[6:7]
	v_lshl_or_b32 v6, v1, 3, v16
	v_add_u32_e32 v1, 10, v60
	v_xor_b32_e32 v0, 8, v0
	v_and_b32_e32 v1, 15, v1
	v_add_f64 v[4:5], v[4:5], v[8:9]
	v_lshl_or_b32 v0, v0, 3, v16
	v_lshl_or_b32 v8, v1, 3, v16
	ds_read_b64 v[0:1], v0
	ds_read_b64 v[6:7], v6
	;; [unrolled: 1-line block ×3, first 2 shown]
	v_add_f64 v[4:5], v[4:5], v[12:13]
	v_add_f64 v[4:5], v[4:5], v[14:15]
	v_add_u32_e32 v10, 11, v60
	s_waitcnt lgkmcnt(0)
	v_add_f64 v[0:1], v[4:5], v[0:1]
	v_add_u32_e32 v5, 13, v60
	v_and_b32_e32 v10, 15, v10
	v_and_b32_e32 v5, 15, v5
	v_lshl_or_b32 v10, v10, 3, v16
	v_add_f64 v[0:1], v[0:1], v[6:7]
	v_lshl_or_b32 v6, v5, 3, v16
	v_add_u32_e32 v5, 14, v60
	ds_read_b64 v[10:11], v10
	v_and_b32_e32 v5, 15, v5
	v_add_f64 v[0:1], v[0:1], v[8:9]
	v_add_u32_e32 v4, 12, v60
	v_lshl_or_b32 v8, v5, 3, v16
	v_add_u32_e32 v5, -1, v60
	v_and_b32_e32 v4, 15, v4
	v_and_b32_e32 v5, 15, v5
	v_lshl_or_b32 v4, v4, 3, v16
	v_lshl_or_b32 v12, v5, 3, v16
	s_mul_i32 s0, s6, s9
	s_mul_hi_u32 s1, s6, s8
	ds_read_b64 v[4:5], v4
	ds_read_b64 v[6:7], v6
	;; [unrolled: 1-line block ×4, first 2 shown]
	s_add_i32 s0, s1, s0
	s_mul_i32 s1, s7, s8
	s_waitcnt lgkmcnt(0)
	v_add_f64 v[0:1], v[0:1], v[10:11]
	s_add_i32 s1, s0, s1
	s_mul_i32 s0, s6, s8
	v_add_f64 v[0:1], v[0:1], v[4:5]
	v_mad_u64_u32 v[4:5], s[2:3], s6, v60, 0
	s_lshl_b64 s[0:1], s[0:1], 3
	v_add_f64 v[0:1], v[0:1], v[6:7]
	v_mov_b32_e32 v6, v5
	s_add_u32 s0, s33, s0
	v_add_f64 v[0:1], v[0:1], v[8:9]
	v_mad_u64_u32 v[6:7], s[2:3], s7, v60, v[6:7]
	s_addc_u32 s1, s34, s1
	v_add_f64 v[0:1], v[0:1], v[12:13]
	v_mov_b32_e32 v5, v6
	v_lshl_add_u64 v[4:5], v[4:5], 3, s[0:1]
	v_mul_f64 v[0:1], v[2:3], v[0:1]
	flat_atomic_add_f64 v[4:5], v[0:1]
.LBB156_23:
	s_endpgm
	.section	.rodata,"a",@progbits
	.p2align	6, 0x0
	.amdhsa_kernel _ZL54rocblas_symv_kernel_upper_double_buffered_non_diagonalILi32ELi4ELi4E24rocblas_internal_val_ptrIdEPKPKdPKPdEvbiT2_lT3_lllSA_lllT4_llli
		.amdhsa_group_segment_fixed_size 6400
		.amdhsa_private_segment_fixed_size 0
		.amdhsa_kernarg_size 384
		.amdhsa_user_sgpr_count 2
		.amdhsa_user_sgpr_dispatch_ptr 0
		.amdhsa_user_sgpr_queue_ptr 0
		.amdhsa_user_sgpr_kernarg_segment_ptr 1
		.amdhsa_user_sgpr_dispatch_id 0
		.amdhsa_user_sgpr_kernarg_preload_length 0
		.amdhsa_user_sgpr_kernarg_preload_offset 0
		.amdhsa_user_sgpr_private_segment_size 0
		.amdhsa_uses_dynamic_stack 0
		.amdhsa_enable_private_segment 0
		.amdhsa_system_sgpr_workgroup_id_x 1
		.amdhsa_system_sgpr_workgroup_id_y 1
		.amdhsa_system_sgpr_workgroup_id_z 1
		.amdhsa_system_sgpr_workgroup_info 0
		.amdhsa_system_vgpr_workitem_id 1
		.amdhsa_next_free_vgpr 82
		.amdhsa_next_free_sgpr 38
		.amdhsa_accum_offset 84
		.amdhsa_reserve_vcc 1
		.amdhsa_float_round_mode_32 0
		.amdhsa_float_round_mode_16_64 0
		.amdhsa_float_denorm_mode_32 3
		.amdhsa_float_denorm_mode_16_64 3
		.amdhsa_dx10_clamp 1
		.amdhsa_ieee_mode 1
		.amdhsa_fp16_overflow 0
		.amdhsa_tg_split 0
		.amdhsa_exception_fp_ieee_invalid_op 0
		.amdhsa_exception_fp_denorm_src 0
		.amdhsa_exception_fp_ieee_div_zero 0
		.amdhsa_exception_fp_ieee_overflow 0
		.amdhsa_exception_fp_ieee_underflow 0
		.amdhsa_exception_fp_ieee_inexact 0
		.amdhsa_exception_int_div_zero 0
	.end_amdhsa_kernel
	.section	.text._ZL54rocblas_symv_kernel_upper_double_buffered_non_diagonalILi32ELi4ELi4E24rocblas_internal_val_ptrIdEPKPKdPKPdEvbiT2_lT3_lllSA_lllT4_llli,"axG",@progbits,_ZL54rocblas_symv_kernel_upper_double_buffered_non_diagonalILi32ELi4ELi4E24rocblas_internal_val_ptrIdEPKPKdPKPdEvbiT2_lT3_lllSA_lllT4_llli,comdat
.Lfunc_end156:
	.size	_ZL54rocblas_symv_kernel_upper_double_buffered_non_diagonalILi32ELi4ELi4E24rocblas_internal_val_ptrIdEPKPKdPKPdEvbiT2_lT3_lllSA_lllT4_llli, .Lfunc_end156-_ZL54rocblas_symv_kernel_upper_double_buffered_non_diagonalILi32ELi4ELi4E24rocblas_internal_val_ptrIdEPKPKdPKPdEvbiT2_lT3_lllSA_lllT4_llli
                                        ; -- End function
	.set _ZL54rocblas_symv_kernel_upper_double_buffered_non_diagonalILi32ELi4ELi4E24rocblas_internal_val_ptrIdEPKPKdPKPdEvbiT2_lT3_lllSA_lllT4_llli.num_vgpr, 82
	.set _ZL54rocblas_symv_kernel_upper_double_buffered_non_diagonalILi32ELi4ELi4E24rocblas_internal_val_ptrIdEPKPKdPKPdEvbiT2_lT3_lllSA_lllT4_llli.num_agpr, 0
	.set _ZL54rocblas_symv_kernel_upper_double_buffered_non_diagonalILi32ELi4ELi4E24rocblas_internal_val_ptrIdEPKPKdPKPdEvbiT2_lT3_lllSA_lllT4_llli.numbered_sgpr, 38
	.set _ZL54rocblas_symv_kernel_upper_double_buffered_non_diagonalILi32ELi4ELi4E24rocblas_internal_val_ptrIdEPKPKdPKPdEvbiT2_lT3_lllSA_lllT4_llli.num_named_barrier, 0
	.set _ZL54rocblas_symv_kernel_upper_double_buffered_non_diagonalILi32ELi4ELi4E24rocblas_internal_val_ptrIdEPKPKdPKPdEvbiT2_lT3_lllSA_lllT4_llli.private_seg_size, 0
	.set _ZL54rocblas_symv_kernel_upper_double_buffered_non_diagonalILi32ELi4ELi4E24rocblas_internal_val_ptrIdEPKPKdPKPdEvbiT2_lT3_lllSA_lllT4_llli.uses_vcc, 1
	.set _ZL54rocblas_symv_kernel_upper_double_buffered_non_diagonalILi32ELi4ELi4E24rocblas_internal_val_ptrIdEPKPKdPKPdEvbiT2_lT3_lllSA_lllT4_llli.uses_flat_scratch, 0
	.set _ZL54rocblas_symv_kernel_upper_double_buffered_non_diagonalILi32ELi4ELi4E24rocblas_internal_val_ptrIdEPKPKdPKPdEvbiT2_lT3_lllSA_lllT4_llli.has_dyn_sized_stack, 0
	.set _ZL54rocblas_symv_kernel_upper_double_buffered_non_diagonalILi32ELi4ELi4E24rocblas_internal_val_ptrIdEPKPKdPKPdEvbiT2_lT3_lllSA_lllT4_llli.has_recursion, 0
	.set _ZL54rocblas_symv_kernel_upper_double_buffered_non_diagonalILi32ELi4ELi4E24rocblas_internal_val_ptrIdEPKPKdPKPdEvbiT2_lT3_lllSA_lllT4_llli.has_indirect_call, 0
	.section	.AMDGPU.csdata,"",@progbits
; Kernel info:
; codeLenInByte = 2920
; TotalNumSgprs: 44
; NumVgprs: 82
; NumAgprs: 0
; TotalNumVgprs: 82
; ScratchSize: 0
; MemoryBound: 0
; FloatMode: 240
; IeeeMode: 1
; LDSByteSize: 6400 bytes/workgroup (compile time only)
; SGPRBlocks: 5
; VGPRBlocks: 10
; NumSGPRsForWavesPerEU: 44
; NumVGPRsForWavesPerEU: 82
; AccumOffset: 84
; Occupancy: 5
; WaveLimiterHint : 1
; COMPUTE_PGM_RSRC2:SCRATCH_EN: 0
; COMPUTE_PGM_RSRC2:USER_SGPR: 2
; COMPUTE_PGM_RSRC2:TRAP_HANDLER: 0
; COMPUTE_PGM_RSRC2:TGID_X_EN: 1
; COMPUTE_PGM_RSRC2:TGID_Y_EN: 1
; COMPUTE_PGM_RSRC2:TGID_Z_EN: 1
; COMPUTE_PGM_RSRC2:TIDIG_COMP_CNT: 1
; COMPUTE_PGM_RSRC3_GFX90A:ACCUM_OFFSET: 20
; COMPUTE_PGM_RSRC3_GFX90A:TG_SPLIT: 0
	.section	.text._ZL58rocblas_symv_kernel_upper_double_buffered_diagonal_genericILi32ELi8E24rocblas_internal_val_ptrIdEPKPKdPKPdEvbiT1_lT2_lllSA_lllS9_lT3_lllii,"axG",@progbits,_ZL58rocblas_symv_kernel_upper_double_buffered_diagonal_genericILi32ELi8E24rocblas_internal_val_ptrIdEPKPKdPKPdEvbiT1_lT2_lllSA_lllS9_lT3_lllii,comdat
	.globl	_ZL58rocblas_symv_kernel_upper_double_buffered_diagonal_genericILi32ELi8E24rocblas_internal_val_ptrIdEPKPKdPKPdEvbiT1_lT2_lllSA_lllS9_lT3_lllii ; -- Begin function _ZL58rocblas_symv_kernel_upper_double_buffered_diagonal_genericILi32ELi8E24rocblas_internal_val_ptrIdEPKPKdPKPdEvbiT1_lT2_lllSA_lllS9_lT3_lllii
	.p2align	8
	.type	_ZL58rocblas_symv_kernel_upper_double_buffered_diagonal_genericILi32ELi8E24rocblas_internal_val_ptrIdEPKPKdPKPdEvbiT1_lT2_lllSA_lllS9_lT3_lllii,@function
_ZL58rocblas_symv_kernel_upper_double_buffered_diagonal_genericILi32ELi8E24rocblas_internal_val_ptrIdEPKPKdPKPdEvbiT1_lT2_lllSA_lllS9_lT3_lllii: ; @_ZL58rocblas_symv_kernel_upper_double_buffered_diagonal_genericILi32ELi8E24rocblas_internal_val_ptrIdEPKPKdPKPdEvbiT1_lT2_lllSA_lllS9_lT3_lllii
; %bb.0:
	s_mov_b32 s18, s3
	s_load_dword s3, s[0:1], 0x0
	s_load_dwordx8 s[4:11], s[0:1], 0x8
	s_load_dwordx2 s[16:17], s[0:1], 0x28
	s_load_dwordx4 s[12:15], s[0:1], 0x58
	s_waitcnt lgkmcnt(0)
	s_bitcmp1_b32 s3, 0
	s_cselect_b64 s[22:23], -1, 0
	s_xor_b64 s[20:21], s[22:23], -1
	s_and_b64 vcc, exec, s[22:23]
	v_mov_b64_e32 v[4:5], s[4:5]
	s_cbranch_vccnz .LBB157_2
; %bb.1:
	s_mul_i32 s3, s7, s18
	s_mul_hi_u32 s7, s6, s18
	s_add_i32 s7, s7, s3
	s_mul_i32 s6, s6, s18
	s_lshl_b64 s[6:7], s[6:7], 3
	s_add_u32 s4, s4, s6
	s_addc_u32 s5, s5, s7
	v_mov_b64_e32 v[2:3], s[4:5]
	flat_load_dwordx2 v[4:5], v[2:3]
.LBB157_2:
	s_andn2_b64 vcc, exec, s[20:21]
	v_mov_b64_e32 v[2:3], s[12:13]
	s_cbranch_vccnz .LBB157_4
; %bb.3:
	s_mul_i32 s3, s15, s18
	s_mul_hi_u32 s4, s14, s18
	s_add_i32 s5, s4, s3
	s_mul_i32 s4, s14, s18
	s_lshl_b64 s[4:5], s[4:5], 3
	s_add_u32 s4, s12, s4
	s_addc_u32 s5, s13, s5
	v_mov_b64_e32 v[2:3], s[4:5]
	flat_load_dwordx2 v[2:3], v[2:3]
.LBB157_4:
	s_waitcnt vmcnt(0) lgkmcnt(0)
	v_cmp_neq_f64_e32 vcc, 0, v[4:5]
	v_cmp_neq_f64_e64 s[4:5], 1.0, v[2:3]
	s_or_b64 s[4:5], vcc, s[4:5]
	s_and_saveexec_b64 s[6:7], s[4:5]
	s_cbranch_execz .LBB157_48
; %bb.5:
	s_mov_b32 s19, 0
	v_cmp_neq_f64_e64 s[4:5], 0, v[4:5]
	v_cmp_eq_f64_e32 vcc, 0, v[4:5]
	v_mov_b64_e32 v[6:7], s[18:19]
	s_and_saveexec_b64 s[6:7], vcc
	s_xor_b64 s[6:7], exec, s[6:7]
; %bb.6:
	v_mov_b64_e32 v[6:7], s[18:19]
; %bb.7:
	s_or_saveexec_b64 s[12:13], s[6:7]
	s_load_dwordx2 s[6:7], s[0:1], 0x68
	v_mov_b64_e32 v[12:13], 0
	v_mov_b64_e32 v[10:11], 0
	s_xor_b64 exec, exec, s[12:13]
	s_cbranch_execz .LBB157_9
; %bb.8:
	s_lshl_b64 s[14:15], s[18:19], 3
	s_add_u32 s8, s8, s14
	s_addc_u32 s9, s9, s15
	s_load_dwordx2 s[8:9], s[8:9], 0x0
	s_lshl_b64 s[10:11], s[10:11], 3
	s_waitcnt lgkmcnt(0)
	s_add_u32 s8, s8, s10
	s_addc_u32 s9, s9, s11
	v_mov_b64_e32 v[10:11], s[8:9]
.LBB157_9:
	s_or_b64 exec, exec, s[12:13]
	s_load_dwordx4 s[8:11], s[0:1], 0x38
	s_load_dwordx2 s[12:13], s[0:1], 0x48
	s_and_saveexec_b64 s[14:15], s[4:5]
	s_cbranch_execz .LBB157_11
; %bb.10:
	s_waitcnt lgkmcnt(0)
	v_mov_b32_e32 v8, s8
	v_mov_b32_e32 v9, s9
	v_lshl_add_u64 v[8:9], v[6:7], 3, v[8:9]
	global_load_dwordx2 v[8:9], v[8:9], off
	s_waitcnt vmcnt(0)
	v_lshl_add_u64 v[12:13], s[10:11], 3, v[8:9]
.LBB157_11:
	s_or_b64 exec, exec, s[14:15]
	s_waitcnt lgkmcnt(0)
	v_lshl_add_u64 v[6:7], v[6:7], 3, s[6:7]
	global_load_dwordx2 v[6:7], v[6:7], off
	s_load_dwordx4 s[8:11], s[0:1], 0x70
	s_load_dword s3, s[0:1], 0x88
	s_lshl_b32 s20, s2, 5
	s_ashr_i32 s21, s20, 31
	v_and_b32_e32 v16, 0x3ff, v0
	s_waitcnt lgkmcnt(0)
	s_mul_i32 s4, s10, s21
	s_mul_hi_u32 s5, s10, s20
	s_mul_i32 s6, s11, s20
	s_add_i32 s4, s5, s4
	v_bfe_u32 v17, v0, 10, 10
	s_add_i32 s5, s4, s6
	s_mul_i32 s4, s10, s20
	s_waitcnt vmcnt(0)
	v_lshl_add_u64 v[0:1], s[8:9], 3, v[6:7]
	v_lshl_add_u64 v[0:1], s[4:5], 3, v[0:1]
	s_and_saveexec_b64 s[4:5], vcc
	s_xor_b64 s[4:5], exec, s[4:5]
	s_cbranch_execz .LBB157_18
; %bb.12:
	v_cmp_eq_u32_e32 vcc, 0, v17
	s_and_saveexec_b64 s[6:7], vcc
	s_cbranch_execz .LBB157_17
; %bb.13:
	v_cmp_gt_i32_e64 s[8:9], s3, v16
	v_cmp_le_i32_e32 vcc, s3, v16
	s_and_saveexec_b64 s[14:15], vcc
	s_cbranch_execz .LBB157_15
; %bb.14:
	s_load_dword s18, s[0:1], 0x90
	s_waitcnt lgkmcnt(0)
	s_add_i32 s18, s18, -1
	s_cmp_lt_u32 s2, s18
	s_cselect_b64 s[18:19], -1, 0
	s_andn2_b64 s[8:9], s[8:9], exec
	s_and_b64 s[18:19], s[18:19], exec
	s_or_b64 s[8:9], s[8:9], s[18:19]
.LBB157_15:
	s_or_b64 exec, exec, s[14:15]
	s_and_b64 exec, exec, s[8:9]
	s_cbranch_execz .LBB157_17
; %bb.16:
	v_mad_u64_u32 v[4:5], s[8:9], s10, v16, 0
	v_mov_b32_e32 v6, v5
	v_mad_u64_u32 v[6:7], s[8:9], s11, v16, v[6:7]
	v_mov_b32_e32 v5, v6
	v_lshl_add_u64 v[0:1], v[4:5], 3, v[0:1]
	flat_load_dwordx2 v[4:5], v[0:1]
	s_waitcnt vmcnt(0) lgkmcnt(0)
	v_mul_f64 v[2:3], v[2:3], v[4:5]
	flat_store_dwordx2 v[0:1], v[2:3]
.LBB157_17:
	s_or_b64 exec, exec, s[6:7]
                                        ; implicit-def: $vgpr17
                                        ; implicit-def: $vgpr16
                                        ; implicit-def: $vgpr2_vgpr3
                                        ; implicit-def: $vgpr4_vgpr5
                                        ; implicit-def: $vgpr0_vgpr1
                                        ; implicit-def: $vgpr10_vgpr11
                                        ; implicit-def: $vgpr12_vgpr13
.LBB157_18:
	s_andn2_saveexec_b64 s[4:5], s[4:5]
	s_cbranch_execz .LBB157_48
; %bb.19:
	v_mov_b32_e32 v7, 0
	v_cmp_ne_u32_e64 s[4:5], 0, v17
	v_cmp_eq_u32_e64 s[6:7], 0, v17
	v_mov_b64_e32 v[8:9], 0
	s_and_saveexec_b64 s[8:9], s[6:7]
	s_cbranch_execz .LBB157_27
; %bb.20:
	v_cmp_gt_i32_e64 s[18:19], s3, v16
	v_cmp_le_i32_e32 vcc, s3, v16
	s_and_saveexec_b64 s[14:15], vcc
	s_cbranch_execz .LBB157_22
; %bb.21:
	s_load_dword s22, s[0:1], 0x90
	s_waitcnt lgkmcnt(0)
	s_add_i32 s22, s22, -1
	s_cmp_lt_u32 s2, s22
	s_cselect_b64 s[22:23], -1, 0
	s_andn2_b64 s[18:19], s[18:19], exec
	s_and_b64 s[22:23], s[22:23], exec
	s_or_b64 s[18:19], s[18:19], s[22:23]
.LBB157_22:
	s_or_b64 exec, exec, s[14:15]
	v_mov_b64_e32 v[8:9], 0
	s_and_saveexec_b64 s[14:15], s[18:19]
	s_cbranch_execz .LBB157_26
; %bb.23:
	s_mul_i32 s18, s12, s21
	s_mul_hi_u32 s19, s12, s20
	s_add_i32 s18, s19, s18
	s_mul_i32 s19, s13, s20
	s_add_i32 s19, s18, s19
	s_mul_i32 s18, s12, s20
	v_lshl_add_u64 v[8:9], s[18:19], 3, v[12:13]
	v_mad_u64_u32 v[12:13], s[18:19], s12, v16, 0
	v_mov_b32_e32 v6, v13
	v_mad_u64_u32 v[14:15], s[12:13], s13, v16, v[6:7]
	v_mov_b32_e32 v13, v14
	v_lshl_add_u64 v[8:9], v[12:13], 3, v[8:9]
	flat_load_dwordx2 v[12:13], v[8:9]
	v_lshlrev_b32_e32 v6, 3, v16
	v_mov_b64_e32 v[8:9], 0
	v_cmp_neq_f64_e32 vcc, 0, v[2:3]
	s_waitcnt vmcnt(0) lgkmcnt(0)
	ds_write_b64 v6, v[12:13] offset:12288
	s_and_saveexec_b64 s[12:13], vcc
	s_cbranch_execz .LBB157_25
; %bb.24:
	v_mad_u64_u32 v[8:9], s[18:19], s10, v16, 0
	v_mov_b32_e32 v6, v9
	v_mad_u64_u32 v[12:13], s[18:19], s11, v16, v[6:7]
	v_mov_b32_e32 v9, v12
	v_lshl_add_u64 v[8:9], v[8:9], 3, v[0:1]
	flat_load_dwordx2 v[8:9], v[8:9]
	s_waitcnt vmcnt(0) lgkmcnt(0)
	v_mul_f64 v[8:9], v[2:3], v[8:9]
.LBB157_25:
	s_or_b64 exec, exec, s[12:13]
.LBB157_26:
	s_or_b64 exec, exec, s[14:15]
.LBB157_27:
	s_or_b64 exec, exec, s[8:9]
	s_add_u32 s8, s16, 1
	s_addc_u32 s9, s17, 0
	s_mul_i32 s12, s8, s21
	s_mul_hi_u32 s13, s8, s20
	s_add_i32 s12, s13, s12
	s_mul_i32 s9, s9, s20
	s_add_i32 s9, s12, s9
	v_mad_u64_u32 v[14:15], s[12:13], s16, v17, 0
	v_mov_b32_e32 v6, v15
	v_mad_u64_u32 v[18:19], s[12:13], s17, v17, v[6:7]
	s_load_dword s12, s[0:1], 0x90
	s_mul_i32 s8, s8, s20
	v_lshl_add_u64 v[12:13], s[8:9], 3, v[10:11]
	v_mov_b32_e32 v15, v18
	v_lshl_add_u64 v[12:13], v[14:15], 3, v[12:13]
	v_lshlrev_b32_e32 v6, 3, v16
	v_lshl_add_u64 v[12:13], v[12:13], 0, v[6:7]
	s_waitcnt lgkmcnt(0)
	s_add_i32 s12, s12, -1
	v_lshlrev_b32_e32 v7, 8, v17
	v_lshlrev_b32_e32 v20, 5, v17
	s_cmp_eq_u32 s2, s12
	s_mov_b64 s[0:1], -1
	v_add_u32_e32 v18, v6, v7
	s_cbranch_scc1 .LBB157_29
; %bb.28:
	s_lshl_b64 s[0:1], s[16:17], 6
	v_lshl_add_u64 v[22:23], v[12:13], 0, s[0:1]
	v_lshl_add_u64 v[24:25], v[22:23], 0, s[0:1]
	;; [unrolled: 1-line block ×3, first 2 shown]
	flat_load_dwordx2 v[28:29], v[12:13]
	flat_load_dwordx2 v[30:31], v[22:23]
	;; [unrolled: 1-line block ×4, first 2 shown]
	s_mov_b64 s[0:1], 0
	s_waitcnt vmcnt(0) lgkmcnt(0)
	ds_write2st64_b64 v18, v[28:29], v[30:31] offset1:4
	ds_write2st64_b64 v18, v[32:33], v[34:35] offset0:8 offset1:12
.LBB157_29:
	s_andn2_b64 vcc, exec, s[0:1]
	v_add_u32_e32 v19, v20, v16
	s_cbranch_vccnz .LBB157_39
; %bb.30:
	s_mov_b32 s0, 0
	s_mov_b32 s1, s0
	v_cmp_gt_i32_e32 vcc, s3, v16
	v_mov_b64_e32 v[22:23], s[0:1]
	s_nor_b64 s[4:5], s[4:5], vcc
	ds_write2st64_b64 v18, v[22:23], v[22:23] offset1:4
	ds_write2st64_b64 v18, v[22:23], v[22:23] offset0:8 offset1:12
	s_and_saveexec_b64 s[0:1], s[4:5]
; %bb.31:
	v_mov_b32_e32 v22, 0
	v_mov_b32_e32 v23, v22
	ds_write_b64 v6, v[22:23] offset:12288
; %bb.32:
	s_or_b64 exec, exec, s[0:1]
	s_and_saveexec_b64 s[0:1], vcc
	s_cbranch_execz .LBB157_38
; %bb.33:
	s_cmp_lt_u32 s3, 8
	s_mov_b32 s13, 0
	s_cbranch_scc1 .LBB157_36
; %bb.34:
	v_lshlrev_b64 v[14:15], 3, v[14:15]
	v_lshl_add_u64 v[14:15], s[8:9], 3, v[14:15]
	v_mov_b32_e32 v7, 0
	s_lshr_b32 s13, s3, 3
	v_lshl_add_u64 v[14:15], v[14:15], 0, v[6:7]
	v_lshl_add_u32 v21, v20, 3, v6
	v_lshl_add_u64 v[10:11], v[10:11], 0, v[14:15]
	s_lshl_b64 s[4:5], s[16:17], 6
	s_mov_b32 s8, s13
.LBB157_35:                             ; =>This Inner Loop Header: Depth=1
	flat_load_dwordx2 v[14:15], v[10:11]
	s_add_i32 s8, s8, -1
	v_lshl_add_u64 v[10:11], v[10:11], 0, s[4:5]
	s_cmp_lg_u32 s8, 0
	s_waitcnt vmcnt(0) lgkmcnt(0)
	ds_write_b64 v21, v[14:15]
	v_add_u32_e32 v21, 0x800, v21
	s_cbranch_scc1 .LBB157_35
.LBB157_36:
	s_and_b32 s4, s3, 7
	v_cmp_gt_u32_e32 vcc, s4, v17
	s_and_b64 exec, exec, vcc
	s_cbranch_execz .LBB157_38
; %bb.37:
	s_lshl_b32 s4, s13, 3
	s_mul_i32 s5, s17, s4
	s_mul_hi_u32 s8, s16, s4
	s_add_i32 s5, s8, s5
	s_mul_i32 s4, s16, s4
	v_lshl_add_u64 v[10:11], s[4:5], 3, v[12:13]
	flat_load_dwordx2 v[10:11], v[10:11]
	v_lshlrev_b32_e32 v7, 3, v19
	v_lshl_add_u32 v7, s13, 11, v7
	s_waitcnt vmcnt(0) lgkmcnt(0)
	ds_write_b64 v7, v[10:11]
.LBB157_38:
	s_or_b64 exec, exec, s[0:1]
.LBB157_39:
	v_sub_u32_e32 v7, v16, v17
	v_sub_u32_e32 v10, 0, v7
	s_movk_i32 s0, 0xf8
	v_max_i32_e32 v10, v7, v10
	v_mad_u32_u24 v7, v16, s0, v6
	v_cmp_lt_u32_e32 vcc, 16, v10
	v_lshl_add_u32 v7, v17, 3, v7
	s_waitcnt lgkmcnt(0)
	s_barrier
	s_and_saveexec_b64 s[0:1], vcc
	s_cbranch_execnz .LBB157_49
; %bb.40:
	s_or_b64 exec, exec, s[0:1]
	v_cmp_lt_u32_e32 vcc, 24, v10
	s_and_saveexec_b64 s[0:1], vcc
	s_cbranch_execnz .LBB157_50
.LBB157_41:
	s_or_b64 exec, exec, s[0:1]
	v_cmp_ge_u32_e32 vcc, v16, v17
	s_and_saveexec_b64 s[0:1], vcc
	s_cbranch_execz .LBB157_43
.LBB157_42:
	ds_read_b64 v[12:13], v7
	v_lshl_add_u32 v11, v20, 3, v6
	s_waitcnt lgkmcnt(0)
	ds_write_b64 v11, v[12:13]
.LBB157_43:
	s_or_b64 exec, exec, s[0:1]
	v_cmp_lt_u32_e32 vcc, 8, v10
	v_mov_b32_e32 v10, 0x800
	v_lshl_add_u32 v10, v17, 8, v10
	v_add_u32_e32 v10, v6, v10
	s_and_saveexec_b64 s[0:1], vcc
	s_cbranch_execz .LBB157_45
; %bb.44:
	ds_read_b64 v[12:13], v7 offset:64
	s_waitcnt lgkmcnt(0)
	ds_write_b64 v10, v[12:13]
.LBB157_45:
	s_or_b64 exec, exec, s[0:1]
	v_lshlrev_b32_e32 v7, 3, v17
	v_add_u32_e32 v7, 0x3000, v7
	s_waitcnt lgkmcnt(0)
	s_barrier
	ds_read2_b64 v[12:15], v7 offset1:8
	ds_read_b64 v[28:29], v18
	ds_read_b64 v[10:11], v10
	v_lshl_add_u32 v17, v17, 8, v6
	ds_read2st64_b64 v[20:23], v17 offset0:8 offset1:12
	ds_read2_b64 v[24:27], v7 offset0:16 offset1:24
	v_lshlrev_b32_e32 v7, 3, v19
	s_waitcnt lgkmcnt(0)
	v_fma_f64 v[12:13], v[28:29], v[12:13], 0
	v_fmac_f64_e32 v[12:13], v[10:11], v[14:15]
	v_fmac_f64_e32 v[12:13], v[20:21], v[24:25]
	;; [unrolled: 1-line block ×3, first 2 shown]
	ds_write_b64 v7, v[12:13] offset:8192
	s_waitcnt lgkmcnt(0)
	s_barrier
	s_and_saveexec_b64 s[0:1], s[6:7]
	s_cbranch_execz .LBB157_48
; %bb.46:
	s_cmp_lt_u32 s2, s12
	v_cmp_gt_i32_e32 vcc, s3, v16
	s_cselect_b64 s[0:1], -1, 0
	s_or_b64 s[0:1], vcc, s[0:1]
	s_and_b64 exec, exec, s[0:1]
	s_cbranch_execz .LBB157_48
; %bb.47:
	v_add_u32_e32 v6, 0x2000, v6
	ds_read2_b64 v[10:13], v6 offset1:32
	ds_read2_b64 v[18:21], v6 offset0:64 offset1:96
	ds_read2_b64 v[22:25], v6 offset0:128 offset1:160
	;; [unrolled: 1-line block ×3, first 2 shown]
	v_cmp_neq_f64_e32 vcc, 0, v[2:3]
	s_waitcnt lgkmcnt(0)
	v_add_f64 v[6:7], v[10:11], 0
	v_add_f64 v[6:7], v[6:7], v[12:13]
	;; [unrolled: 1-line block ×8, first 2 shown]
	v_mul_f64 v[10:11], v[4:5], v[6:7]
	v_fmac_f64_e32 v[8:9], v[4:5], v[6:7]
	v_mad_u64_u32 v[4:5], s[0:1], s10, v16, 0
	v_mov_b32_e32 v6, v5
	v_mad_u64_u32 v[6:7], s[0:1], s11, v16, v[6:7]
	v_mov_b32_e32 v5, v6
	v_cndmask_b32_e32 v3, v11, v9, vcc
	v_cndmask_b32_e32 v2, v10, v8, vcc
	v_lshl_add_u64 v[0:1], v[4:5], 3, v[0:1]
	flat_store_dwordx2 v[0:1], v[2:3]
.LBB157_48:
	s_endpgm
.LBB157_49:
	ds_read_b64 v[12:13], v7 offset:128
	s_waitcnt lgkmcnt(0)
	ds_write_b64 v18, v[12:13] offset:4096
	s_or_b64 exec, exec, s[0:1]
	v_cmp_lt_u32_e32 vcc, 24, v10
	s_and_saveexec_b64 s[0:1], vcc
	s_cbranch_execz .LBB157_41
.LBB157_50:
	ds_read_b64 v[12:13], v7 offset:192
	s_waitcnt lgkmcnt(0)
	ds_write_b64 v18, v[12:13] offset:6144
	s_or_b64 exec, exec, s[0:1]
	v_cmp_ge_u32_e32 vcc, v16, v17
	s_and_saveexec_b64 s[0:1], vcc
	s_cbranch_execnz .LBB157_42
	s_branch .LBB157_43
	.section	.rodata,"a",@progbits
	.p2align	6, 0x0
	.amdhsa_kernel _ZL58rocblas_symv_kernel_upper_double_buffered_diagonal_genericILi32ELi8E24rocblas_internal_val_ptrIdEPKPKdPKPdEvbiT1_lT2_lllSA_lllS9_lT3_lllii
		.amdhsa_group_segment_fixed_size 12544
		.amdhsa_private_segment_fixed_size 0
		.amdhsa_kernarg_size 400
		.amdhsa_user_sgpr_count 2
		.amdhsa_user_sgpr_dispatch_ptr 0
		.amdhsa_user_sgpr_queue_ptr 0
		.amdhsa_user_sgpr_kernarg_segment_ptr 1
		.amdhsa_user_sgpr_dispatch_id 0
		.amdhsa_user_sgpr_kernarg_preload_length 0
		.amdhsa_user_sgpr_kernarg_preload_offset 0
		.amdhsa_user_sgpr_private_segment_size 0
		.amdhsa_uses_dynamic_stack 0
		.amdhsa_enable_private_segment 0
		.amdhsa_system_sgpr_workgroup_id_x 1
		.amdhsa_system_sgpr_workgroup_id_y 0
		.amdhsa_system_sgpr_workgroup_id_z 1
		.amdhsa_system_sgpr_workgroup_info 0
		.amdhsa_system_vgpr_workitem_id 1
		.amdhsa_next_free_vgpr 36
		.amdhsa_next_free_sgpr 24
		.amdhsa_accum_offset 36
		.amdhsa_reserve_vcc 1
		.amdhsa_float_round_mode_32 0
		.amdhsa_float_round_mode_16_64 0
		.amdhsa_float_denorm_mode_32 3
		.amdhsa_float_denorm_mode_16_64 3
		.amdhsa_dx10_clamp 1
		.amdhsa_ieee_mode 1
		.amdhsa_fp16_overflow 0
		.amdhsa_tg_split 0
		.amdhsa_exception_fp_ieee_invalid_op 0
		.amdhsa_exception_fp_denorm_src 0
		.amdhsa_exception_fp_ieee_div_zero 0
		.amdhsa_exception_fp_ieee_overflow 0
		.amdhsa_exception_fp_ieee_underflow 0
		.amdhsa_exception_fp_ieee_inexact 0
		.amdhsa_exception_int_div_zero 0
	.end_amdhsa_kernel
	.section	.text._ZL58rocblas_symv_kernel_upper_double_buffered_diagonal_genericILi32ELi8E24rocblas_internal_val_ptrIdEPKPKdPKPdEvbiT1_lT2_lllSA_lllS9_lT3_lllii,"axG",@progbits,_ZL58rocblas_symv_kernel_upper_double_buffered_diagonal_genericILi32ELi8E24rocblas_internal_val_ptrIdEPKPKdPKPdEvbiT1_lT2_lllSA_lllS9_lT3_lllii,comdat
.Lfunc_end157:
	.size	_ZL58rocblas_symv_kernel_upper_double_buffered_diagonal_genericILi32ELi8E24rocblas_internal_val_ptrIdEPKPKdPKPdEvbiT1_lT2_lllSA_lllS9_lT3_lllii, .Lfunc_end157-_ZL58rocblas_symv_kernel_upper_double_buffered_diagonal_genericILi32ELi8E24rocblas_internal_val_ptrIdEPKPKdPKPdEvbiT1_lT2_lllSA_lllS9_lT3_lllii
                                        ; -- End function
	.set _ZL58rocblas_symv_kernel_upper_double_buffered_diagonal_genericILi32ELi8E24rocblas_internal_val_ptrIdEPKPKdPKPdEvbiT1_lT2_lllSA_lllS9_lT3_lllii.num_vgpr, 36
	.set _ZL58rocblas_symv_kernel_upper_double_buffered_diagonal_genericILi32ELi8E24rocblas_internal_val_ptrIdEPKPKdPKPdEvbiT1_lT2_lllSA_lllS9_lT3_lllii.num_agpr, 0
	.set _ZL58rocblas_symv_kernel_upper_double_buffered_diagonal_genericILi32ELi8E24rocblas_internal_val_ptrIdEPKPKdPKPdEvbiT1_lT2_lllSA_lllS9_lT3_lllii.numbered_sgpr, 24
	.set _ZL58rocblas_symv_kernel_upper_double_buffered_diagonal_genericILi32ELi8E24rocblas_internal_val_ptrIdEPKPKdPKPdEvbiT1_lT2_lllSA_lllS9_lT3_lllii.num_named_barrier, 0
	.set _ZL58rocblas_symv_kernel_upper_double_buffered_diagonal_genericILi32ELi8E24rocblas_internal_val_ptrIdEPKPKdPKPdEvbiT1_lT2_lllSA_lllS9_lT3_lllii.private_seg_size, 0
	.set _ZL58rocblas_symv_kernel_upper_double_buffered_diagonal_genericILi32ELi8E24rocblas_internal_val_ptrIdEPKPKdPKPdEvbiT1_lT2_lllSA_lllS9_lT3_lllii.uses_vcc, 1
	.set _ZL58rocblas_symv_kernel_upper_double_buffered_diagonal_genericILi32ELi8E24rocblas_internal_val_ptrIdEPKPKdPKPdEvbiT1_lT2_lllSA_lllS9_lT3_lllii.uses_flat_scratch, 0
	.set _ZL58rocblas_symv_kernel_upper_double_buffered_diagonal_genericILi32ELi8E24rocblas_internal_val_ptrIdEPKPKdPKPdEvbiT1_lT2_lllSA_lllS9_lT3_lllii.has_dyn_sized_stack, 0
	.set _ZL58rocblas_symv_kernel_upper_double_buffered_diagonal_genericILi32ELi8E24rocblas_internal_val_ptrIdEPKPKdPKPdEvbiT1_lT2_lllSA_lllS9_lT3_lllii.has_recursion, 0
	.set _ZL58rocblas_symv_kernel_upper_double_buffered_diagonal_genericILi32ELi8E24rocblas_internal_val_ptrIdEPKPKdPKPdEvbiT1_lT2_lllSA_lllS9_lT3_lllii.has_indirect_call, 0
	.section	.AMDGPU.csdata,"",@progbits
; Kernel info:
; codeLenInByte = 1952
; TotalNumSgprs: 30
; NumVgprs: 36
; NumAgprs: 0
; TotalNumVgprs: 36
; ScratchSize: 0
; MemoryBound: 0
; FloatMode: 240
; IeeeMode: 1
; LDSByteSize: 12544 bytes/workgroup (compile time only)
; SGPRBlocks: 3
; VGPRBlocks: 4
; NumSGPRsForWavesPerEU: 30
; NumVGPRsForWavesPerEU: 36
; AccumOffset: 36
; Occupancy: 8
; WaveLimiterHint : 1
; COMPUTE_PGM_RSRC2:SCRATCH_EN: 0
; COMPUTE_PGM_RSRC2:USER_SGPR: 2
; COMPUTE_PGM_RSRC2:TRAP_HANDLER: 0
; COMPUTE_PGM_RSRC2:TGID_X_EN: 1
; COMPUTE_PGM_RSRC2:TGID_Y_EN: 0
; COMPUTE_PGM_RSRC2:TGID_Z_EN: 1
; COMPUTE_PGM_RSRC2:TIDIG_COMP_CNT: 1
; COMPUTE_PGM_RSRC3_GFX90A:ACCUM_OFFSET: 8
; COMPUTE_PGM_RSRC3_GFX90A:TG_SPLIT: 0
	.section	.text._ZL62rocblas_symv_kernel_upper_double_buffered_non_diagonal_genericILi32ELi8ELi2ELi0E24rocblas_internal_val_ptrIdEPKPKdPKPdEvbiT3_lT4_lllSA_lllT5_lllii,"axG",@progbits,_ZL62rocblas_symv_kernel_upper_double_buffered_non_diagonal_genericILi32ELi8ELi2ELi0E24rocblas_internal_val_ptrIdEPKPKdPKPdEvbiT3_lT4_lllSA_lllT5_lllii,comdat
	.globl	_ZL62rocblas_symv_kernel_upper_double_buffered_non_diagonal_genericILi32ELi8ELi2ELi0E24rocblas_internal_val_ptrIdEPKPKdPKPdEvbiT3_lT4_lllSA_lllT5_lllii ; -- Begin function _ZL62rocblas_symv_kernel_upper_double_buffered_non_diagonal_genericILi32ELi8ELi2ELi0E24rocblas_internal_val_ptrIdEPKPKdPKPdEvbiT3_lT4_lllSA_lllT5_lllii
	.p2align	8
	.type	_ZL62rocblas_symv_kernel_upper_double_buffered_non_diagonal_genericILi32ELi8ELi2ELi0E24rocblas_internal_val_ptrIdEPKPKdPKPdEvbiT3_lT4_lllSA_lllT5_lllii,@function
_ZL62rocblas_symv_kernel_upper_double_buffered_non_diagonal_genericILi32ELi8ELi2ELi0E24rocblas_internal_val_ptrIdEPKPKdPKPdEvbiT3_lT4_lllSA_lllT5_lllii: ; @_ZL62rocblas_symv_kernel_upper_double_buffered_non_diagonal_genericILi32ELi8ELi2ELi0E24rocblas_internal_val_ptrIdEPKPKdPKPdEvbiT3_lT4_lllSA_lllT5_lllii
; %bb.0:
	s_load_dword s5, s[0:1], 0x0
	s_load_dwordx8 s[8:15], s[0:1], 0x8
	s_load_dwordx2 s[16:17], s[0:1], 0x28
	s_waitcnt lgkmcnt(0)
	s_bitcmp1_b32 s5, 0
	s_cselect_b64 s[6:7], -1, 0
	s_and_b64 vcc, exec, s[6:7]
	v_mov_b64_e32 v[12:13], s[8:9]
	s_cbranch_vccnz .LBB158_2
; %bb.1:
	s_mul_i32 s5, s11, s4
	s_mul_hi_u32 s6, s10, s4
	s_add_i32 s7, s6, s5
	s_mul_i32 s6, s10, s4
	s_lshl_b64 s[6:7], s[6:7], 3
	s_add_u32 s6, s8, s6
	s_addc_u32 s7, s9, s7
	v_mov_b64_e32 v[2:3], s[6:7]
	flat_load_dwordx2 v[12:13], v[2:3]
.LBB158_2:
	s_waitcnt vmcnt(0) lgkmcnt(0)
	v_cmp_neq_f64_e32 vcc, 0, v[12:13]
	s_and_saveexec_b64 s[6:7], vcc
	s_cbranch_execz .LBB158_41
; %bb.3:
	s_load_dword s18, s[0:1], 0x84
	s_add_u32 s20, s0, 0x80
	s_addc_u32 s21, s1, 0
	s_mov_b32 s5, 0
	s_cmp_eq_u32 s2, 0
	s_waitcnt lgkmcnt(0)
	v_cvt_f32_u32_e32 v1, s18
	v_rcp_iflag_f32_e32 v1, v1
	s_nop 0
	v_mul_f32_e32 v1, 0x4f7ffffe, v1
	v_cvt_u32_f32_e32 v1, v1
	s_nop 0
	v_readfirstlane_b32 s6, v1
	s_cbranch_scc1 .LBB158_41
; %bb.4:
	s_sub_i32 s7, 0, s18
	s_mul_i32 s7, s7, s6
	s_load_dwordx2 s[22:23], s[0:1], 0x58
	s_load_dwordx4 s[8:11], s[0:1], 0x38
	s_mul_hi_u32 s7, s6, s7
	s_add_i32 s6, s6, s7
	s_lshl_b64 s[24:25], s[4:5], 3
	s_add_u32 s4, s12, s24
	s_addc_u32 s5, s13, s25
	s_mul_hi_u32 s19, s2, s6
	s_waitcnt lgkmcnt(0)
	s_add_u32 s6, s8, s24
	s_addc_u32 s7, s9, s25
	s_add_u32 s8, s22, s24
	s_mul_i32 s12, s19, s18
	s_addc_u32 s9, s23, s25
	s_sub_i32 s12, s2, s12
	s_add_i32 s13, s19, 1
	s_sub_i32 s22, s12, s18
	s_cmp_ge_u32 s12, s18
	s_cselect_b32 s13, s13, s19
	s_cselect_b32 s12, s22, s12
	s_add_i32 s19, s13, 1
	s_cmp_ge_u32 s12, s18
	s_cselect_b32 s30, s19, s13
	s_add_i32 s12, s18, -1
	s_cmp_lg_u32 s3, s12
	s_mov_b32 s40, s30
	s_cbranch_scc1 .LBB158_6
; %bb.5:
	s_mul_i32 s12, s30, s18
	s_sub_i32 s12, s2, s12
	s_add_i32 s40, s12, s30
.LBB158_6:
	s_cmp_eq_u32 s40, 0
	s_cbranch_scc1 .LBB158_41
; %bb.7:
	s_load_dwordx2 s[18:19], s[6:7], 0x0
	s_load_dwordx2 s[12:13], s[0:1], 0x48
	;; [unrolled: 1-line block ×4, first 2 shown]
	s_lshl_b64 s[4:5], s[10:11], 3
	s_waitcnt lgkmcnt(0)
	s_add_u32 s18, s18, s4
	s_addc_u32 s19, s19, s5
	s_lshl_b32 s6, s2, 5
	s_ashr_i32 s7, s6, 31
	s_mul_i32 s4, s12, s7
	s_mul_hi_u32 s5, s12, s6
	s_load_dword s36, s[20:21], 0x0
	s_add_i32 s4, s5, s4
	s_mul_i32 s5, s13, s6
	s_add_i32 s5, s4, s5
	s_mul_i32 s4, s12, s6
	s_lshl_b64 s[4:5], s[4:5], 3
	s_load_dword s33, s[0:1], 0x78
	s_add_u32 s10, s18, s4
	s_addc_u32 s11, s19, s5
	s_waitcnt lgkmcnt(0)
	s_add_i32 s36, s36, -1
	v_and_b32_e32 v46, 0x3ff, v0
	v_bfe_u32 v1, v0, 10, 10
	s_cmp_lg_u32 s2, s36
	v_lshl_add_u32 v4, v1, 5, v46
	s_cselect_b64 s[8:9], -1, 0
	v_and_b32_e32 v14, 15, v0
	v_lshrrev_b32_e32 v5, 4, v4
	v_cmp_eq_u32_e64 s[4:5], 0, v1
	s_mov_b64 s[20:21], -1
	s_and_b64 vcc, exec, s[8:9]
	s_cbranch_vccnz .LBB158_13
; %bb.8:
	s_and_saveexec_b64 s[20:21], s[4:5]
	s_cbranch_execz .LBB158_12
; %bb.9:
	v_cmp_gt_i32_e32 vcc, s33, v46
	v_mov_b64_e32 v[0:1], 0
	s_and_saveexec_b64 s[26:27], vcc
	s_cbranch_execz .LBB158_11
; %bb.10:
	v_mad_u64_u32 v[0:1], s[28:29], s12, v46, 0
	v_mov_b32_e32 v2, v1
	v_mad_u64_u32 v[2:3], s[28:29], s13, v46, v[2:3]
	v_mov_b32_e32 v1, v2
	v_lshl_add_u64 v[0:1], v[0:1], 3, s[10:11]
	flat_load_dwordx2 v[0:1], v[0:1]
.LBB158_11:
	s_or_b64 exec, exec, s[26:27]
	v_lshlrev_b32_e32 v2, 3, v46
	s_waitcnt vmcnt(0) lgkmcnt(0)
	ds_write_b64 v2, v[0:1] offset:8192
.LBB158_12:
	s_or_b64 exec, exec, s[20:21]
	s_mov_b32 s20, 0
	v_lshlrev_b32_e32 v0, 3, v14
	s_mov_b32 s21, s20
	v_lshl_or_b32 v2, v5, 8, v0
	v_mov_b64_e32 v[0:1], s[20:21]
	ds_write2_b64 v2, v[0:1], v[0:1] offset1:16
	v_add_u32_e32 v2, 0x1000, v2
	s_mov_b64 s[20:21], 0
	ds_write2_b64 v2, v[0:1], v[0:1] offset1:16
.LBB158_13:
	s_and_b64 vcc, exec, s[20:21]
	s_cbranch_vccz .LBB158_17
; %bb.14:
	s_and_saveexec_b64 s[20:21], s[4:5]
	s_cbranch_execz .LBB158_16
; %bb.15:
	v_mad_u64_u32 v[0:1], s[26:27], s12, v46, 0
	v_mov_b32_e32 v2, v1
	v_mad_u64_u32 v[2:3], s[26:27], s13, v46, v[2:3]
	v_mov_b32_e32 v1, v2
	v_lshl_add_u64 v[0:1], v[0:1], 3, s[10:11]
	flat_load_dwordx2 v[0:1], v[0:1]
	v_lshlrev_b32_e32 v2, 3, v46
	s_waitcnt vmcnt(0) lgkmcnt(0)
	ds_write_b64 v2, v[0:1] offset:8192
.LBB158_16:
	s_or_b64 exec, exec, s[20:21]
.LBB158_17:
	s_lshr_b32 s10, s33, 31
	s_add_i32 s10, s33, s10
	s_ashr_i32 s34, s10, 1
	s_lshl_b64 s[28:29], s[14:15], 3
	s_add_u32 s14, s22, s28
	s_mul_i32 s10, s16, s7
	s_mul_hi_u32 s11, s16, s6
	s_addc_u32 s15, s23, s29
	s_add_i32 s10, s11, s10
	s_mul_i32 s11, s17, s6
	s_add_i32 s11, s10, s11
	s_mul_i32 s10, s16, s6
	s_lshl_b64 s[10:11], s[10:11], 3
	s_add_u32 s38, s14, s10
	s_mul_i32 s3, s3, s30
	s_addc_u32 s39, s15, s11
	s_lshl_b32 s30, s3, 5
	v_lshlrev_b32_e32 v6, 1, v5
	v_mov_b32_e32 v15, 0
	s_ashr_i32 s31, s30, 31
	v_mad_u64_u32 v[16:17], s[10:11], s16, v6, v[14:15]
	s_lshl_b64 s[20:21], s[30:31], 3
	v_mov_b32_e32 v0, v17
	s_add_u32 s26, s38, s20
	v_mad_u64_u32 v[0:1], s[10:11], s17, v6, v[0:1]
	v_cmp_gt_i32_e32 vcc, s34, v5
	s_addc_u32 s27, s39, s21
	v_mov_b32_e32 v17, v0
	s_or_b64 s[14:15], s[8:9], vcc
	v_mov_b32_e32 v0, v15
	v_mov_b32_e32 v1, v15
	;; [unrolled: 1-line block ×4, first 2 shown]
	s_waitcnt lgkmcnt(0)
	s_barrier
	s_and_saveexec_b64 s[8:9], s[14:15]
	s_cbranch_execz .LBB158_19
; %bb.18:
	v_lshl_add_u64 v[8:9], v[16:17], 3, s[26:27]
	v_lshl_add_u64 v[10:11], s[16:17], 3, v[8:9]
	flat_load_dwordx2 v[0:1], v[8:9]
	flat_load_dwordx2 v[2:3], v[10:11]
.LBB158_19:
	s_or_b64 exec, exec, s[8:9]
	s_load_dwordx4 s[8:11], s[0:1], 0x60
	v_lshlrev_b32_e32 v15, 8, v5
	s_waitcnt lgkmcnt(0)
	s_lshl_b64 s[0:1], s[8:9], 3
	s_add_u32 s3, s24, s0
	s_addc_u32 s37, s25, s1
	s_cmp_gt_i32 s40, 0
	s_cbranch_scc1 .LBB158_21
; %bb.20:
	v_lshlrev_b32_e32 v5, 8, v5
	v_mov_b64_e32 v[22:23], 0
	v_mov_b64_e32 v[20:21], 0
	s_cbranch_execz .LBB158_22
	s_branch .LBB158_38
.LBB158_21:
                                        ; implicit-def: $vgpr5
	v_mov_b64_e32 v[22:23], 0
	v_mov_b64_e32 v[20:21], 0
.LBB158_22:
	v_mad_u64_u32 v[8:9], s[0:1], s12, v14, 0
	v_mov_b32_e32 v10, v9
	v_mad_u64_u32 v[10:11], s[0:1], s13, v14, v[10:11]
	s_mul_i32 s0, s12, s31
	s_mul_hi_u32 s1, s12, s30
	s_add_i32 s0, s1, s0
	s_mul_i32 s1, s13, s30
	s_add_i32 s1, s0, s1
	s_mul_i32 s0, s12, s30
	s_lshl_b64 s[0:1], s[0:1], 3
	s_add_u32 s34, s18, s0
	v_mov_b32_e32 v9, v10
	s_addc_u32 s35, s19, s1
	v_lshl_add_u64 v[8:9], v[8:9], 3, s[34:35]
	flat_load_dwordx2 v[30:31], v[8:9]
	s_mul_i32 s8, s10, s31
	s_mul_hi_u32 s9, s10, s30
	s_add_i32 s8, s9, s8
	s_mul_i32 s9, s11, s30
	s_add_i32 s9, s8, s9
	s_mul_i32 s8, s10, s30
	s_lshl_b64 s[8:9], s[8:9], 3
	s_add_u32 s30, s3, s8
	s_addc_u32 s31, s37, s9
	v_mov_b32_e32 v7, 0x2000
	v_mad_u64_u32 v[18:19], s[8:9], s10, v46, 0
	v_lshl_add_u32 v49, v6, 3, v7
	v_mov_b32_e32 v6, v19
	v_lshlrev_b32_e32 v5, 3, v14
	v_mad_u64_u32 v[6:7], s[8:9], s11, v46, v[6:7]
	v_lshlrev_b32_e32 v47, 3, v46
	v_mov_b32_e32 v19, v6
	v_mov_b64_e32 v[26:27], 0
	s_cmp_eq_u32 s40, 1
	v_add_u32_e32 v48, v5, v15
	s_cbranch_scc1 .LBB158_32
; %bb.23:
	v_and_b32_e32 v4, 0xfff0, v4
	v_mov_b32_e32 v5, 0
	v_lshl_add_u64 v[6:7], s[6:7], 3, v[4:5]
	v_lshl_add_u64 v[8:9], v[6:7], 0, 8
	v_mov_b64_e32 v[10:11], s[28:29]
	v_mad_u64_u32 v[20:21], s[26:27], s16, v8, v[10:11]
	v_mul_lo_u32 v4, s16, v9
	v_mul_lo_u32 v8, s17, v8
	v_add3_u32 v21, v8, v21, v4
	v_lshlrev_b32_e32 v4, 3, v14
	v_lshl_add_u64 v[8:9], v[20:21], 0, v[4:5]
	v_lshl_add_u64 v[32:33], s[22:23], 0, v[8:9]
	v_mad_u64_u32 v[8:9], s[26:27], s16, v6, v[10:11]
	v_mul_lo_u32 v7, s16, v7
	v_mul_lo_u32 v6, s17, v6
	v_add3_u32 v9, v6, v9, v7
	v_lshl_add_u64 v[6:7], v[8:9], 0, v[4:5]
	v_lshl_add_u64 v[34:35], s[22:23], 0, v[6:7]
	;; [unrolled: 1-line block ×3, first 2 shown]
	s_mov_b64 s[22:23], 0x100
	v_lshl_add_u64 v[6:7], v[4:5], 0, s[22:23]
	v_mad_u64_u32 v[36:37], s[26:27], s12, v6, 0
	s_mov_b64 s[26:27], 0x80
	s_nop 0
	v_lshl_add_u64 v[4:5], v[4:5], 0, s[26:27]
	v_mul_lo_u32 v8, s13, v6
	v_mul_lo_u32 v7, s12, v7
	v_mul_lo_u32 v6, s13, v4
	v_mul_lo_u32 v5, s12, v5
	v_mad_u64_u32 v[38:39], s[26:27], s12, v4, 0
	s_lshl_b64 s[8:9], s[12:13], 8
	s_lshl_b64 s[24:25], s[10:11], 8
	s_add_i32 s40, s40, -1
	v_add3_u32 v37, v37, v7, v8
	v_add3_u32 v39, v39, v5, v6
	v_mov_b64_e32 v[20:21], 0
	v_mov_b64_e32 v[24:25], s[30:31]
	v_add_u32_e32 v50, 0x800, v47
	v_mov_b64_e32 v[22:23], 0
	v_mov_b64_e32 v[28:29], 0
	;; [unrolled: 1-line block ×3, first 2 shown]
.LBB158_24:                             ; =>This Inner Loop Header: Depth=1
	v_lshl_add_u64 v[4:5], s[18:19], 0, v[38:39]
	flat_load_dwordx2 v[42:43], v[4:5]
	v_lshl_add_u64 v[40:41], v[34:35], 0, s[20:21]
	v_lshl_add_u64 v[44:45], v[32:33], 0, s[20:21]
	s_and_saveexec_b64 s[26:27], s[14:15]
	s_cbranch_execz .LBB158_26
; %bb.25:                               ;   in Loop: Header=BB158_24 Depth=1
	flat_load_dwordx2 v[28:29], v[40:41] offset:128
	flat_load_dwordx2 v[26:27], v[44:45] offset:128
.LBB158_26:                             ;   in Loop: Header=BB158_24 Depth=1
	s_or_b64 exec, exec, s[26:27]
	ds_read_b128 v[8:11], v49
	s_waitcnt vmcnt(0)
	v_mov_b64_e32 v[6:7], v[2:3]
	v_mov_b64_e32 v[4:5], v[0:1]
	s_and_saveexec_b64 s[26:27], s[14:15]
	s_cbranch_execz .LBB158_28
; %bb.27:                               ;   in Loop: Header=BB158_24 Depth=1
	flat_load_dwordx2 v[4:5], v[40:41] offset:256
	flat_load_dwordx2 v[6:7], v[44:45] offset:256
.LBB158_28:                             ;   in Loop: Header=BB158_24 Depth=1
	s_or_b64 exec, exec, s[26:27]
	v_lshl_add_u64 v[40:41], s[18:19], 0, v[36:37]
	flat_load_dwordx2 v[40:41], v[40:41]
	s_waitcnt lgkmcnt(0)
	v_fma_f64 v[44:45], v[0:1], v[8:9], 0
	v_fma_f64 v[8:9], v[28:29], v[8:9], 0
	v_fmac_f64_e32 v[44:45], v[2:3], v[10:11]
	v_fmac_f64_e32 v[8:9], v[26:27], v[10:11]
	s_barrier
	ds_write2_b64 v48, v[44:45], v[8:9] offset1:16
	s_waitcnt lgkmcnt(0)
	s_barrier
	s_and_saveexec_b64 s[26:27], s[4:5]
	s_cbranch_execz .LBB158_30
; %bb.29:                               ;   in Loop: Header=BB158_24 Depth=1
	ds_read2_b64 v[8:11], v47 offset1:32
	ds_read2_b64 v[52:55], v47 offset0:64 offset1:96
	ds_read2_b64 v[56:59], v47 offset0:128 offset1:160
	;; [unrolled: 1-line block ×3, first 2 shown]
	ds_read2_b64 v[64:67], v50 offset1:32
	s_waitcnt lgkmcnt(0)
	v_add_f64 v[8:9], v[8:9], 0
	v_add_f64 v[8:9], v[8:9], v[10:11]
	;; [unrolled: 1-line block ×8, first 2 shown]
	ds_read2_b64 v[8:11], v50 offset0:64 offset1:96
	ds_read2_b64 v[52:55], v50 offset0:128 offset1:160
	v_add_f64 v[44:45], v[44:45], v[64:65]
	v_add_f64 v[44:45], v[44:45], v[66:67]
	ds_read2_b64 v[56:59], v50 offset0:192 offset1:224
	s_waitcnt lgkmcnt(0)
	v_add_f64 v[8:9], v[44:45], v[8:9]
	v_add_f64 v[8:9], v[8:9], v[10:11]
	;; [unrolled: 1-line block ×6, first 2 shown]
	v_lshl_add_u64 v[10:11], v[18:19], 3, v[24:25]
	v_mul_f64 v[8:9], v[12:13], v[8:9]
	flat_atomic_add_f64 v[10:11], v[8:9]
	v_lshl_add_u64 v[24:25], v[24:25], 0, s[24:25]
.LBB158_30:                             ;   in Loop: Header=BB158_24 Depth=1
	s_or_b64 exec, exec, s[26:27]
	s_add_i32 s40, s40, -1
	s_add_u32 s38, s38, 0x100
	s_addc_u32 s39, s39, 0
	s_add_u32 s18, s18, s8
	s_addc_u32 s19, s19, s9
	;; [unrolled: 2-line block ×3, first 2 shown]
	s_add_u32 s26, s38, s20
	v_fmac_f64_e32 v[20:21], v[30:31], v[0:1]
	v_fmac_f64_e32 v[22:23], v[30:31], v[2:3]
	s_addc_u32 s27, s39, s21
	v_fmac_f64_e32 v[20:21], v[42:43], v[28:29]
	v_fmac_f64_e32 v[22:23], v[42:43], v[26:27]
	v_lshl_add_u64 v[32:33], v[32:33], 0, s[22:23]
	s_cmp_eq_u32 s40, 0
	v_lshl_add_u64 v[34:35], v[34:35], 0, s[22:23]
	s_cbranch_scc1 .LBB158_33
; %bb.31:                               ;   in Loop: Header=BB158_24 Depth=1
	s_waitcnt vmcnt(0)
	v_mov_b64_e32 v[0:1], v[4:5]
	v_mov_b64_e32 v[30:31], v[40:41]
	;; [unrolled: 1-line block ×3, first 2 shown]
	s_branch .LBB158_24
.LBB158_32:
	s_waitcnt vmcnt(0)
	v_mov_b64_e32 v[6:7], v[2:3]
	v_mov_b64_e32 v[24:25], s[30:31]
	;; [unrolled: 1-line block ×6, first 2 shown]
	s_waitcnt lgkmcnt(0)
	v_mov_b64_e32 v[40:41], v[30:31]
.LBB158_33:
	v_or_b32_e32 v3, 16, v14
	v_mad_u64_u32 v[0:1], s[0:1], s12, v3, 0
	v_mov_b32_e32 v2, v1
	v_mad_u64_u32 v[2:3], s[0:1], s13, v3, v[2:3]
	v_mov_b32_e32 v1, v2
	v_lshl_add_u64 v[0:1], v[0:1], 3, s[34:35]
	flat_load_dwordx2 v[0:1], v[0:1]
	s_and_saveexec_b64 s[0:1], s[14:15]
	s_cbranch_execz .LBB158_35
; %bb.34:
	v_lshl_add_u64 v[2:3], v[16:17], 3, s[26:27]
	v_lshl_add_u64 v[8:9], s[16:17], 3, v[2:3]
	flat_load_dwordx2 v[28:29], v[2:3] offset:128
	flat_load_dwordx2 v[26:27], v[8:9] offset:128
.LBB158_35:
	s_or_b64 exec, exec, s[0:1]
	ds_read_b128 v[8:11], v49
	s_waitcnt vmcnt(0)
	v_fmac_f64_e32 v[20:21], v[40:41], v[4:5]
	v_fmac_f64_e32 v[22:23], v[40:41], v[6:7]
	s_waitcnt lgkmcnt(0)
	s_barrier
	v_fma_f64 v[2:3], v[4:5], v[8:9], 0
	v_fma_f64 v[4:5], v[28:29], v[8:9], 0
	v_fmac_f64_e32 v[2:3], v[6:7], v[10:11]
	v_fmac_f64_e32 v[4:5], v[26:27], v[10:11]
	ds_write2_b64 v48, v[2:3], v[4:5] offset1:16
	s_waitcnt lgkmcnt(0)
	s_barrier
	s_and_saveexec_b64 s[0:1], s[4:5]
	s_cbranch_execz .LBB158_37
; %bb.36:
	ds_read2_b64 v[2:5], v47 offset1:32
	ds_read2_b64 v[6:9], v47 offset0:64 offset1:96
	ds_read2_b64 v[30:33], v47 offset0:128 offset1:160
	;; [unrolled: 1-line block ×3, first 2 shown]
	v_add_u32_e32 v16, 0x800, v47
	s_waitcnt lgkmcnt(3)
	v_add_f64 v[2:3], v[2:3], 0
	v_add_f64 v[2:3], v[2:3], v[4:5]
	s_waitcnt lgkmcnt(2)
	v_add_f64 v[2:3], v[2:3], v[6:7]
	v_add_f64 v[2:3], v[2:3], v[8:9]
	s_waitcnt lgkmcnt(1)
	v_add_f64 v[6:7], v[2:3], v[30:31]
	ds_read2_b64 v[2:5], v16 offset1:32
	v_add_f64 v[6:7], v[6:7], v[32:33]
	s_waitcnt lgkmcnt(1)
	v_add_f64 v[6:7], v[6:7], v[34:35]
	v_add_f64 v[10:11], v[6:7], v[36:37]
	ds_read2_b64 v[6:9], v16 offset0:64 offset1:96
	ds_read2_b64 v[30:33], v16 offset0:128 offset1:160
	s_waitcnt lgkmcnt(2)
	v_add_f64 v[2:3], v[10:11], v[2:3]
	v_add_f64 v[10:11], v[2:3], v[4:5]
	ds_read2_b64 v[2:5], v16 offset0:192 offset1:224
	s_waitcnt lgkmcnt(2)
	v_add_f64 v[6:7], v[10:11], v[6:7]
	v_add_f64 v[6:7], v[6:7], v[8:9]
	s_waitcnt lgkmcnt(1)
	v_add_f64 v[6:7], v[6:7], v[30:31]
	v_add_f64 v[6:7], v[6:7], v[32:33]
	;; [unrolled: 3-line block ×3, first 2 shown]
	v_lshl_add_u64 v[4:5], v[18:19], 3, v[24:25]
	v_mul_f64 v[2:3], v[12:13], v[2:3]
	flat_atomic_add_f64 v[4:5], v[2:3]
.LBB158_37:
	s_or_b64 exec, exec, s[0:1]
	v_fmac_f64_e32 v[20:21], v[0:1], v[28:29]
	v_fmac_f64_e32 v[22:23], v[0:1], v[26:27]
	v_mov_b32_e32 v5, v15
.LBB158_38:
	s_waitcnt vmcnt(0)
	v_lshl_add_u32 v0, v14, 3, v5
	v_add_u32_e32 v0, 0x1000, v0
	ds_write2_b64 v0, v[20:21], v[22:23] offset1:16
	s_waitcnt lgkmcnt(0)
	s_barrier
	s_and_b64 exec, exec, s[4:5]
	s_cbranch_execz .LBB158_41
; %bb.39:
	s_cmp_lt_u32 s2, s36
	v_cmp_gt_i32_e32 vcc, s33, v46
	s_cselect_b64 s[0:1], -1, 0
	s_or_b64 s[0:1], vcc, s[0:1]
	s_and_b64 exec, exec, s[0:1]
	s_cbranch_execz .LBB158_41
; %bb.40:
	v_mov_b32_e32 v0, 0x1000
	v_add_u32_e32 v1, 1, v46
	v_lshl_add_u32 v15, v46, 7, v0
	v_and_b32_e32 v1, 15, v1
	v_lshl_or_b32 v2, v1, 3, v15
	v_add_u32_e32 v1, 2, v46
	v_and_b32_e32 v1, 15, v1
	v_lshl_or_b32 v0, v14, 3, v15
	v_lshl_or_b32 v4, v1, 3, v15
	ds_read_b64 v[0:1], v0
	ds_read_b64 v[2:3], v2
	;; [unrolled: 1-line block ×3, first 2 shown]
	v_add_u32_e32 v6, 3, v46
	v_and_b32_e32 v6, 15, v6
	s_waitcnt lgkmcnt(2)
	v_add_f64 v[0:1], v[0:1], 0
	s_waitcnt lgkmcnt(1)
	v_add_f64 v[0:1], v[0:1], v[2:3]
	v_add_u32_e32 v3, 5, v46
	v_and_b32_e32 v3, 15, v3
	v_lshl_or_b32 v6, v6, 3, v15
	s_waitcnt lgkmcnt(0)
	v_add_f64 v[0:1], v[0:1], v[4:5]
	v_lshl_or_b32 v4, v3, 3, v15
	v_add_u32_e32 v3, 6, v46
	ds_read_b64 v[6:7], v6
	v_and_b32_e32 v3, 15, v3
	v_add_u32_e32 v2, 4, v46
	v_lshl_or_b32 v8, v3, 3, v15
	v_add_u32_e32 v3, 7, v46
	v_and_b32_e32 v2, 15, v2
	v_and_b32_e32 v3, 15, v3
	v_lshl_or_b32 v2, v2, 3, v15
	v_lshl_or_b32 v10, v3, 3, v15
	ds_read_b64 v[2:3], v2
	ds_read_b64 v[4:5], v4
	;; [unrolled: 1-line block ×4, first 2 shown]
	s_waitcnt lgkmcnt(4)
	v_add_f64 v[0:1], v[0:1], v[6:7]
	s_waitcnt lgkmcnt(3)
	v_add_f64 v[0:1], v[0:1], v[2:3]
	v_add_u32_e32 v3, 9, v46
	v_and_b32_e32 v3, 15, v3
	s_waitcnt lgkmcnt(2)
	v_add_f64 v[0:1], v[0:1], v[4:5]
	v_lshl_or_b32 v4, v3, 3, v15
	v_add_u32_e32 v3, 10, v46
	v_xor_b32_e32 v2, 8, v14
	v_and_b32_e32 v3, 15, v3
	v_lshl_or_b32 v2, v2, 3, v15
	v_lshl_or_b32 v6, v3, 3, v15
	ds_read_b64 v[2:3], v2
	ds_read_b64 v[4:5], v4
	;; [unrolled: 1-line block ×3, first 2 shown]
	s_waitcnt lgkmcnt(4)
	v_add_f64 v[0:1], v[0:1], v[8:9]
	s_waitcnt lgkmcnt(3)
	v_add_f64 v[0:1], v[0:1], v[10:11]
	v_add_u32_e32 v8, 11, v46
	s_waitcnt lgkmcnt(2)
	v_add_f64 v[0:1], v[0:1], v[2:3]
	v_add_u32_e32 v3, 13, v46
	v_and_b32_e32 v8, 15, v8
	v_and_b32_e32 v3, 15, v3
	v_lshl_or_b32 v8, v8, 3, v15
	s_waitcnt lgkmcnt(1)
	v_add_f64 v[0:1], v[0:1], v[4:5]
	v_lshl_or_b32 v4, v3, 3, v15
	v_add_u32_e32 v3, 14, v46
	ds_read_b64 v[8:9], v8
	v_and_b32_e32 v3, 15, v3
	s_waitcnt lgkmcnt(1)
	v_add_f64 v[0:1], v[0:1], v[6:7]
	v_add_u32_e32 v2, 12, v46
	v_lshl_or_b32 v6, v3, 3, v15
	v_add_u32_e32 v3, -1, v46
	s_mul_i32 s0, s10, s7
	s_mul_hi_u32 s1, s10, s6
	v_and_b32_e32 v2, 15, v2
	v_and_b32_e32 v3, 15, v3
	s_add_i32 s0, s1, s0
	s_mul_i32 s1, s11, s6
	v_lshl_or_b32 v2, v2, 3, v15
	v_lshl_or_b32 v10, v3, 3, v15
	s_add_i32 s1, s0, s1
	s_mul_i32 s0, s10, s6
	ds_read_b64 v[2:3], v2
	ds_read_b64 v[4:5], v4
	;; [unrolled: 1-line block ×4, first 2 shown]
	s_lshl_b64 s[0:1], s[0:1], 3
	s_waitcnt lgkmcnt(4)
	v_add_f64 v[0:1], v[0:1], v[8:9]
	s_add_u32 s0, s3, s0
	s_waitcnt lgkmcnt(3)
	v_add_f64 v[0:1], v[0:1], v[2:3]
	v_mad_u64_u32 v[2:3], s[2:3], s10, v46, 0
	s_waitcnt lgkmcnt(2)
	v_add_f64 v[0:1], v[0:1], v[4:5]
	v_mov_b32_e32 v4, v3
	s_waitcnt lgkmcnt(1)
	v_add_f64 v[0:1], v[0:1], v[6:7]
	v_mad_u64_u32 v[4:5], s[2:3], s11, v46, v[4:5]
	s_addc_u32 s1, s37, s1
	s_waitcnt lgkmcnt(0)
	v_add_f64 v[0:1], v[0:1], v[10:11]
	v_mov_b32_e32 v3, v4
	v_lshl_add_u64 v[2:3], v[2:3], 3, s[0:1]
	v_mul_f64 v[0:1], v[12:13], v[0:1]
	flat_atomic_add_f64 v[2:3], v[0:1]
.LBB158_41:
	s_endpgm
	.section	.rodata,"a",@progbits
	.p2align	6, 0x0
	.amdhsa_kernel _ZL62rocblas_symv_kernel_upper_double_buffered_non_diagonal_genericILi32ELi8ELi2ELi0E24rocblas_internal_val_ptrIdEPKPKdPKPdEvbiT3_lT4_lllSA_lllT5_lllii
		.amdhsa_group_segment_fixed_size 8448
		.amdhsa_private_segment_fixed_size 0
		.amdhsa_kernarg_size 384
		.amdhsa_user_sgpr_count 2
		.amdhsa_user_sgpr_dispatch_ptr 0
		.amdhsa_user_sgpr_queue_ptr 0
		.amdhsa_user_sgpr_kernarg_segment_ptr 1
		.amdhsa_user_sgpr_dispatch_id 0
		.amdhsa_user_sgpr_kernarg_preload_length 0
		.amdhsa_user_sgpr_kernarg_preload_offset 0
		.amdhsa_user_sgpr_private_segment_size 0
		.amdhsa_uses_dynamic_stack 0
		.amdhsa_enable_private_segment 0
		.amdhsa_system_sgpr_workgroup_id_x 1
		.amdhsa_system_sgpr_workgroup_id_y 1
		.amdhsa_system_sgpr_workgroup_id_z 1
		.amdhsa_system_sgpr_workgroup_info 0
		.amdhsa_system_vgpr_workitem_id 1
		.amdhsa_next_free_vgpr 68
		.amdhsa_next_free_sgpr 41
		.amdhsa_accum_offset 68
		.amdhsa_reserve_vcc 1
		.amdhsa_float_round_mode_32 0
		.amdhsa_float_round_mode_16_64 0
		.amdhsa_float_denorm_mode_32 3
		.amdhsa_float_denorm_mode_16_64 3
		.amdhsa_dx10_clamp 1
		.amdhsa_ieee_mode 1
		.amdhsa_fp16_overflow 0
		.amdhsa_tg_split 0
		.amdhsa_exception_fp_ieee_invalid_op 0
		.amdhsa_exception_fp_denorm_src 0
		.amdhsa_exception_fp_ieee_div_zero 0
		.amdhsa_exception_fp_ieee_overflow 0
		.amdhsa_exception_fp_ieee_underflow 0
		.amdhsa_exception_fp_ieee_inexact 0
		.amdhsa_exception_int_div_zero 0
	.end_amdhsa_kernel
	.section	.text._ZL62rocblas_symv_kernel_upper_double_buffered_non_diagonal_genericILi32ELi8ELi2ELi0E24rocblas_internal_val_ptrIdEPKPKdPKPdEvbiT3_lT4_lllSA_lllT5_lllii,"axG",@progbits,_ZL62rocblas_symv_kernel_upper_double_buffered_non_diagonal_genericILi32ELi8ELi2ELi0E24rocblas_internal_val_ptrIdEPKPKdPKPdEvbiT3_lT4_lllSA_lllT5_lllii,comdat
.Lfunc_end158:
	.size	_ZL62rocblas_symv_kernel_upper_double_buffered_non_diagonal_genericILi32ELi8ELi2ELi0E24rocblas_internal_val_ptrIdEPKPKdPKPdEvbiT3_lT4_lllSA_lllT5_lllii, .Lfunc_end158-_ZL62rocblas_symv_kernel_upper_double_buffered_non_diagonal_genericILi32ELi8ELi2ELi0E24rocblas_internal_val_ptrIdEPKPKdPKPdEvbiT3_lT4_lllSA_lllT5_lllii
                                        ; -- End function
	.set _ZL62rocblas_symv_kernel_upper_double_buffered_non_diagonal_genericILi32ELi8ELi2ELi0E24rocblas_internal_val_ptrIdEPKPKdPKPdEvbiT3_lT4_lllSA_lllT5_lllii.num_vgpr, 68
	.set _ZL62rocblas_symv_kernel_upper_double_buffered_non_diagonal_genericILi32ELi8ELi2ELi0E24rocblas_internal_val_ptrIdEPKPKdPKPdEvbiT3_lT4_lllSA_lllT5_lllii.num_agpr, 0
	.set _ZL62rocblas_symv_kernel_upper_double_buffered_non_diagonal_genericILi32ELi8ELi2ELi0E24rocblas_internal_val_ptrIdEPKPKdPKPdEvbiT3_lT4_lllSA_lllT5_lllii.numbered_sgpr, 41
	.set _ZL62rocblas_symv_kernel_upper_double_buffered_non_diagonal_genericILi32ELi8ELi2ELi0E24rocblas_internal_val_ptrIdEPKPKdPKPdEvbiT3_lT4_lllSA_lllT5_lllii.num_named_barrier, 0
	.set _ZL62rocblas_symv_kernel_upper_double_buffered_non_diagonal_genericILi32ELi8ELi2ELi0E24rocblas_internal_val_ptrIdEPKPKdPKPdEvbiT3_lT4_lllSA_lllT5_lllii.private_seg_size, 0
	.set _ZL62rocblas_symv_kernel_upper_double_buffered_non_diagonal_genericILi32ELi8ELi2ELi0E24rocblas_internal_val_ptrIdEPKPKdPKPdEvbiT3_lT4_lllSA_lllT5_lllii.uses_vcc, 1
	.set _ZL62rocblas_symv_kernel_upper_double_buffered_non_diagonal_genericILi32ELi8ELi2ELi0E24rocblas_internal_val_ptrIdEPKPKdPKPdEvbiT3_lT4_lllSA_lllT5_lllii.uses_flat_scratch, 0
	.set _ZL62rocblas_symv_kernel_upper_double_buffered_non_diagonal_genericILi32ELi8ELi2ELi0E24rocblas_internal_val_ptrIdEPKPKdPKPdEvbiT3_lT4_lllSA_lllT5_lllii.has_dyn_sized_stack, 0
	.set _ZL62rocblas_symv_kernel_upper_double_buffered_non_diagonal_genericILi32ELi8ELi2ELi0E24rocblas_internal_val_ptrIdEPKPKdPKPdEvbiT3_lT4_lllSA_lllT5_lllii.has_recursion, 0
	.set _ZL62rocblas_symv_kernel_upper_double_buffered_non_diagonal_genericILi32ELi8ELi2ELi0E24rocblas_internal_val_ptrIdEPKPKdPKPdEvbiT3_lT4_lllSA_lllT5_lllii.has_indirect_call, 0
	.section	.AMDGPU.csdata,"",@progbits
; Kernel info:
; codeLenInByte = 3144
; TotalNumSgprs: 47
; NumVgprs: 68
; NumAgprs: 0
; TotalNumVgprs: 68
; ScratchSize: 0
; MemoryBound: 1
; FloatMode: 240
; IeeeMode: 1
; LDSByteSize: 8448 bytes/workgroup (compile time only)
; SGPRBlocks: 5
; VGPRBlocks: 8
; NumSGPRsForWavesPerEU: 47
; NumVGPRsForWavesPerEU: 68
; AccumOffset: 68
; Occupancy: 7
; WaveLimiterHint : 1
; COMPUTE_PGM_RSRC2:SCRATCH_EN: 0
; COMPUTE_PGM_RSRC2:USER_SGPR: 2
; COMPUTE_PGM_RSRC2:TRAP_HANDLER: 0
; COMPUTE_PGM_RSRC2:TGID_X_EN: 1
; COMPUTE_PGM_RSRC2:TGID_Y_EN: 1
; COMPUTE_PGM_RSRC2:TGID_Z_EN: 1
; COMPUTE_PGM_RSRC2:TIDIG_COMP_CNT: 1
; COMPUTE_PGM_RSRC3_GFX90A:ACCUM_OFFSET: 16
; COMPUTE_PGM_RSRC3_GFX90A:TG_SPLIT: 0
	.section	.text._ZL62rocblas_symv_kernel_upper_double_buffered_non_diagonal_genericILi32ELi8ELi2ELi1E24rocblas_internal_val_ptrIdEPKPKdPKPdEvbiT3_lT4_lllSA_lllT5_lllii,"axG",@progbits,_ZL62rocblas_symv_kernel_upper_double_buffered_non_diagonal_genericILi32ELi8ELi2ELi1E24rocblas_internal_val_ptrIdEPKPKdPKPdEvbiT3_lT4_lllSA_lllT5_lllii,comdat
	.globl	_ZL62rocblas_symv_kernel_upper_double_buffered_non_diagonal_genericILi32ELi8ELi2ELi1E24rocblas_internal_val_ptrIdEPKPKdPKPdEvbiT3_lT4_lllSA_lllT5_lllii ; -- Begin function _ZL62rocblas_symv_kernel_upper_double_buffered_non_diagonal_genericILi32ELi8ELi2ELi1E24rocblas_internal_val_ptrIdEPKPKdPKPdEvbiT3_lT4_lllSA_lllT5_lllii
	.p2align	8
	.type	_ZL62rocblas_symv_kernel_upper_double_buffered_non_diagonal_genericILi32ELi8ELi2ELi1E24rocblas_internal_val_ptrIdEPKPKdPKPdEvbiT3_lT4_lllSA_lllT5_lllii,@function
_ZL62rocblas_symv_kernel_upper_double_buffered_non_diagonal_genericILi32ELi8ELi2ELi1E24rocblas_internal_val_ptrIdEPKPKdPKPdEvbiT3_lT4_lllSA_lllT5_lllii: ; @_ZL62rocblas_symv_kernel_upper_double_buffered_non_diagonal_genericILi32ELi8ELi2ELi1E24rocblas_internal_val_ptrIdEPKPKdPKPdEvbiT3_lT4_lllSA_lllT5_lllii
; %bb.0:
	s_load_dword s5, s[0:1], 0x0
	s_load_dwordx8 s[8:15], s[0:1], 0x8
	s_load_dwordx2 s[18:19], s[0:1], 0x28
	s_waitcnt lgkmcnt(0)
	s_bitcmp1_b32 s5, 0
	s_cselect_b64 s[6:7], -1, 0
	s_and_b64 vcc, exec, s[6:7]
	v_mov_b64_e32 v[12:13], s[8:9]
	s_cbranch_vccnz .LBB159_2
; %bb.1:
	s_mul_i32 s5, s11, s4
	s_mul_hi_u32 s6, s10, s4
	s_add_i32 s7, s6, s5
	s_mul_i32 s6, s10, s4
	s_lshl_b64 s[6:7], s[6:7], 3
	s_add_u32 s6, s8, s6
	s_addc_u32 s7, s9, s7
	v_mov_b64_e32 v[2:3], s[6:7]
	flat_load_dwordx2 v[12:13], v[2:3]
.LBB159_2:
	s_waitcnt vmcnt(0) lgkmcnt(0)
	v_cmp_neq_f64_e32 vcc, 0, v[12:13]
	s_and_saveexec_b64 s[6:7], vcc
	s_cbranch_execz .LBB159_73
; %bb.3:
	s_load_dword s6, s[0:1], 0x84
	s_add_u32 s24, s0, 0x80
	s_addc_u32 s25, s1, 0
	s_mov_b32 s5, 0
	s_cmp_eq_u32 s2, 0
	s_waitcnt lgkmcnt(0)
	v_cvt_f32_u32_e32 v1, s6
	v_rcp_iflag_f32_e32 v1, v1
	s_nop 0
	v_mul_f32_e32 v1, 0x4f7ffffe, v1
	v_cvt_u32_f32_e32 v1, v1
	s_nop 0
	v_readfirstlane_b32 s7, v1
	s_cbranch_scc1 .LBB159_73
; %bb.4:
	s_sub_i32 s8, 0, s6
	s_mul_i32 s8, s8, s7
	s_mul_hi_u32 s8, s7, s8
	s_add_i32 s7, s7, s8
	s_load_dwordx2 s[16:17], s[0:1], 0x58
	s_load_dwordx4 s[8:11], s[0:1], 0x38
	s_lshl_b64 s[20:21], s[4:5], 3
	s_add_u32 s4, s12, s20
	s_addc_u32 s5, s13, s21
	s_mul_hi_u32 s7, s2, s7
	s_waitcnt lgkmcnt(0)
	s_add_u32 s8, s8, s20
	s_addc_u32 s9, s9, s21
	s_add_u32 s12, s16, s20
	s_mul_i32 s16, s7, s6
	s_addc_u32 s13, s17, s21
	s_sub_i32 s16, s2, s16
	s_add_i32 s17, s7, 1
	s_sub_i32 s20, s16, s6
	s_cmp_ge_u32 s16, s6
	s_cselect_b32 s7, s17, s7
	s_cselect_b32 s16, s20, s16
	s_add_i32 s17, s7, 1
	s_cmp_ge_u32 s16, s6
	s_cselect_b32 s28, s17, s7
	s_add_i32 s7, s6, -1
	s_cmp_lg_u32 s3, s7
	s_mov_b32 s44, s28
	s_cbranch_scc1 .LBB159_6
; %bb.5:
	s_mul_i32 s6, s28, s6
	s_sub_i32 s6, s2, s6
	s_add_i32 s44, s6, s28
.LBB159_6:
	s_cmp_eq_u32 s44, 0
	s_cbranch_scc1 .LBB159_73
; %bb.7:
	s_load_dwordx2 s[16:17], s[8:9], 0x0
	s_load_dwordx2 s[20:21], s[0:1], 0x48
	;; [unrolled: 1-line block ×4, first 2 shown]
	s_lshl_b64 s[4:5], s[10:11], 3
	s_waitcnt lgkmcnt(0)
	s_add_u32 s22, s16, s4
	s_addc_u32 s23, s17, s5
	s_lshl_b32 s16, s2, 5
	s_ashr_i32 s17, s16, 31
	s_mul_i32 s4, s20, s17
	s_mul_hi_u32 s5, s20, s16
	s_load_dword s33, s[24:25], 0x0
	s_add_i32 s4, s5, s4
	s_mul_i32 s5, s21, s16
	s_add_i32 s5, s4, s5
	s_mul_i32 s4, s20, s16
	s_lshl_b64 s[4:5], s[4:5], 3
	s_add_u32 s10, s22, s4
	s_addc_u32 s11, s23, s5
	s_waitcnt lgkmcnt(0)
	s_add_i32 s33, s33, -1
	s_cmp_lg_u32 s2, s33
	v_and_b32_e32 v44, 0x3ff, v0
	v_bfe_u32 v1, v0, 10, 10
	s_cselect_b64 s[4:5], -1, 0
	v_lshl_add_u32 v4, v1, 5, v44
	v_cmp_eq_u32_e64 s[8:9], 0, v1
	s_mov_b64 s[12:13], -1
	s_and_b64 vcc, exec, s[4:5]
	s_cbranch_vccz .LBB159_11
; %bb.8:
	s_and_saveexec_b64 s[12:13], s[8:9]
	s_cbranch_execz .LBB159_10
; %bb.9:
	v_mad_u64_u32 v[2:3], s[24:25], s20, v44, 0
	v_mov_b32_e32 v6, v3
	v_mad_u64_u32 v[6:7], s[24:25], s21, v44, v[6:7]
	v_mov_b32_e32 v3, v6
	v_lshl_add_u64 v[2:3], v[2:3], 3, s[10:11]
	flat_load_dwordx2 v[2:3], v[2:3]
	v_lshlrev_b32_e32 v1, 3, v44
	s_waitcnt vmcnt(0) lgkmcnt(0)
	ds_write_b64 v1, v[2:3] offset:8192
.LBB159_10:
	s_or_b64 exec, exec, s[12:13]
	s_mov_b64 s[12:13], 0
.LBB159_11:
	s_load_dword s40, s[0:1], 0x78
	v_and_b32_e32 v14, 15, v0
	s_andn2_b64 vcc, exec, s[12:13]
	v_lshrrev_b32_e32 v5, 4, v4
	s_cbranch_vccnz .LBB159_17
; %bb.12:
	s_and_saveexec_b64 s[12:13], s[8:9]
	s_cbranch_execz .LBB159_16
; %bb.13:
	s_waitcnt lgkmcnt(0)
	v_cmp_gt_i32_e32 vcc, s40, v44
	v_mov_b64_e32 v[0:1], 0
	s_and_saveexec_b64 s[24:25], vcc
	s_cbranch_execz .LBB159_15
; %bb.14:
	v_mad_u64_u32 v[0:1], s[30:31], s20, v44, 0
	v_mov_b32_e32 v2, v1
	v_mad_u64_u32 v[2:3], s[30:31], s21, v44, v[2:3]
	v_mov_b32_e32 v1, v2
	v_lshl_add_u64 v[0:1], v[0:1], 3, s[10:11]
	flat_load_dwordx2 v[0:1], v[0:1]
.LBB159_15:
	s_or_b64 exec, exec, s[24:25]
	v_lshlrev_b32_e32 v2, 3, v44
	s_waitcnt vmcnt(0) lgkmcnt(0)
	ds_write_b64 v2, v[0:1] offset:8192
.LBB159_16:
	s_or_b64 exec, exec, s[12:13]
	s_mov_b32 s10, 0
	v_lshlrev_b32_e32 v0, 3, v14
	s_mov_b32 s11, s10
	v_lshl_or_b32 v2, v5, 8, v0
	v_mov_b64_e32 v[0:1], s[10:11]
	ds_write2_b64 v2, v[0:1], v[0:1] offset1:16
	v_add_u32_e32 v2, 0x1000, v2
	ds_write2_b64 v2, v[0:1], v[0:1] offset1:16
.LBB159_17:
	s_waitcnt lgkmcnt(0)
	s_lshr_b32 s10, s40, 31
	s_add_i32 s10, s40, s10
	s_ashr_i32 s45, s10, 1
	s_lshl_b64 s[34:35], s[14:15], 3
	s_add_u32 s12, s26, s34
	s_mul_i32 s10, s18, s17
	s_mul_hi_u32 s11, s18, s16
	s_addc_u32 s13, s27, s35
	s_add_i32 s10, s11, s10
	s_mul_i32 s11, s19, s16
	s_add_i32 s11, s10, s11
	s_mul_i32 s10, s18, s16
	s_lshl_b64 s[10:11], s[10:11], 3
	s_add_u32 s42, s12, s10
	s_mul_i32 s3, s3, s28
	v_lshlrev_b32_e32 v6, 1, v5
	v_mov_b32_e32 v15, 0
	s_addc_u32 s43, s13, s11
	s_lshl_b32 s28, s3, 5
	v_mad_u64_u32 v[16:17], s[10:11], s18, v6, v[14:15]
	s_ashr_i32 s29, s28, 31
	v_mov_b32_e32 v0, v17
	s_lshl_b64 s[24:25], s[28:29], 3
	v_mad_u64_u32 v[0:1], s[10:11], s19, v6, v[0:1]
	s_add_u32 s30, s42, s24
	v_cndmask_b32_e64 v1, 0, 1, s[4:5]
	s_addc_u32 s31, s43, s25
	v_cmp_ne_u32_e64 s[10:11], 1, v1
	s_andn2_b64 vcc, exec, s[4:5]
	v_mov_b32_e32 v17, v0
	s_barrier
	s_cbranch_vccnz .LBB159_19
; %bb.18:
	v_lshl_add_u64 v[8:9], v[16:17], 3, s[30:31]
	v_lshl_add_u64 v[10:11], s[18:19], 3, v[8:9]
	flat_load_dwordx2 v[0:1], v[8:9]
	flat_load_dwordx2 v[2:3], v[10:11]
	v_cmp_le_i32_e64 s[4:5], s45, v5
	s_cbranch_execz .LBB159_20
	s_branch .LBB159_27
.LBB159_19:
                                        ; implicit-def: $vgpr0_vgpr1_vgpr2_vgpr3
	v_cmp_le_i32_e64 s[4:5], s45, v5
.LBB159_20:
                                        ; implicit-def: $vgpr0_vgpr1_vgpr2_vgpr3
	s_and_saveexec_b64 s[12:13], s[4:5]
	s_xor_b64 s[4:5], exec, s[12:13]
	s_cbranch_execz .LBB159_24
; %bb.21:
	s_waitcnt vmcnt(0) lgkmcnt(0)
	v_mov_b32_e32 v0, 0
	v_cmp_eq_u32_e32 vcc, s45, v5
	v_mov_b32_e32 v1, v0
	v_mov_b32_e32 v2, v0
	;; [unrolled: 1-line block ×3, first 2 shown]
	s_and_saveexec_b64 s[12:13], vcc
	s_cbranch_execz .LBB159_23
; %bb.22:
	v_lshl_add_u64 v[2:3], v[16:17], 3, s[30:31]
	flat_load_dwordx2 v[8:9], v[2:3]
	v_mov_b32_e32 v10, v0
	v_mov_b32_e32 v11, v0
	s_waitcnt vmcnt(0) lgkmcnt(0)
	v_mov_b64_e32 v[0:1], v[8:9]
	v_mov_b64_e32 v[2:3], v[10:11]
.LBB159_23:
	s_or_b64 exec, exec, s[12:13]
.LBB159_24:
	s_andn2_saveexec_b64 s[4:5], s[4:5]
	s_cbranch_execz .LBB159_26
; %bb.25:
	v_lshl_add_u64 v[8:9], v[16:17], 3, s[30:31]
	v_lshl_add_u64 v[10:11], s[18:19], 3, v[8:9]
	s_waitcnt vmcnt(0) lgkmcnt(0)
	flat_load_dwordx2 v[0:1], v[8:9]
	flat_load_dwordx2 v[2:3], v[10:11]
.LBB159_26:
	s_or_b64 exec, exec, s[4:5]
.LBB159_27:
	s_load_dwordx4 s[12:15], s[0:1], 0x60
	v_lshlrev_b32_e32 v15, 8, v5
	s_waitcnt lgkmcnt(0)
	s_lshl_b64 s[0:1], s[12:13], 3
	s_add_u32 s3, s6, s0
	s_addc_u32 s41, s7, s1
	s_cmp_gt_i32 s44, 0
	s_cbranch_scc1 .LBB159_29
; %bb.28:
	v_lshlrev_b32_e32 v7, 8, v5
	v_mov_b64_e32 v[22:23], 0
	v_mov_b64_e32 v[20:21], 0
	s_cbranch_execz .LBB159_30
	s_branch .LBB159_70
.LBB159_29:
                                        ; implicit-def: $vgpr7
	v_mov_b64_e32 v[22:23], 0
	v_mov_b64_e32 v[20:21], 0
.LBB159_30:
	v_mad_u64_u32 v[8:9], s[0:1], s20, v14, 0
	v_mov_b32_e32 v10, v9
	v_mad_u64_u32 v[10:11], s[0:1], s21, v14, v[10:11]
	s_mul_i32 s0, s20, s29
	s_mul_hi_u32 s1, s20, s28
	s_add_i32 s0, s1, s0
	s_mul_i32 s1, s21, s28
	s_add_i32 s1, s0, s1
	s_mul_i32 s0, s20, s28
	s_lshl_b64 s[0:1], s[0:1], 3
	s_add_u32 s36, s22, s0
	v_mov_b32_e32 v9, v10
	s_addc_u32 s37, s23, s1
	v_lshl_add_u64 v[8:9], v[8:9], 3, s[36:37]
	flat_load_dwordx2 v[26:27], v[8:9]
	s_mul_i32 s4, s14, s29
	s_mul_hi_u32 s5, s14, s28
	s_add_i32 s4, s5, s4
	s_mul_i32 s5, s15, s28
	s_add_i32 s5, s4, s5
	s_mul_i32 s4, s14, s28
	s_lshl_b64 s[4:5], s[4:5], 3
	s_add_u32 s38, s3, s4
	s_addc_u32 s39, s41, s5
	v_cmp_le_i32_e64 s[6:7], s45, v5
	v_cmp_eq_u32_e64 s[4:5], s45, v5
	v_mov_b32_e32 v5, 0x2000
	v_mad_u64_u32 v[18:19], s[12:13], s14, v44, 0
	v_lshl_add_u32 v47, v6, 3, v5
	v_mov_b32_e32 v6, v19
	v_mad_u64_u32 v[6:7], s[12:13], s15, v44, v[6:7]
	v_lshlrev_b32_e32 v46, 3, v14
	v_lshlrev_b32_e32 v45, 3, v44
	v_mov_b32_e32 v19, v6
	v_mov_b64_e32 v[28:29], 0
	s_cmp_eq_u32 s44, 1
	s_cbranch_scc1 .LBB159_56
; %bb.31:
	v_and_b32_e32 v4, 0xfff0, v4
	v_mov_b32_e32 v5, 0
	v_lshl_add_u64 v[6:7], s[16:17], 3, v[4:5]
	v_lshl_add_u64 v[8:9], v[6:7], 0, 8
	v_mov_b64_e32 v[10:11], s[34:35]
	v_mad_u64_u32 v[20:21], s[30:31], s18, v8, v[10:11]
	v_mul_lo_u32 v4, s18, v9
	v_mul_lo_u32 v8, s19, v8
	v_add3_u32 v21, v8, v21, v4
	v_lshlrev_b32_e32 v4, 3, v14
	v_lshl_add_u64 v[8:9], v[20:21], 0, v[4:5]
	v_lshl_add_u64 v[32:33], s[26:27], 0, v[8:9]
	v_mad_u64_u32 v[8:9], s[30:31], s18, v6, v[10:11]
	v_mul_lo_u32 v7, s18, v7
	v_mul_lo_u32 v6, s19, v6
	v_add3_u32 v9, v6, v9, v7
	v_lshl_add_u64 v[6:7], v[8:9], 0, v[4:5]
	v_lshl_add_u64 v[34:35], s[26:27], 0, v[6:7]
	;; [unrolled: 1-line block ×3, first 2 shown]
	s_mov_b64 s[26:27], 0x100
	v_lshl_add_u64 v[6:7], v[4:5], 0, s[26:27]
	v_mad_u64_u32 v[36:37], s[30:31], s20, v6, 0
	s_mov_b64 s[30:31], 0x80
	s_nop 0
	v_lshl_add_u64 v[4:5], v[4:5], 0, s[30:31]
	v_mul_lo_u32 v8, s21, v6
	v_mul_lo_u32 v7, s20, v7
	;; [unrolled: 1-line block ×4, first 2 shown]
	v_mad_u64_u32 v[38:39], s[30:31], s20, v4, 0
	s_lshl_b64 s[12:13], s[20:21], 8
	s_lshl_b64 s[28:29], s[14:15], 8
	s_add_i32 s44, s44, -1
	v_add3_u32 v37, v37, v7, v8
	v_add3_u32 v39, v39, v5, v6
	v_mov_b64_e32 v[20:21], 0
	v_mov_b64_e32 v[24:25], s[38:39]
	;; [unrolled: 1-line block ×5, first 2 shown]
.LBB159_32:                             ; =>This Inner Loop Header: Depth=1
	v_lshl_add_u64 v[8:9], s[22:23], 0, v[38:39]
	flat_load_dwordx2 v[40:41], v[8:9]
	s_and_b64 vcc, exec, s[10:11]
	s_mov_b64 s[30:31], -1
                                        ; implicit-def: $vgpr28_vgpr29
                                        ; implicit-def: $vgpr30_vgpr31
	s_cbranch_vccnz .LBB159_36
; %bb.33:                               ;   in Loop: Header=BB159_32 Depth=1
	v_lshl_add_u64 v[8:9], v[34:35], 0, s[24:25]
	flat_load_dwordx2 v[30:31], v[8:9] offset:128
	v_lshl_add_u64 v[8:9], v[32:33], 0, s[24:25]
	flat_load_dwordx2 v[28:29], v[8:9] offset:128
	s_cbranch_execz .LBB159_37
.LBB159_34:                             ;   in Loop: Header=BB159_32 Depth=1
	ds_read_b128 v[8:11], v47
	s_and_b64 vcc, exec, s[10:11]
	s_mov_b64 s[30:31], -1
                                        ; implicit-def: $vgpr4_vgpr5_vgpr6_vgpr7
	s_cbranch_vccnz .LBB159_44
.LBB159_35:                             ;   in Loop: Header=BB159_32 Depth=1
	v_lshl_add_u64 v[4:5], v[34:35], 0, s[24:25]
	v_lshl_add_u64 v[6:7], v[32:33], 0, s[24:25]
	flat_load_dwordx2 v[4:5], v[4:5] offset:256
	s_nop 0
	flat_load_dwordx2 v[6:7], v[6:7] offset:256
	s_cbranch_execnz .LBB159_52
	s_branch .LBB159_45
.LBB159_36:                             ;   in Loop: Header=BB159_32 Depth=1
	s_andn2_b64 vcc, exec, s[30:31]
	s_cbranch_vccnz .LBB159_34
.LBB159_37:                             ;   in Loop: Header=BB159_32 Depth=1
	s_and_saveexec_b64 s[30:31], s[6:7]
	s_xor_b64 s[30:31], exec, s[30:31]
	s_cbranch_execz .LBB159_41
; %bb.38:                               ;   in Loop: Header=BB159_32 Depth=1
	s_and_saveexec_b64 s[34:35], s[4:5]
	s_cbranch_execz .LBB159_40
; %bb.39:                               ;   in Loop: Header=BB159_32 Depth=1
	v_lshl_add_u64 v[4:5], v[34:35], 0, s[24:25]
	flat_load_dwordx2 v[4:5], v[4:5] offset:128
.LBB159_40:                             ;   in Loop: Header=BB159_32 Depth=1
	s_or_b64 exec, exec, s[34:35]
.LBB159_41:                             ;   in Loop: Header=BB159_32 Depth=1
	s_andn2_saveexec_b64 s[30:31], s[30:31]
	s_cbranch_execz .LBB159_43
; %bb.42:                               ;   in Loop: Header=BB159_32 Depth=1
	s_waitcnt vmcnt(0) lgkmcnt(0)
	v_lshl_add_u64 v[4:5], v[34:35], 0, s[24:25]
	v_lshl_add_u64 v[6:7], v[32:33], 0, s[24:25]
	flat_load_dwordx2 v[4:5], v[4:5] offset:128
	s_nop 0
	flat_load_dwordx2 v[6:7], v[6:7] offset:128
.LBB159_43:                             ;   in Loop: Header=BB159_32 Depth=1
	s_or_b64 exec, exec, s[30:31]
	s_waitcnt vmcnt(0) lgkmcnt(0)
	v_mov_b64_e32 v[30:31], v[4:5]
	v_mov_b64_e32 v[28:29], v[6:7]
	ds_read_b128 v[8:11], v47
	s_and_b64 vcc, exec, s[10:11]
	s_mov_b64 s[30:31], -1
                                        ; implicit-def: $vgpr4_vgpr5_vgpr6_vgpr7
	s_cbranch_vccz .LBB159_35
.LBB159_44:                             ;   in Loop: Header=BB159_32 Depth=1
	s_andn2_b64 vcc, exec, s[30:31]
	s_cbranch_vccnz .LBB159_52
.LBB159_45:                             ;   in Loop: Header=BB159_32 Depth=1
                                        ; implicit-def: $vgpr4_vgpr5_vgpr6_vgpr7
	s_and_saveexec_b64 s[30:31], s[6:7]
	s_xor_b64 s[30:31], exec, s[30:31]
	s_cbranch_execz .LBB159_49
; %bb.46:                               ;   in Loop: Header=BB159_32 Depth=1
	s_waitcnt vmcnt(0) lgkmcnt(0)
	v_mov_b64_e32 v[6:7], v[2:3]
	v_mov_b64_e32 v[4:5], v[0:1]
	s_and_saveexec_b64 s[34:35], s[4:5]
	s_cbranch_execz .LBB159_48
; %bb.47:                               ;   in Loop: Header=BB159_32 Depth=1
	v_lshl_add_u64 v[4:5], v[34:35], 0, s[24:25]
	flat_load_dwordx2 v[42:43], v[4:5] offset:256
	v_mov_b64_e32 v[6:7], v[2:3]
	v_mov_b64_e32 v[4:5], v[0:1]
	s_waitcnt vmcnt(0) lgkmcnt(0)
	v_mov_b32_e32 v4, v42
	v_mov_b32_e32 v5, v43
.LBB159_48:                             ;   in Loop: Header=BB159_32 Depth=1
	s_or_b64 exec, exec, s[34:35]
.LBB159_49:                             ;   in Loop: Header=BB159_32 Depth=1
	s_andn2_saveexec_b64 s[30:31], s[30:31]
	s_cbranch_execz .LBB159_51
; %bb.50:                               ;   in Loop: Header=BB159_32 Depth=1
	s_waitcnt vmcnt(0) lgkmcnt(0)
	v_lshl_add_u64 v[4:5], v[34:35], 0, s[24:25]
	v_lshl_add_u64 v[6:7], v[32:33], 0, s[24:25]
	flat_load_dwordx2 v[4:5], v[4:5] offset:256
	s_nop 0
	flat_load_dwordx2 v[6:7], v[6:7] offset:256
.LBB159_51:                             ;   in Loop: Header=BB159_32 Depth=1
	s_or_b64 exec, exec, s[30:31]
.LBB159_52:                             ;   in Loop: Header=BB159_32 Depth=1
	v_lshl_add_u64 v[42:43], s[22:23], 0, v[36:37]
	flat_load_dwordx2 v[42:43], v[42:43]
	s_waitcnt vmcnt(0) lgkmcnt(0)
	v_fma_f64 v[48:49], v[0:1], v[8:9], 0
	v_fma_f64 v[8:9], v[30:31], v[8:9], 0
	v_fmac_f64_e32 v[48:49], v[2:3], v[10:11]
	v_fmac_f64_e32 v[8:9], v[28:29], v[10:11]
	v_add_u32_e32 v10, v46, v15
	s_barrier
	ds_write2_b64 v10, v[48:49], v[8:9] offset1:16
	s_waitcnt lgkmcnt(0)
	s_barrier
	s_and_saveexec_b64 s[30:31], s[8:9]
	s_cbranch_execz .LBB159_54
; %bb.53:                               ;   in Loop: Header=BB159_32 Depth=1
	ds_read2_b64 v[8:11], v45 offset1:32
	ds_read2_b64 v[48:51], v45 offset0:64 offset1:96
	ds_read2_b64 v[52:55], v45 offset0:128 offset1:160
	;; [unrolled: 1-line block ×3, first 2 shown]
	v_add_u32_e32 v60, 0x800, v45
	s_waitcnt lgkmcnt(3)
	v_add_f64 v[8:9], v[8:9], 0
	v_add_f64 v[8:9], v[8:9], v[10:11]
	s_waitcnt lgkmcnt(2)
	v_add_f64 v[8:9], v[8:9], v[48:49]
	v_add_f64 v[8:9], v[8:9], v[50:51]
	s_waitcnt lgkmcnt(1)
	v_add_f64 v[48:49], v[8:9], v[52:53]
	ds_read2_b64 v[8:11], v60 offset1:32
	v_add_f64 v[48:49], v[48:49], v[54:55]
	s_waitcnt lgkmcnt(1)
	v_add_f64 v[48:49], v[48:49], v[56:57]
	v_add_f64 v[52:53], v[48:49], v[58:59]
	ds_read2_b64 v[48:51], v60 offset0:64 offset1:96
	s_waitcnt lgkmcnt(1)
	v_add_f64 v[8:9], v[52:53], v[8:9]
	ds_read2_b64 v[52:55], v60 offset0:128 offset1:160
	v_add_f64 v[56:57], v[8:9], v[10:11]
	ds_read2_b64 v[8:11], v60 offset0:192 offset1:224
	s_waitcnt lgkmcnt(2)
	v_add_f64 v[48:49], v[56:57], v[48:49]
	v_add_f64 v[48:49], v[48:49], v[50:51]
	s_waitcnt lgkmcnt(1)
	v_add_f64 v[48:49], v[48:49], v[52:53]
	v_add_f64 v[48:49], v[48:49], v[54:55]
	;; [unrolled: 3-line block ×3, first 2 shown]
	v_lshl_add_u64 v[10:11], v[18:19], 3, v[24:25]
	v_mul_f64 v[8:9], v[12:13], v[8:9]
	flat_atomic_add_f64 v[10:11], v[8:9]
	v_lshl_add_u64 v[24:25], v[24:25], 0, s[28:29]
.LBB159_54:                             ;   in Loop: Header=BB159_32 Depth=1
	s_or_b64 exec, exec, s[30:31]
	s_add_i32 s44, s44, -1
	s_add_u32 s42, s42, 0x100
	s_addc_u32 s43, s43, 0
	s_add_u32 s22, s22, s12
	s_addc_u32 s23, s23, s13
	;; [unrolled: 2-line block ×3, first 2 shown]
	s_add_u32 s30, s42, s24
	v_fmac_f64_e32 v[20:21], v[26:27], v[0:1]
	v_fmac_f64_e32 v[22:23], v[26:27], v[2:3]
	s_addc_u32 s31, s43, s25
	v_fmac_f64_e32 v[20:21], v[40:41], v[30:31]
	v_fmac_f64_e32 v[22:23], v[40:41], v[28:29]
	v_lshl_add_u64 v[32:33], v[32:33], 0, s[26:27]
	s_cmp_eq_u32 s44, 0
	v_lshl_add_u64 v[34:35], v[34:35], 0, s[26:27]
	s_cbranch_scc1 .LBB159_57
; %bb.55:                               ;   in Loop: Header=BB159_32 Depth=1
	v_mov_b64_e32 v[0:1], v[4:5]
	v_mov_b64_e32 v[26:27], v[42:43]
	;; [unrolled: 1-line block ×5, first 2 shown]
	s_branch .LBB159_32
.LBB159_56:
	s_waitcnt vmcnt(0)
	v_mov_b64_e32 v[6:7], v[2:3]
	v_mov_b64_e32 v[24:25], s[38:39]
	;; [unrolled: 1-line block ×6, first 2 shown]
	s_waitcnt lgkmcnt(0)
	v_mov_b64_e32 v[42:43], v[26:27]
.LBB159_57:
	v_or_b32_e32 v3, 16, v14
	v_mad_u64_u32 v[0:1], s[0:1], s20, v3, 0
	v_mov_b32_e32 v2, v1
	v_mad_u64_u32 v[2:3], s[0:1], s21, v3, v[2:3]
	v_mov_b32_e32 v1, v2
	v_lshl_add_u64 v[0:1], v[0:1], 3, s[36:37]
	flat_load_dwordx2 v[0:1], v[0:1]
	s_and_b64 vcc, exec, s[10:11]
	s_cbranch_vccnz .LBB159_59
; %bb.58:
	v_lshl_add_u64 v[10:11], v[16:17], 3, s[30:31]
	v_lshl_add_u64 v[26:27], s[18:19], 3, v[10:11]
	flat_load_dwordx2 v[8:9], v[10:11] offset:128
	flat_load_dwordx2 v[2:3], v[26:27] offset:128
	s_cbranch_execz .LBB159_60
	s_branch .LBB159_67
.LBB159_59:
                                        ; implicit-def: $vgpr2_vgpr3
                                        ; implicit-def: $vgpr8_vgpr9
.LBB159_60:
	s_and_saveexec_b64 s[0:1], s[6:7]
	s_xor_b64 s[0:1], exec, s[0:1]
	s_cbranch_execz .LBB159_64
; %bb.61:
	s_and_saveexec_b64 s[6:7], s[4:5]
	s_cbranch_execz .LBB159_63
; %bb.62:
	s_waitcnt vmcnt(0) lgkmcnt(0)
	v_lshl_add_u64 v[2:3], v[16:17], 3, s[30:31]
	flat_load_dwordx2 v[30:31], v[2:3] offset:128
.LBB159_63:
	s_or_b64 exec, exec, s[6:7]
                                        ; implicit-def: $vgpr16_vgpr17
.LBB159_64:
	s_andn2_saveexec_b64 s[0:1], s[0:1]
	s_cbranch_execz .LBB159_66
; %bb.65:
	s_waitcnt vmcnt(0) lgkmcnt(0)
	v_lshl_add_u64 v[2:3], v[16:17], 3, s[30:31]
	v_lshl_add_u64 v[8:9], s[18:19], 3, v[2:3]
	flat_load_dwordx2 v[30:31], v[2:3] offset:128
	flat_load_dwordx2 v[28:29], v[8:9] offset:128
.LBB159_66:
	s_or_b64 exec, exec, s[0:1]
	s_waitcnt vmcnt(0) lgkmcnt(0)
	v_mov_b64_e32 v[8:9], v[30:31]
	v_mov_b64_e32 v[2:3], v[28:29]
.LBB159_67:
	ds_read_b128 v[26:29], v47
	v_fmac_f64_e32 v[20:21], v[42:43], v[4:5]
	v_fmac_f64_e32 v[22:23], v[42:43], v[6:7]
	s_waitcnt lgkmcnt(0)
	s_barrier
	v_fma_f64 v[4:5], v[4:5], v[26:27], 0
	s_waitcnt vmcnt(0)
	v_fma_f64 v[10:11], v[8:9], v[26:27], 0
	v_fmac_f64_e32 v[4:5], v[6:7], v[28:29]
	v_fmac_f64_e32 v[10:11], v[2:3], v[28:29]
	v_add_u32_e32 v6, v46, v15
	ds_write2_b64 v6, v[4:5], v[10:11] offset1:16
	s_waitcnt lgkmcnt(0)
	s_barrier
	s_and_saveexec_b64 s[0:1], s[8:9]
	s_cbranch_execz .LBB159_69
; %bb.68:
	ds_read2_b64 v[4:7], v45 offset1:32
	ds_read2_b64 v[26:29], v45 offset0:64 offset1:96
	ds_read2_b64 v[30:33], v45 offset0:128 offset1:160
	ds_read2_b64 v[34:37], v45 offset0:192 offset1:224
	v_add_u32_e32 v16, 0x800, v45
	s_waitcnt lgkmcnt(3)
	v_add_f64 v[4:5], v[4:5], 0
	v_add_f64 v[4:5], v[4:5], v[6:7]
	s_waitcnt lgkmcnt(2)
	v_add_f64 v[4:5], v[4:5], v[26:27]
	v_add_f64 v[4:5], v[4:5], v[28:29]
	s_waitcnt lgkmcnt(1)
	v_add_f64 v[10:11], v[4:5], v[30:31]
	ds_read2_b64 v[4:7], v16 offset1:32
	v_add_f64 v[10:11], v[10:11], v[32:33]
	ds_read2_b64 v[26:29], v16 offset0:64 offset1:96
	s_waitcnt lgkmcnt(2)
	v_add_f64 v[10:11], v[10:11], v[34:35]
	v_add_f64 v[10:11], v[10:11], v[36:37]
	ds_read2_b64 v[30:33], v16 offset0:128 offset1:160
	s_waitcnt lgkmcnt(2)
	v_add_f64 v[4:5], v[10:11], v[4:5]
	v_add_f64 v[10:11], v[4:5], v[6:7]
	ds_read2_b64 v[4:7], v16 offset0:192 offset1:224
	s_waitcnt lgkmcnt(2)
	v_add_f64 v[10:11], v[10:11], v[26:27]
	v_add_f64 v[10:11], v[10:11], v[28:29]
	s_waitcnt lgkmcnt(1)
	v_add_f64 v[10:11], v[10:11], v[30:31]
	v_add_f64 v[10:11], v[10:11], v[32:33]
	s_waitcnt lgkmcnt(0)
	v_add_f64 v[4:5], v[10:11], v[4:5]
	v_add_f64 v[4:5], v[4:5], v[6:7]
	v_lshl_add_u64 v[6:7], v[18:19], 3, v[24:25]
	v_mul_f64 v[4:5], v[12:13], v[4:5]
	flat_atomic_add_f64 v[6:7], v[4:5]
.LBB159_69:
	s_or_b64 exec, exec, s[0:1]
	v_fmac_f64_e32 v[20:21], v[0:1], v[8:9]
	v_fmac_f64_e32 v[22:23], v[0:1], v[2:3]
	v_mov_b32_e32 v7, v15
.LBB159_70:
	s_waitcnt vmcnt(0)
	v_lshl_add_u32 v0, v14, 3, v7
	v_add_u32_e32 v0, 0x1000, v0
	ds_write2_b64 v0, v[20:21], v[22:23] offset1:16
	s_waitcnt lgkmcnt(0)
	s_barrier
	s_and_b64 exec, exec, s[8:9]
	s_cbranch_execz .LBB159_73
; %bb.71:
	s_cmp_lt_u32 s2, s33
	v_cmp_gt_i32_e32 vcc, s40, v44
	s_cselect_b64 s[0:1], -1, 0
	s_or_b64 s[0:1], vcc, s[0:1]
	s_and_b64 exec, exec, s[0:1]
	s_cbranch_execz .LBB159_73
; %bb.72:
	v_mov_b32_e32 v0, 0x1000
	v_add_u32_e32 v1, 1, v44
	v_lshl_add_u32 v15, v44, 7, v0
	v_and_b32_e32 v1, 15, v1
	v_lshl_or_b32 v2, v1, 3, v15
	v_add_u32_e32 v1, 2, v44
	v_and_b32_e32 v1, 15, v1
	v_lshl_or_b32 v0, v14, 3, v15
	v_lshl_or_b32 v4, v1, 3, v15
	ds_read_b64 v[0:1], v0
	ds_read_b64 v[2:3], v2
	;; [unrolled: 1-line block ×3, first 2 shown]
	v_add_u32_e32 v6, 3, v44
	v_and_b32_e32 v6, 15, v6
	s_waitcnt lgkmcnt(2)
	v_add_f64 v[0:1], v[0:1], 0
	s_waitcnt lgkmcnt(1)
	v_add_f64 v[0:1], v[0:1], v[2:3]
	v_add_u32_e32 v3, 5, v44
	v_and_b32_e32 v3, 15, v3
	v_lshl_or_b32 v6, v6, 3, v15
	s_waitcnt lgkmcnt(0)
	v_add_f64 v[0:1], v[0:1], v[4:5]
	v_lshl_or_b32 v4, v3, 3, v15
	v_add_u32_e32 v3, 6, v44
	ds_read_b64 v[6:7], v6
	v_and_b32_e32 v3, 15, v3
	v_add_u32_e32 v2, 4, v44
	v_lshl_or_b32 v8, v3, 3, v15
	v_add_u32_e32 v3, 7, v44
	v_and_b32_e32 v2, 15, v2
	v_and_b32_e32 v3, 15, v3
	v_lshl_or_b32 v2, v2, 3, v15
	v_lshl_or_b32 v10, v3, 3, v15
	ds_read_b64 v[2:3], v2
	ds_read_b64 v[4:5], v4
	ds_read_b64 v[8:9], v8
	ds_read_b64 v[10:11], v10
	s_waitcnt lgkmcnt(4)
	v_add_f64 v[0:1], v[0:1], v[6:7]
	s_waitcnt lgkmcnt(3)
	v_add_f64 v[0:1], v[0:1], v[2:3]
	v_add_u32_e32 v3, 9, v44
	v_and_b32_e32 v3, 15, v3
	s_waitcnt lgkmcnt(2)
	v_add_f64 v[0:1], v[0:1], v[4:5]
	v_lshl_or_b32 v4, v3, 3, v15
	v_add_u32_e32 v3, 10, v44
	v_xor_b32_e32 v2, 8, v14
	v_and_b32_e32 v3, 15, v3
	v_lshl_or_b32 v2, v2, 3, v15
	v_lshl_or_b32 v6, v3, 3, v15
	ds_read_b64 v[2:3], v2
	ds_read_b64 v[4:5], v4
	;; [unrolled: 1-line block ×3, first 2 shown]
	s_waitcnt lgkmcnt(4)
	v_add_f64 v[0:1], v[0:1], v[8:9]
	s_waitcnt lgkmcnt(3)
	v_add_f64 v[0:1], v[0:1], v[10:11]
	v_add_u32_e32 v8, 11, v44
	s_waitcnt lgkmcnt(2)
	v_add_f64 v[0:1], v[0:1], v[2:3]
	v_add_u32_e32 v3, 13, v44
	v_and_b32_e32 v8, 15, v8
	v_and_b32_e32 v3, 15, v3
	v_lshl_or_b32 v8, v8, 3, v15
	s_waitcnt lgkmcnt(1)
	v_add_f64 v[0:1], v[0:1], v[4:5]
	v_lshl_or_b32 v4, v3, 3, v15
	v_add_u32_e32 v3, 14, v44
	ds_read_b64 v[8:9], v8
	v_and_b32_e32 v3, 15, v3
	s_waitcnt lgkmcnt(1)
	v_add_f64 v[0:1], v[0:1], v[6:7]
	v_add_u32_e32 v2, 12, v44
	v_lshl_or_b32 v6, v3, 3, v15
	v_add_u32_e32 v3, -1, v44
	s_mul_i32 s0, s14, s17
	s_mul_hi_u32 s1, s14, s16
	v_and_b32_e32 v2, 15, v2
	v_and_b32_e32 v3, 15, v3
	s_add_i32 s0, s1, s0
	s_mul_i32 s1, s15, s16
	v_lshl_or_b32 v2, v2, 3, v15
	v_lshl_or_b32 v10, v3, 3, v15
	s_add_i32 s1, s0, s1
	s_mul_i32 s0, s14, s16
	ds_read_b64 v[2:3], v2
	ds_read_b64 v[4:5], v4
	;; [unrolled: 1-line block ×4, first 2 shown]
	s_lshl_b64 s[0:1], s[0:1], 3
	s_waitcnt lgkmcnt(4)
	v_add_f64 v[0:1], v[0:1], v[8:9]
	s_add_u32 s0, s3, s0
	s_waitcnt lgkmcnt(3)
	v_add_f64 v[0:1], v[0:1], v[2:3]
	v_mad_u64_u32 v[2:3], s[2:3], s14, v44, 0
	s_waitcnt lgkmcnt(2)
	v_add_f64 v[0:1], v[0:1], v[4:5]
	v_mov_b32_e32 v4, v3
	s_waitcnt lgkmcnt(1)
	v_add_f64 v[0:1], v[0:1], v[6:7]
	v_mad_u64_u32 v[4:5], s[2:3], s15, v44, v[4:5]
	s_addc_u32 s1, s41, s1
	s_waitcnt lgkmcnt(0)
	v_add_f64 v[0:1], v[0:1], v[10:11]
	v_mov_b32_e32 v3, v4
	v_lshl_add_u64 v[2:3], v[2:3], 3, s[0:1]
	v_mul_f64 v[0:1], v[12:13], v[0:1]
	flat_atomic_add_f64 v[2:3], v[0:1]
.LBB159_73:
	s_endpgm
	.section	.rodata,"a",@progbits
	.p2align	6, 0x0
	.amdhsa_kernel _ZL62rocblas_symv_kernel_upper_double_buffered_non_diagonal_genericILi32ELi8ELi2ELi1E24rocblas_internal_val_ptrIdEPKPKdPKPdEvbiT3_lT4_lllSA_lllT5_lllii
		.amdhsa_group_segment_fixed_size 8448
		.amdhsa_private_segment_fixed_size 0
		.amdhsa_kernarg_size 384
		.amdhsa_user_sgpr_count 2
		.amdhsa_user_sgpr_dispatch_ptr 0
		.amdhsa_user_sgpr_queue_ptr 0
		.amdhsa_user_sgpr_kernarg_segment_ptr 1
		.amdhsa_user_sgpr_dispatch_id 0
		.amdhsa_user_sgpr_kernarg_preload_length 0
		.amdhsa_user_sgpr_kernarg_preload_offset 0
		.amdhsa_user_sgpr_private_segment_size 0
		.amdhsa_uses_dynamic_stack 0
		.amdhsa_enable_private_segment 0
		.amdhsa_system_sgpr_workgroup_id_x 1
		.amdhsa_system_sgpr_workgroup_id_y 1
		.amdhsa_system_sgpr_workgroup_id_z 1
		.amdhsa_system_sgpr_workgroup_info 0
		.amdhsa_system_vgpr_workitem_id 1
		.amdhsa_next_free_vgpr 61
		.amdhsa_next_free_sgpr 46
		.amdhsa_accum_offset 64
		.amdhsa_reserve_vcc 1
		.amdhsa_float_round_mode_32 0
		.amdhsa_float_round_mode_16_64 0
		.amdhsa_float_denorm_mode_32 3
		.amdhsa_float_denorm_mode_16_64 3
		.amdhsa_dx10_clamp 1
		.amdhsa_ieee_mode 1
		.amdhsa_fp16_overflow 0
		.amdhsa_tg_split 0
		.amdhsa_exception_fp_ieee_invalid_op 0
		.amdhsa_exception_fp_denorm_src 0
		.amdhsa_exception_fp_ieee_div_zero 0
		.amdhsa_exception_fp_ieee_overflow 0
		.amdhsa_exception_fp_ieee_underflow 0
		.amdhsa_exception_fp_ieee_inexact 0
		.amdhsa_exception_int_div_zero 0
	.end_amdhsa_kernel
	.section	.text._ZL62rocblas_symv_kernel_upper_double_buffered_non_diagonal_genericILi32ELi8ELi2ELi1E24rocblas_internal_val_ptrIdEPKPKdPKPdEvbiT3_lT4_lllSA_lllT5_lllii,"axG",@progbits,_ZL62rocblas_symv_kernel_upper_double_buffered_non_diagonal_genericILi32ELi8ELi2ELi1E24rocblas_internal_val_ptrIdEPKPKdPKPdEvbiT3_lT4_lllSA_lllT5_lllii,comdat
.Lfunc_end159:
	.size	_ZL62rocblas_symv_kernel_upper_double_buffered_non_diagonal_genericILi32ELi8ELi2ELi1E24rocblas_internal_val_ptrIdEPKPKdPKPdEvbiT3_lT4_lllSA_lllT5_lllii, .Lfunc_end159-_ZL62rocblas_symv_kernel_upper_double_buffered_non_diagonal_genericILi32ELi8ELi2ELi1E24rocblas_internal_val_ptrIdEPKPKdPKPdEvbiT3_lT4_lllSA_lllT5_lllii
                                        ; -- End function
	.set _ZL62rocblas_symv_kernel_upper_double_buffered_non_diagonal_genericILi32ELi8ELi2ELi1E24rocblas_internal_val_ptrIdEPKPKdPKPdEvbiT3_lT4_lllSA_lllT5_lllii.num_vgpr, 61
	.set _ZL62rocblas_symv_kernel_upper_double_buffered_non_diagonal_genericILi32ELi8ELi2ELi1E24rocblas_internal_val_ptrIdEPKPKdPKPdEvbiT3_lT4_lllSA_lllT5_lllii.num_agpr, 0
	.set _ZL62rocblas_symv_kernel_upper_double_buffered_non_diagonal_genericILi32ELi8ELi2ELi1E24rocblas_internal_val_ptrIdEPKPKdPKPdEvbiT3_lT4_lllSA_lllT5_lllii.numbered_sgpr, 46
	.set _ZL62rocblas_symv_kernel_upper_double_buffered_non_diagonal_genericILi32ELi8ELi2ELi1E24rocblas_internal_val_ptrIdEPKPKdPKPdEvbiT3_lT4_lllSA_lllT5_lllii.num_named_barrier, 0
	.set _ZL62rocblas_symv_kernel_upper_double_buffered_non_diagonal_genericILi32ELi8ELi2ELi1E24rocblas_internal_val_ptrIdEPKPKdPKPdEvbiT3_lT4_lllSA_lllT5_lllii.private_seg_size, 0
	.set _ZL62rocblas_symv_kernel_upper_double_buffered_non_diagonal_genericILi32ELi8ELi2ELi1E24rocblas_internal_val_ptrIdEPKPKdPKPdEvbiT3_lT4_lllSA_lllT5_lllii.uses_vcc, 1
	.set _ZL62rocblas_symv_kernel_upper_double_buffered_non_diagonal_genericILi32ELi8ELi2ELi1E24rocblas_internal_val_ptrIdEPKPKdPKPdEvbiT3_lT4_lllSA_lllT5_lllii.uses_flat_scratch, 0
	.set _ZL62rocblas_symv_kernel_upper_double_buffered_non_diagonal_genericILi32ELi8ELi2ELi1E24rocblas_internal_val_ptrIdEPKPKdPKPdEvbiT3_lT4_lllSA_lllT5_lllii.has_dyn_sized_stack, 0
	.set _ZL62rocblas_symv_kernel_upper_double_buffered_non_diagonal_genericILi32ELi8ELi2ELi1E24rocblas_internal_val_ptrIdEPKPKdPKPdEvbiT3_lT4_lllSA_lllT5_lllii.has_recursion, 0
	.set _ZL62rocblas_symv_kernel_upper_double_buffered_non_diagonal_genericILi32ELi8ELi2ELi1E24rocblas_internal_val_ptrIdEPKPKdPKPdEvbiT3_lT4_lllSA_lllT5_lllii.has_indirect_call, 0
	.section	.AMDGPU.csdata,"",@progbits
; Kernel info:
; codeLenInByte = 3732
; TotalNumSgprs: 52
; NumVgprs: 61
; NumAgprs: 0
; TotalNumVgprs: 61
; ScratchSize: 0
; MemoryBound: 1
; FloatMode: 240
; IeeeMode: 1
; LDSByteSize: 8448 bytes/workgroup (compile time only)
; SGPRBlocks: 6
; VGPRBlocks: 7
; NumSGPRsForWavesPerEU: 52
; NumVGPRsForWavesPerEU: 61
; AccumOffset: 64
; Occupancy: 8
; WaveLimiterHint : 1
; COMPUTE_PGM_RSRC2:SCRATCH_EN: 0
; COMPUTE_PGM_RSRC2:USER_SGPR: 2
; COMPUTE_PGM_RSRC2:TRAP_HANDLER: 0
; COMPUTE_PGM_RSRC2:TGID_X_EN: 1
; COMPUTE_PGM_RSRC2:TGID_Y_EN: 1
; COMPUTE_PGM_RSRC2:TGID_Z_EN: 1
; COMPUTE_PGM_RSRC2:TIDIG_COMP_CNT: 1
; COMPUTE_PGM_RSRC3_GFX90A:ACCUM_OFFSET: 15
; COMPUTE_PGM_RSRC3_GFX90A:TG_SPLIT: 0
	.section	.text._ZL26rocblas_hemvn_kernel_upperILb0ELi64ELi4ELi33ELi32ELi16ElPKdPKS1_PdEviT6_lT7_lT5_lS6_lS7_lS5_lT8_i,"axG",@progbits,_ZL26rocblas_hemvn_kernel_upperILb0ELi64ELi4ELi33ELi32ELi16ElPKdPKS1_PdEviT6_lT7_lT5_lS6_lS7_lS5_lT8_i,comdat
	.globl	_ZL26rocblas_hemvn_kernel_upperILb0ELi64ELi4ELi33ELi32ELi16ElPKdPKS1_PdEviT6_lT7_lT5_lS6_lS7_lS5_lT8_i ; -- Begin function _ZL26rocblas_hemvn_kernel_upperILb0ELi64ELi4ELi33ELi32ELi16ElPKdPKS1_PdEviT6_lT7_lT5_lS6_lS7_lS5_lT8_i
	.p2align	8
	.type	_ZL26rocblas_hemvn_kernel_upperILb0ELi64ELi4ELi33ELi32ELi16ElPKdPKS1_PdEviT6_lT7_lT5_lS6_lS7_lS5_lT8_i,@function
_ZL26rocblas_hemvn_kernel_upperILb0ELi64ELi4ELi33ELi32ELi16ElPKdPKS1_PdEviT6_lT7_lT5_lS6_lS7_lS5_lT8_i: ; @_ZL26rocblas_hemvn_kernel_upperILb0ELi64ELi4ELi33ELi32ELi16ElPKdPKS1_PdEviT6_lT7_lT5_lS6_lS7_lS5_lT8_i
; %bb.0:
	s_load_dwordx2 s[4:5], s[0:1], 0x84
	s_add_u32 s12, s0, 0x78
	s_mov_b32 s26, s3
	s_addc_u32 s13, s1, 0
	s_waitcnt lgkmcnt(0)
	s_and_b32 s3, s5, 0xffff
	s_lshr_b32 s5, s4, 16
	s_and_b32 s4, s4, 0xffff
	s_mul_i32 s4, s5, s4
	s_mul_i32 s4, s4, s3
	s_cmpk_lg_i32 s4, 0x100
	s_cbranch_scc1 .LBB160_4
; %bb.1:
	s_load_dwordx8 s[4:11], s[0:1], 0x8
	s_load_dwordx4 s[16:19], s[0:1], 0x58
	s_waitcnt lgkmcnt(0)
	s_mul_i32 s3, s7, s26
	s_mul_hi_u32 s7, s6, s26
	s_mul_i32 s6, s6, s26
	s_add_i32 s7, s7, s3
	s_lshl_b64 s[6:7], s[6:7], 3
	s_mul_i32 s14, s19, s26
	s_add_u32 s4, s4, s6
	s_mul_hi_u32 s3, s18, s26
	s_addc_u32 s5, s5, s7
	s_add_i32 s7, s3, s14
	s_mul_i32 s6, s18, s26
	s_lshl_b64 s[6:7], s[6:7], 3
	s_add_u32 s6, s16, s6
	s_addc_u32 s7, s17, s7
	s_load_dwordx2 s[4:5], s[4:5], 0x0
	s_nop 0
	s_load_dwordx2 s[14:15], s[6:7], 0x0
	s_waitcnt lgkmcnt(0)
	v_cmp_eq_f64_e64 s[6:7], s[4:5], 0
	v_cmp_eq_f64_e64 s[4:5], s[14:15], 1.0
	s_and_b64 s[4:5], s[6:7], s[4:5]
	s_and_b64 vcc, exec, s[4:5]
	s_cbranch_vccnz .LBB160_4
; %bb.2:
	s_mov_b64 s[4:5], 0
	s_and_b64 vcc, exec, s[6:7]
	s_cbranch_vccz .LBB160_5
; %bb.3:
	s_andn2_b64 vcc, exec, s[4:5]
	s_cbranch_vccz .LBB160_6
.LBB160_4:
	s_endpgm
.LBB160_5:
.LBB160_6:
	s_mov_b32 s27, 0
	s_load_dword s3, s[12:13], 0x0
	s_load_dwordx4 s[4:7], s[0:1], 0x38
	s_load_dwordx2 s[16:17], s[0:1], 0x48
	s_lshl_b64 s[12:13], s[26:27], 3
	s_add_u32 s8, s8, s12
	s_addc_u32 s9, s9, s13
	s_waitcnt lgkmcnt(0)
	s_add_u32 s12, s4, s12
	s_addc_u32 s13, s5, s13
	s_load_dwordx2 s[14:15], s[12:13], 0x0
	s_load_dwordx2 s[22:23], s[0:1], 0x28
	s_load_dword s33, s[0:1], 0x0
	s_load_dwordx2 s[4:5], s[8:9], 0x0
	s_load_dwordx2 s[28:29], s[0:1], 0x68
	s_lshl_b64 s[0:1], s[6:7], 3
	s_waitcnt lgkmcnt(0)
	s_add_u32 s0, s14, s0
	s_addc_u32 s1, s15, s1
	s_ashr_i32 s36, s33, 31
	s_lshr_b32 s7, s36, 26
	v_and_b32_e32 v122, 0x3ff, v0
	s_lshl_b32 s24, s2, 6
	s_add_i32 s7, s33, s7
	s_andn2_b32 s7, s7, 63
	v_add_u32_e32 v48, s24, v122
	s_add_i32 s6, s3, -1
	s_sub_i32 s27, s33, s7
	v_ashrrev_i32_e32 v49, 31, v48
	v_bfe_u32 v123, v0, 10, 10
	s_cmp_eq_u32 s2, s6
	v_mul_lo_u32 v2, s16, v49
	v_mul_lo_u32 v3, s17, v48
	v_mad_u64_u32 v[0:1], s[6:7], s16, v48, 0
	v_add3_u32 v1, v1, v2, v3
	s_cselect_b32 s18, s27, 0
	v_lshl_add_u64 v[12:13], v[0:1], 3, s[0:1]
	v_cmp_eq_u32_e64 s[0:1], 0, v123
	s_and_saveexec_b64 s[6:7], s[0:1]
	s_cbranch_execz .LBB160_10
; %bb.7:
	s_cmp_eq_u32 s18, 0
	s_cselect_b64 s[8:9], -1, 0
	v_cmp_gt_i32_e32 vcc, s18, v122
	s_or_b64 s[12:13], s[8:9], vcc
	v_mov_b64_e32 v[0:1], 0
	s_and_saveexec_b64 s[8:9], s[12:13]
	s_cbranch_execz .LBB160_9
; %bb.8:
	flat_load_dwordx2 v[0:1], v[12:13]
.LBB160_9:
	s_or_b64 exec, exec, s[8:9]
	v_lshlrev_b32_e32 v2, 3, v122
	s_waitcnt vmcnt(0) lgkmcnt(0)
	ds_write_b64 v2, v[0:1] offset:9088
.LBB160_10:
	s_or_b64 exec, exec, s[6:7]
	s_lshl_b64 s[6:7], s[10:11], 3
	s_add_u32 s6, s4, s6
	s_addc_u32 s7, s5, s7
	s_ashr_i32 s25, s24, 31
	v_lshl_add_u32 v22, v123, 6, v122
	s_lshl_b64 s[4:5], s[24:25], 3
	v_and_b32_e32 v2, 31, v122
	v_lshrrev_b32_e32 v10, 5, v22
	s_add_u32 s4, s6, s4
	v_mov_b32_e32 v3, 0
	s_addc_u32 s5, s7, s5
	v_mad_u64_u32 v[14:15], s[6:7], s22, v10, v[2:3]
	v_mov_b32_e32 v0, v15
	v_mad_u64_u32 v[0:1], s[6:7], s23, v10, v[0:1]
	v_mov_b32_e32 v15, v0
	v_lshl_add_u64 v[0:1], v[14:15], 3, s[4:5]
	s_mul_hi_u32 s4, s22, s24
	s_mul_i32 s5, s22, s25
	s_add_i32 s4, s4, s5
	s_mul_i32 s5, s23, s24
	s_add_i32 s5, s4, s5
	s_cmp_eq_u32 s18, 0
	s_cselect_b64 s[20:21], -1, 0
	s_cmp_lg_u32 s18, 0
	s_mul_i32 s4, s22, s24
	s_cselect_b64 s[30:31], -1, 0
	v_lshl_add_u64 v[6:7], s[4:5], 3, v[0:1]
	s_and_b64 vcc, exec, s[30:31]
	v_cmp_gt_i32_e64 s[4:5], s18, v2
	v_lshlrev_b32_e32 v0, 3, v2
	s_cbranch_vccz .LBB160_20
; %bb.11:
	v_sub_co_u32_e32 v4, vcc, v6, v0
	s_ashr_i32 s19, s18, 31
	s_nop 0
	v_subbrev_co_u32_e32 v5, vcc, 0, v7, vcc
	v_lshl_add_u64 v[4:5], s[18:19], 3, v[4:5]
	v_lshl_add_u64 v[4:5], v[4:5], 0, -8
	v_cndmask_b32_e64 v5, v5, v7, s[4:5]
	v_cndmask_b32_e64 v4, v4, v6, s[4:5]
	v_cmp_gt_i32_e32 vcc, s18, v10
	v_mov_b64_e32 v[8:9], 0
	v_mov_b64_e32 v[16:17], 0
	s_and_saveexec_b64 s[6:7], vcc
	s_cbranch_execz .LBB160_13
; %bb.12:
	flat_load_dwordx2 v[16:17], v[4:5]
.LBB160_13:
	s_or_b64 exec, exec, s[6:7]
	v_lshlrev_b32_e32 v1, 3, v2
	s_movk_i32 s6, 0x108
	v_mad_u32_u24 v11, v10, s6, v1
	s_waitcnt vmcnt(0) lgkmcnt(0)
	ds_write_b64 v11, v[16:17]
	v_add_u32_e32 v11, 8, v10
	v_mul_u32_u24_e32 v3, 0x108, v10
	v_cmp_gt_i32_e32 vcc, s18, v11
	s_and_saveexec_b64 s[6:7], vcc
	s_cbranch_execz .LBB160_15
; %bb.14:
	s_lshl_b64 s[8:9], s[22:23], 6
	v_lshl_add_u64 v[8:9], v[4:5], 0, s[8:9]
	flat_load_dwordx2 v[8:9], v[8:9]
.LBB160_15:
	s_or_b64 exec, exec, s[6:7]
	v_add_u32_e32 v1, v3, v1
	v_add_u32_e32 v3, 16, v10
	s_waitcnt vmcnt(0) lgkmcnt(0)
	ds_write_b64 v1, v[8:9] offset:2112
	v_cmp_gt_i32_e32 vcc, s18, v3
	v_mov_b64_e32 v[8:9], 0
	v_mov_b64_e32 v[16:17], 0
	s_and_saveexec_b64 s[6:7], vcc
	s_cbranch_execz .LBB160_17
; %bb.16:
	s_lshl_b64 s[8:9], s[22:23], 7
	v_lshl_add_u64 v[16:17], v[4:5], 0, s[8:9]
	flat_load_dwordx2 v[16:17], v[16:17]
.LBB160_17:
	s_or_b64 exec, exec, s[6:7]
	v_add_u32_e32 v3, 24, v10
	v_cmp_gt_i32_e32 vcc, s18, v3
	s_waitcnt vmcnt(0) lgkmcnt(0)
	ds_write_b64 v1, v[16:17] offset:4224
	s_and_saveexec_b64 s[6:7], vcc
	s_cbranch_execz .LBB160_19
; %bb.18:
	v_mov_b32_e32 v3, 0xc0
	v_mad_u64_u32 v[8:9], s[8:9], s22, v3, v[4:5]
	s_mul_i32 s8, s23, 0xc0
	s_nop 0
	v_add_u32_e32 v9, s8, v9
	flat_load_dwordx2 v[8:9], v[8:9]
.LBB160_19:
	s_or_b64 exec, exec, s[6:7]
	s_waitcnt vmcnt(0) lgkmcnt(0)
	ds_write_b64 v1, v[8:9] offset:6336
	v_mov_b32_e32 v1, 0
	v_lshl_add_u64 v[4:5], v[4:5], 0, v[0:1]
	s_lshl_b64 s[6:7], s[18:19], 3
	v_mov_b32_e32 v1, s7
	v_subrev_co_u32_e32 v4, vcc, s6, v4
	s_nop 1
	v_subb_co_u32_e32 v5, vcc, v5, v1, vcc
	v_lshl_add_u64 v[4:5], v[4:5], 0, 8
	v_cndmask_b32_e64 v5, v5, v7, s[4:5]
	v_cndmask_b32_e64 v4, v4, v6, s[4:5]
	s_branch .LBB160_22
.LBB160_20:
                                        ; implicit-def: $vgpr4_vgpr5
	s_cbranch_execz .LBB160_22
; %bb.21:
	s_lshl_b64 s[4:5], s[22:23], 6
	v_lshl_add_u64 v[4:5], v[6:7], 0, s[4:5]
	v_lshl_add_u64 v[8:9], v[4:5], 0, s[4:5]
	;; [unrolled: 1-line block ×3, first 2 shown]
	flat_load_dwordx2 v[18:19], v[6:7]
	flat_load_dwordx2 v[20:21], v[4:5]
	;; [unrolled: 1-line block ×4, first 2 shown]
	v_mul_u32_u24_e32 v1, 0x108, v10
	v_lshl_add_u32 v1, v2, 3, v1
	v_mov_b64_e32 v[4:5], v[6:7]
	s_waitcnt vmcnt(0) lgkmcnt(0)
	ds_write_b64 v1, v[18:19]
	ds_write_b64 v1, v[20:21] offset:2112
	ds_write_b64 v1, v[24:25] offset:4224
	;; [unrolled: 1-line block ×3, first 2 shown]
.LBB160_22:
	v_lshlrev_b32_e32 v11, 3, v2
	v_lshlrev_b32_e32 v3, 2, v10
	v_lshl_or_b32 v1, v2, 8, v11
	v_cmp_gt_u32_e64 s[4:5], v3, v2
	v_lshl_add_u32 v1, v3, 3, v1
	s_waitcnt lgkmcnt(0)
	s_barrier
	s_and_saveexec_b64 s[6:7], s[4:5]
	s_cbranch_execz .LBB160_24
; %bb.23:
	s_movk_i32 s8, 0x420
	v_mad_u32_u24 v6, v10, s8, v11
	ds_read_b64 v[6:7], v6
	s_waitcnt lgkmcnt(0)
	ds_write_b64 v1, v[6:7]
.LBB160_24:
	s_or_b64 exec, exec, s[6:7]
	v_or_b32_e32 v16, 1, v3
	v_cmp_ge_u32_e64 s[6:7], v3, v2
	s_and_saveexec_b64 s[8:9], s[6:7]
	s_cbranch_execz .LBB160_26
; %bb.25:
	s_movk_i32 s10, 0x108
	v_mad_u32_u24 v6, v16, s10, v11
	ds_read_b64 v[6:7], v6
	s_waitcnt lgkmcnt(0)
	ds_write_b64 v1, v[6:7] offset:8
.LBB160_26:
	s_or_b64 exec, exec, s[8:9]
	v_or_b32_e32 v6, 2, v3
	v_cmp_gt_u32_e64 s[8:9], v6, v2
	s_and_saveexec_b64 s[10:11], s[8:9]
	s_cbranch_execz .LBB160_28
; %bb.27:
	s_movk_i32 s12, 0x108
	v_mad_u32_u24 v6, v6, s12, v11
	ds_read_b64 v[6:7], v6
	s_waitcnt lgkmcnt(0)
	ds_write_b64 v1, v[6:7] offset:16
.LBB160_28:
	s_or_b64 exec, exec, s[10:11]
	v_or_b32_e32 v7, 3, v3
	v_cmp_gt_u32_e64 s[10:11], v7, v2
	v_cmp_le_u32_e32 vcc, v7, v2
                                        ; implicit-def: $vgpr6
	s_and_saveexec_b64 s[12:13], vcc
	s_xor_b64 s[12:13], exec, s[12:13]
; %bb.29:
	v_mul_u32_u24_e32 v6, 0x108, v7
                                        ; implicit-def: $vgpr7
                                        ; implicit-def: $vgpr1
; %bb.30:
	s_andn2_saveexec_b64 s[12:13], s[12:13]
	s_cbranch_execz .LBB160_32
; %bb.31:
	s_movk_i32 s14, 0x108
	v_mad_u32_u24 v6, v7, s14, v11
	ds_read_b64 v[8:9], v6
	v_mul_u32_u24_e32 v6, 0x108, v7
	s_waitcnt lgkmcnt(0)
	ds_write_b64 v1, v[8:9] offset:24
.LBB160_32:
	s_or_b64 exec, exec, s[12:13]
	s_movk_i32 s12, 0x420
	v_mad_u32_u24 v1, v10, s12, v11
	s_movk_i32 s12, 0x108
	s_waitcnt lgkmcnt(0)
	s_barrier
	v_lshlrev_b32_e32 v17, 3, v3
	ds_read_b64 v[20:21], v1
	ds_read_b128 v[24:27], v17 offset:9088
	v_mad_u32_u24 v1, v16, s12, v11
	ds_read2_b64 v[28:31], v1 offset1:33
	v_add_u32_e32 v18, v11, v6
	ds_read_b128 v[6:9], v17 offset:9104
	ds_read_b64 v[32:33], v18
	s_waitcnt lgkmcnt(3)
	v_fma_f64 v[20:21], v[20:21], v[24:25], 0
	v_mul_u32_u24_e32 v1, 33, v2
	s_waitcnt lgkmcnt(2)
	v_fmac_f64_e32 v[20:21], v[28:29], v[26:27]
	s_waitcnt lgkmcnt(1)
	v_fmac_f64_e32 v[20:21], v[30:31], v[6:7]
	v_lshlrev_b32_e32 v23, 3, v1
	v_mov_b64_e32 v[50:51], 0
	s_waitcnt lgkmcnt(0)
	v_fmac_f64_e32 v[20:21], v[32:33], v[8:9]
	v_lshl_add_u32 v24, v10, 3, v23
	v_cmp_gt_u32_e64 s[12:13], 32, v22
	s_barrier
	ds_write_b64 v24, v[20:21]
	s_waitcnt lgkmcnt(0)
	s_barrier
	s_and_saveexec_b64 s[14:15], s[12:13]
	s_cbranch_execz .LBB160_34
; %bb.33:
	ds_read2_b64 v[6:9], v23 offset1:1
	ds_read2_b64 v[26:29], v23 offset0:2 offset1:3
	ds_read2_b64 v[30:33], v23 offset0:4 offset1:5
	s_waitcnt lgkmcnt(2)
	v_add_f64 v[20:21], v[6:7], v[8:9]
	ds_read2_b64 v[6:9], v23 offset0:6 offset1:7
	s_waitcnt lgkmcnt(2)
	v_add_f64 v[20:21], v[20:21], v[26:27]
	v_add_f64 v[20:21], v[20:21], v[28:29]
	s_waitcnt lgkmcnt(1)
	v_add_f64 v[20:21], v[20:21], v[30:31]
	v_add_f64 v[20:21], v[20:21], v[32:33]
	;; [unrolled: 3-line block ×3, first 2 shown]
.LBB160_34:
	s_or_b64 exec, exec, s[14:15]
	s_lshl_b64 s[14:15], s[22:23], 8
	v_lshl_add_u64 v[8:9], v[4:5], 0, s[14:15]
	s_mov_b64 s[14:15], 0x100
	v_lshl_add_u64 v[4:5], v[8:9], 0, s[14:15]
	s_and_b64 vcc, exec, s[30:31]
	s_barrier
	s_cbranch_vccz .LBB160_44
; %bb.35:
	v_sub_co_u32_e32 v6, vcc, v8, v0
	s_ashr_i32 s19, s18, 31
	s_nop 0
	v_subbrev_co_u32_e32 v7, vcc, 0, v9, vcc
	v_or_b32_e32 v1, 32, v2
	v_lshl_add_u64 v[6:7], s[18:19], 3, v[6:7]
	v_lshl_add_u64 v[6:7], v[6:7], 0, -8
	v_cmp_gt_i32_e32 vcc, s18, v1
	s_sub_i32 s37, s18, 32
	v_cmp_gt_i32_e64 s[14:15], s37, v10
	v_cndmask_b32_e32 v7, v7, v5, vcc
	v_cndmask_b32_e32 v6, v6, v4, vcc
	v_mov_b64_e32 v[20:21], 0
	v_mov_b64_e32 v[26:27], 0
	s_and_saveexec_b64 s[34:35], s[14:15]
	s_cbranch_execz .LBB160_37
; %bb.36:
	flat_load_dwordx2 v[26:27], v[6:7]
.LBB160_37:
	s_or_b64 exec, exec, s[34:35]
	s_movk_i32 s14, 0x108
	v_mad_u32_u24 v19, v10, s14, v11
	s_waitcnt vmcnt(0) lgkmcnt(0)
	ds_write_b64 v19, v[26:27]
	v_add_u32_e32 v19, 8, v10
	v_mul_u32_u24_e32 v1, 0x108, v10
	v_cmp_gt_i32_e64 s[14:15], s37, v19
	s_and_saveexec_b64 s[34:35], s[14:15]
	s_cbranch_execz .LBB160_39
; %bb.38:
	s_lshl_b64 s[14:15], s[22:23], 6
	v_lshl_add_u64 v[20:21], v[6:7], 0, s[14:15]
	flat_load_dwordx2 v[20:21], v[20:21]
.LBB160_39:
	s_or_b64 exec, exec, s[34:35]
	v_add_u32_e32 v1, v1, v11
	v_add_u32_e32 v19, 16, v10
	s_waitcnt vmcnt(0) lgkmcnt(0)
	ds_write_b64 v1, v[20:21] offset:2112
	v_cmp_gt_i32_e64 s[14:15], s37, v19
	v_mov_b64_e32 v[20:21], 0
	v_mov_b64_e32 v[26:27], 0
	s_and_saveexec_b64 s[34:35], s[14:15]
	s_cbranch_execz .LBB160_41
; %bb.40:
	s_lshl_b64 s[14:15], s[22:23], 7
	v_lshl_add_u64 v[26:27], v[6:7], 0, s[14:15]
	flat_load_dwordx2 v[26:27], v[26:27]
.LBB160_41:
	s_or_b64 exec, exec, s[34:35]
	v_add_u32_e32 v19, 24, v10
	v_cmp_gt_i32_e64 s[14:15], s37, v19
	s_waitcnt vmcnt(0) lgkmcnt(0)
	ds_write_b64 v1, v[26:27] offset:4224
	s_and_saveexec_b64 s[34:35], s[14:15]
	s_cbranch_execz .LBB160_43
; %bb.42:
	v_mov_b32_e32 v19, 0xc0
	v_mad_u64_u32 v[20:21], s[14:15], s22, v19, v[6:7]
	s_mul_i32 s14, s23, 0xc0
	s_nop 0
	v_add_u32_e32 v21, s14, v21
	flat_load_dwordx2 v[20:21], v[20:21]
.LBB160_43:
	s_or_b64 exec, exec, s[34:35]
	s_waitcnt vmcnt(0) lgkmcnt(0)
	ds_write_b64 v1, v[20:21] offset:6336
	v_mov_b32_e32 v1, 0
	v_lshl_add_u64 v[6:7], v[6:7], 0, v[0:1]
	s_lshl_b64 s[14:15], s[18:19], 3
	v_mov_b32_e32 v1, s15
	v_subrev_co_u32_e64 v6, s[14:15], s14, v6
	s_nop 1
	v_subb_co_u32_e64 v7, s[14:15], v7, v1, s[14:15]
	s_mov_b64 s[14:15], 0x108
	s_nop 0
	v_lshl_add_u64 v[6:7], v[6:7], 0, s[14:15]
	v_cndmask_b32_e32 v7, v7, v5, vcc
	v_cndmask_b32_e32 v6, v6, v4, vcc
	v_mul_u32_u24_e32 v1, 0x420, v10
	s_branch .LBB160_46
.LBB160_44:
                                        ; implicit-def: $vgpr6_vgpr7
	v_mul_u32_u24_e32 v1, 0x420, v10
	s_cbranch_execz .LBB160_46
; %bb.45:
	s_lshl_b64 s[14:15], s[22:23], 6
	v_lshl_add_u64 v[6:7], v[8:9], 0, s[14:15]
	v_lshl_add_u64 v[20:21], v[6:7], 0, s[14:15]
	;; [unrolled: 1-line block ×3, first 2 shown]
	flat_load_dwordx2 v[28:29], v[8:9] offset:256
	flat_load_dwordx2 v[30:31], v[6:7] offset:256
	;; [unrolled: 1-line block ×4, first 2 shown]
	s_movk_i32 s14, 0x108
	v_mad_u32_u24 v6, v10, s14, v11
	s_waitcnt vmcnt(0) lgkmcnt(0)
	ds_write_b64 v6, v[28:29]
	ds_write_b64 v6, v[30:31] offset:2112
	ds_write_b64 v6, v[32:33] offset:4224
	;; [unrolled: 1-line block ×3, first 2 shown]
	v_mov_b64_e32 v[6:7], v[4:5]
.LBB160_46:
	v_mul_u32_u24_e32 v4, 0x108, v16
	v_add_u32_e32 v8, v11, v1
	v_lshl_add_u32 v1, v3, 3, v23
	s_waitcnt lgkmcnt(0)
	s_barrier
	s_and_saveexec_b64 s[14:15], s[4:5]
	s_cbranch_execz .LBB160_50
; %bb.47:
	ds_read_b64 v[20:21], v8
	s_waitcnt lgkmcnt(0)
	ds_write_b64 v1, v[20:21]
	s_or_b64 exec, exec, s[14:15]
	v_add_u32_e32 v19, v11, v4
	s_and_saveexec_b64 s[4:5], s[6:7]
	s_cbranch_execnz .LBB160_51
.LBB160_48:
	s_or_b64 exec, exec, s[4:5]
	s_and_saveexec_b64 s[4:5], s[8:9]
	s_cbranch_execz .LBB160_52
.LBB160_49:
	ds_read_b64 v[4:5], v19 offset:264
	s_waitcnt lgkmcnt(0)
	ds_write_b64 v1, v[4:5] offset:16
	s_or_b64 exec, exec, s[4:5]
	v_add_u32_e32 v25, 0x2380, v17
	s_and_saveexec_b64 s[4:5], s[10:11]
	s_cbranch_execnz .LBB160_53
	s_branch .LBB160_54
.LBB160_50:
	s_or_b64 exec, exec, s[14:15]
	v_add_u32_e32 v19, v11, v4
	s_and_saveexec_b64 s[4:5], s[6:7]
	s_cbranch_execz .LBB160_48
.LBB160_51:
	ds_read_b64 v[4:5], v19
	s_waitcnt lgkmcnt(0)
	ds_write_b64 v1, v[4:5] offset:8
	s_or_b64 exec, exec, s[4:5]
	s_and_saveexec_b64 s[4:5], s[8:9]
	s_cbranch_execnz .LBB160_49
.LBB160_52:
	s_or_b64 exec, exec, s[4:5]
	v_add_u32_e32 v25, 0x2380, v17
	s_and_saveexec_b64 s[4:5], s[10:11]
	s_cbranch_execz .LBB160_54
.LBB160_53:
	ds_read_b64 v[4:5], v18
	s_waitcnt lgkmcnt(0)
	ds_write_b64 v1, v[4:5] offset:24
.LBB160_54:
	s_or_b64 exec, exec, s[4:5]
	s_waitcnt lgkmcnt(0)
	s_barrier
	ds_read_b64 v[4:5], v8
	ds_read_b128 v[26:29], v25 offset:256
	ds_read2_b64 v[30:33], v19 offset1:33
	ds_read_b128 v[34:37], v25 offset:272
	ds_read_b64 v[16:17], v18
	v_cmp_eq_u32_e64 s[4:5], 1, v10
	s_waitcnt lgkmcnt(3)
	v_fma_f64 v[4:5], v[4:5], v[26:27], 0
	s_waitcnt lgkmcnt(2)
	v_fmac_f64_e32 v[4:5], v[30:31], v[28:29]
	s_waitcnt lgkmcnt(1)
	v_fmac_f64_e32 v[4:5], v[32:33], v[34:35]
	;; [unrolled: 2-line block ×3, first 2 shown]
	s_barrier
	ds_write_b64 v24, v[4:5]
	s_waitcnt lgkmcnt(0)
	s_barrier
	s_and_saveexec_b64 s[6:7], s[4:5]
	s_cbranch_execz .LBB160_56
; %bb.55:
	ds_read2_b64 v[26:29], v23 offset1:1
	ds_read2_b64 v[30:33], v23 offset0:2 offset1:3
	ds_read2_b64 v[34:37], v23 offset0:4 offset1:5
	s_waitcnt lgkmcnt(2)
	v_add_f64 v[4:5], v[26:27], v[28:29]
	ds_read2_b64 v[26:29], v23 offset0:6 offset1:7
	s_waitcnt lgkmcnt(2)
	v_add_f64 v[4:5], v[4:5], v[30:31]
	v_add_f64 v[4:5], v[4:5], v[32:33]
	s_waitcnt lgkmcnt(1)
	v_add_f64 v[4:5], v[4:5], v[34:35]
	v_add_f64 v[4:5], v[4:5], v[36:37]
	;; [unrolled: 3-line block ×3, first 2 shown]
.LBB160_56:
	s_or_b64 exec, exec, s[6:7]
	s_movk_i32 s6, 0xff00
	s_mov_b32 s7, -1
	v_lshl_add_u64 v[4:5], v[6:7], 0, s[6:7]
	s_and_b64 vcc, exec, s[30:31]
	s_barrier
	s_cbranch_vccz .LBB160_66
; %bb.57:
	v_sub_co_u32_e32 v6, vcc, v4, v0
	s_ashr_i32 s19, s18, 31
	s_nop 0
	v_subbrev_co_u32_e32 v7, vcc, 0, v5, vcc
	v_lshl_add_u64 v[6:7], s[18:19], 3, v[6:7]
	v_lshl_add_u64 v[6:7], v[6:7], 0, -8
	v_cmp_gt_i32_e32 vcc, s18, v2
	s_sub_i32 s10, s18, 32
	v_cmp_gt_i32_e64 s[6:7], s10, v10
	v_cndmask_b32_e32 v3, v7, v5, vcc
	v_cndmask_b32_e32 v2, v6, v4, vcc
	v_mov_b64_e32 v[16:17], 0
	v_mov_b64_e32 v[6:7], 0
	s_and_saveexec_b64 s[8:9], s[6:7]
	s_cbranch_execz .LBB160_59
; %bb.58:
	flat_load_dwordx2 v[6:7], v[2:3]
.LBB160_59:
	s_or_b64 exec, exec, s[8:9]
	s_movk_i32 s6, 0x108
	v_mad_u32_u24 v9, v10, s6, v11
	s_waitcnt vmcnt(0) lgkmcnt(0)
	ds_write_b64 v9, v[6:7]
	v_add_u32_e32 v6, 8, v10
	v_mul_u32_u24_e32 v1, 0x108, v10
	v_cmp_gt_i32_e64 s[6:7], s10, v6
	s_and_saveexec_b64 s[8:9], s[6:7]
	s_cbranch_execz .LBB160_61
; %bb.60:
	s_lshl_b64 s[6:7], s[22:23], 6
	v_lshl_add_u64 v[16:17], v[2:3], 0, s[6:7]
	flat_load_dwordx2 v[16:17], v[16:17]
.LBB160_61:
	s_or_b64 exec, exec, s[8:9]
	v_add_u32_e32 v1, v1, v11
	v_add_u32_e32 v7, 16, v10
	s_waitcnt vmcnt(0) lgkmcnt(0)
	ds_write_b64 v1, v[16:17] offset:2112
	v_cmp_gt_i32_e64 s[6:7], s10, v7
	v_mov_b64_e32 v[16:17], 0
	v_mov_b64_e32 v[20:21], 0
	s_and_saveexec_b64 s[8:9], s[6:7]
	s_cbranch_execz .LBB160_63
; %bb.62:
	s_lshl_b64 s[6:7], s[22:23], 7
	v_lshl_add_u64 v[20:21], v[2:3], 0, s[6:7]
	flat_load_dwordx2 v[20:21], v[20:21]
.LBB160_63:
	s_or_b64 exec, exec, s[8:9]
	v_add_u32_e32 v9, 24, v10
	v_cmp_gt_i32_e64 s[6:7], s10, v9
	s_waitcnt vmcnt(0) lgkmcnt(0)
	ds_write_b64 v1, v[20:21] offset:4224
	s_and_saveexec_b64 s[8:9], s[6:7]
	s_cbranch_execz .LBB160_65
; %bb.64:
	v_mov_b32_e32 v16, 0xc0
	v_mad_u64_u32 v[16:17], s[6:7], s22, v16, v[2:3]
	s_mul_i32 s6, s23, 0xc0
	s_nop 0
	v_add_u32_e32 v17, s6, v17
	flat_load_dwordx2 v[16:17], v[16:17]
.LBB160_65:
	s_or_b64 exec, exec, s[8:9]
	s_waitcnt vmcnt(0) lgkmcnt(0)
	ds_write_b64 v1, v[16:17] offset:6336
	v_mov_b32_e32 v1, 0
	v_lshl_add_u64 v[0:1], v[2:3], 0, v[0:1]
	s_lshl_b64 s[6:7], s[18:19], 3
	v_mov_b32_e32 v2, s7
	v_subrev_co_u32_e64 v0, s[6:7], s6, v0
	s_nop 1
	v_subb_co_u32_e64 v1, s[6:7], v1, v2, s[6:7]
	v_lshl_add_u64 v[0:1], v[0:1], 0, 8
	v_cndmask_b32_e32 v17, v1, v5, vcc
	v_cndmask_b32_e32 v16, v0, v4, vcc
	s_branch .LBB160_68
.LBB160_66:
                                        ; implicit-def: $vgpr16_vgpr17
                                        ; implicit-def: $vgpr6
                                        ; implicit-def: $vgpr7
                                        ; implicit-def: $vgpr9
	s_cbranch_execz .LBB160_68
; %bb.67:
	s_lshl_b64 s[6:7], s[22:23], 6
	v_lshl_add_u64 v[0:1], v[4:5], 0, s[6:7]
	v_lshl_add_u64 v[2:3], v[0:1], 0, s[6:7]
	;; [unrolled: 1-line block ×3, first 2 shown]
	flat_load_dwordx2 v[16:17], v[4:5]
	flat_load_dwordx2 v[20:21], v[0:1]
	;; [unrolled: 1-line block ×4, first 2 shown]
	s_movk_i32 s6, 0x108
	v_mad_u32_u24 v0, v10, s6, v11
	v_add_u32_e32 v6, 8, v10
	v_add_u32_e32 v7, 16, v10
	;; [unrolled: 1-line block ×3, first 2 shown]
	s_waitcnt vmcnt(0) lgkmcnt(0)
	ds_write_b64 v0, v[16:17]
	ds_write_b64 v0, v[20:21] offset:2112
	ds_write_b64 v0, v[26:27] offset:4224
	;; [unrolled: 1-line block ×3, first 2 shown]
	v_mov_b64_e32 v[16:17], v[4:5]
.LBB160_68:
	v_lshlrev_b32_e32 v0, 3, v10
	v_add_u32_e32 v1, v23, v0
	s_waitcnt lgkmcnt(0)
	s_barrier
	v_lshlrev_b32_e32 v2, 3, v6
	ds_read_b64 v[26:27], v1
	ds_read_b64 v[28:29], v2 offset:9088
	ds_read_b64 v[30:31], v0 offset:9088
	v_add_u32_e32 v0, v23, v2
	v_lshlrev_b32_e32 v1, 3, v7
	v_add_u32_e32 v2, v23, v1
	v_lshlrev_b32_e32 v3, 3, v9
	ds_read_b64 v[32:33], v0
	ds_read_b64 v[34:35], v2
	ds_read_b64 v[36:37], v3 offset:9088
	ds_read_b64 v[38:39], v1 offset:9088
	s_waitcnt lgkmcnt(4)
	v_fma_f64 v[26:27], v[26:27], v[30:31], 0
	s_waitcnt lgkmcnt(3)
	v_fmac_f64_e32 v[26:27], v[32:33], v[28:29]
	v_add_u32_e32 v0, v23, v3
	ds_read_b64 v[40:41], v0
	ds_read_b64 v[20:21], v8
	ds_read_b128 v[8:11], v25 offset:256
	ds_read_b128 v[0:3], v25 offset:272
	ds_read2_b64 v[4:7], v19 offset1:33
	ds_read_b64 v[18:19], v18
	s_waitcnt lgkmcnt(6)
	v_fmac_f64_e32 v[26:27], v[34:35], v[38:39]
	s_waitcnt lgkmcnt(5)
	v_fmac_f64_e32 v[26:27], v[40:41], v[36:37]
	s_waitcnt lgkmcnt(0)
	s_barrier
	ds_write_b64 v24, v[26:27]
	s_waitcnt lgkmcnt(0)
	s_barrier
	s_and_saveexec_b64 s[6:7], s[4:5]
	s_cbranch_execz .LBB160_70
; %bb.69:
	ds_read2_b64 v[26:29], v23 offset1:1
	ds_read2_b64 v[30:33], v23 offset0:2 offset1:3
	ds_read2_b64 v[34:37], v23 offset0:4 offset1:5
	s_waitcnt lgkmcnt(2)
	v_add_f64 v[26:27], v[50:51], v[26:27]
	v_add_f64 v[38:39], v[26:27], v[28:29]
	ds_read2_b64 v[26:29], v23 offset0:6 offset1:7
	s_waitcnt lgkmcnt(2)
	v_add_f64 v[30:31], v[38:39], v[30:31]
	v_add_f64 v[30:31], v[30:31], v[32:33]
	s_waitcnt lgkmcnt(1)
	v_add_f64 v[30:31], v[30:31], v[34:35]
	v_add_f64 v[30:31], v[30:31], v[36:37]
	;; [unrolled: 3-line block ×3, first 2 shown]
.LBB160_70:
	s_or_b64 exec, exec, s[6:7]
	v_fma_f64 v[8:9], v[20:21], v[8:9], 0
	v_fmac_f64_e32 v[8:9], v[4:5], v[10:11]
	v_fmac_f64_e32 v[8:9], v[6:7], v[0:1]
	;; [unrolled: 1-line block ×3, first 2 shown]
	s_barrier
	ds_write_b64 v24, v[8:9]
	s_waitcnt lgkmcnt(0)
	s_barrier
	s_and_saveexec_b64 s[4:5], s[12:13]
	s_cbranch_execz .LBB160_72
; %bb.71:
	ds_read2_b64 v[0:3], v23 offset1:1
	ds_read2_b64 v[4:7], v23 offset0:2 offset1:3
	ds_read2_b64 v[8:11], v23 offset0:4 offset1:5
	s_waitcnt lgkmcnt(2)
	v_add_f64 v[0:1], v[50:51], v[0:1]
	v_add_f64 v[18:19], v[0:1], v[2:3]
	ds_read2_b64 v[0:3], v23 offset0:6 offset1:7
	s_waitcnt lgkmcnt(2)
	v_add_f64 v[4:5], v[18:19], v[4:5]
	v_add_f64 v[4:5], v[4:5], v[6:7]
	s_waitcnt lgkmcnt(1)
	v_add_f64 v[4:5], v[4:5], v[8:9]
	v_add_f64 v[4:5], v[4:5], v[10:11]
	;; [unrolled: 3-line block ×3, first 2 shown]
.LBB160_72:
	s_or_b64 exec, exec, s[4:5]
	s_mul_hi_u32 s4, s33, s26
	s_mul_i32 s36, s36, s26
	s_add_i32 s4, s4, s36
	s_mul_i32 s6, s33, s26
	s_mul_i32 s4, s4, s3
	s_mul_hi_u32 s5, s6, s3
	s_add_i32 s5, s5, s4
	s_mul_i32 s4, s6, s3
	s_lshl_b64 s[4:5], s[4:5], 3
	s_add_u32 s6, s28, s4
	s_addc_u32 s7, s29, s5
	s_mul_hi_i32 s5, s33, s2
	s_mul_i32 s4, s33, s2
	s_lshl_b64 s[4:5], s[4:5], 3
	s_add_u32 s8, s6, s4
	s_addc_u32 s9, s7, s5
	s_add_i32 s4, s2, 1
	s_cmp_ge_u32 s4, s3
	v_lshlrev_b32_e32 v52, 3, v122
	s_barrier
	s_cbranch_scc1 .LBB160_129
; %bb.73:
	s_mul_i32 s4, s16, s25
	s_mul_hi_u32 s5, s16, s24
	s_add_i32 s4, s5, s4
	s_mul_i32 s5, s17, s24
	s_add_i32 s5, s4, s5
	s_mul_i32 s4, s16, s24
	s_lshl_b64 s[4:5], s[4:5], 3
	v_mov_b32_e32 v0, s5
	v_subrev_co_u32_e32 v54, vcc, s4, v12
	s_movk_i32 s4, 0x860
	s_nop 0
	v_subb_co_u32_e32 v55, vcc, v13, v0, vcc
	v_lshrrev_b32_e32 v0, 4, v22
	v_lshlrev_b32_e32 v2, 5, v0
	v_mul_i32_i24_e32 v38, 0xffffffe8, v0
	v_and_b32_e32 v0, 48, v122
	v_and_b32_e32 v1, 15, v122
	v_lshlrev_b32_e32 v36, 5, v123
	v_mad_u32_u24 v128, v123, s4, v52
	s_movk_i32 s4, 0x218
	v_lshlrev_b32_e32 v0, 3, v0
	v_mad_u32_u24 v130, v1, s4, v0
	v_or_b32_e32 v0, 0x78, v52
	v_add_u32_e32 v3, 0x110, v36
	v_mad_u32_u24 v129, v1, s4, v2
	v_mad_u32_u24 v131, v1, s4, v0
	v_mad_u64_u32 v[0:1], s[4:5], s22, v3, 0
	v_mov_b32_e32 v2, v1
	v_lshlrev_b64 v[4:5], 3, v[14:15]
	v_mad_u64_u32 v[2:3], s[4:5], s23, v3, v[2:3]
	v_sub_co_u32_e32 v0, vcc, v0, v4
	v_add_u32_e32 v7, 0x118, v36
	s_nop 0
	v_subb_co_u32_e32 v1, vcc, v2, v5, vcc
	v_mad_u64_u32 v[2:3], s[4:5], s22, v7, 0
	v_mov_b32_e32 v6, v3
	v_mad_u64_u32 v[6:7], s[4:5], s23, v7, v[6:7]
	v_sub_co_u32_e32 v2, vcc, v2, v4
	v_add_u32_e32 v9, 0x108, v36
	s_nop 0
	v_subb_co_u32_e32 v3, vcc, v6, v5, vcc
	v_mad_u64_u32 v[6:7], s[4:5], s22, v9, 0
	v_mov_b32_e32 v8, v7
	;; [unrolled: 7-line block ×7, first 2 shown]
	v_mad_u64_u32 v[20:21], s[4:5], s23, v21, v[20:21]
	v_sub_co_u32_e32 v18, vcc, v18, v4
	v_add_u32_e32 v23, 0x210, v36
	s_nop 0
	v_subb_co_u32_e32 v19, vcc, v20, v5, vcc
	v_mad_u64_u32 v[20:21], s[4:5], s22, v23, 0
	v_cmp_gt_u32_e64 s[6:7], 64, v22
	v_mov_b32_e32 v22, v21
	v_mad_u64_u32 v[22:23], s[4:5], s23, v23, v[22:23]
	v_sub_co_u32_e32 v20, vcc, v20, v4
	v_add_u32_e32 v25, 0x218, v36
	s_nop 0
	v_subb_co_u32_e32 v21, vcc, v22, v5, vcc
	v_mad_u64_u32 v[22:23], s[4:5], s22, v25, 0
	v_mov_b32_e32 v24, v23
	v_mad_u64_u32 v[24:25], s[4:5], s23, v25, v[24:25]
	v_sub_co_u32_e32 v22, vcc, v22, v4
	v_add_u32_e32 v27, 0x208, v36
	s_nop 0
	v_subb_co_u32_e32 v23, vcc, v24, v5, vcc
	v_mad_u64_u32 v[24:25], s[4:5], s22, v27, 0
	;; [unrolled: 7-line block ×7, first 2 shown]
	v_add_u32_e32 v126, 0x2180, v36
	v_mov_b32_e32 v36, v35
	v_mad_u64_u32 v[36:37], s[4:5], s23, v37, v[36:37]
	v_sub_co_u32_e32 v4, vcc, v34, v4
	v_lshlrev_b32_e32 v124, 2, v123
	s_nop 0
	v_subb_co_u32_e32 v5, vcc, v36, v5, vcc
	s_add_i32 s19, s3, -2
	v_add_u32_e32 v125, 0x2180, v52
	v_add_u32_e32 v127, 0x2380, v52
	v_or_b32_e32 v132, 1, v124
	v_or_b32_e32 v133, 2, v124
	;; [unrolled: 1-line block ×3, first 2 shown]
	v_add_u32_e32 v135, 16, v124
	v_add_u32_e32 v136, 17, v124
	;; [unrolled: 1-line block ×8, first 2 shown]
	v_lshl_add_u64 v[56:57], v[16:17], 0, v[0:1]
	v_lshl_add_u64 v[58:59], v[16:17], 0, v[2:3]
	;; [unrolled: 1-line block ×16, first 2 shown]
	v_add_u32_e32 v143, 48, v124
	v_add_u32_e32 v144, 49, v124
	s_add_i32 s24, s24, 64
	v_mov_b32_e32 v53, 0
	s_lshl_b64 s[10:11], s[22:23], 9
	v_add_u32_e32 v145, v129, v38
	v_add_u32_e32 v146, 50, v124
	;; [unrolled: 1-line block ×3, first 2 shown]
	s_cmp_eq_u32 s19, s2
	s_cselect_b32 s22, s27, 0
	s_and_saveexec_b64 s[4:5], s[0:1]
	s_cbranch_execz .LBB160_78
	s_branch .LBB160_75
.LBB160_74:                             ;   in Loop: Header=BB160_78 Depth=1
	s_mov_b32 s2, s4
	s_cmp_eq_u32 s19, s2
	s_cselect_b32 s22, s27, 0
	s_and_saveexec_b64 s[4:5], s[0:1]
	s_cbranch_execz .LBB160_78
.LBB160_75:
	s_cmp_eq_u32 s22, 0
	s_cselect_b64 s[12:13], -1, 0
	v_cmp_gt_i32_e32 vcc, s22, v122
	s_or_b64 s[14:15], s[12:13], vcc
	v_mov_b64_e32 v[0:1], 0
	s_and_saveexec_b64 s[12:13], s[14:15]
	s_cbranch_execz .LBB160_77
; %bb.76:
	s_ashr_i32 s14, s24, 31
	s_mul_hi_u32 s15, s16, s24
	s_mul_i32 s14, s16, s14
	s_add_i32 s14, s15, s14
	s_mul_i32 s15, s17, s24
	s_add_i32 s15, s14, s15
	s_mul_i32 s14, s16, s24
	v_lshl_add_u64 v[0:1], s[14:15], 3, v[54:55]
	flat_load_dwordx2 v[0:1], v[0:1]
.LBB160_77:
	s_or_b64 exec, exec, s[12:13]
	s_waitcnt vmcnt(0) lgkmcnt(0)
	ds_write_b64 v125, v[0:1]
.LBB160_78:                             ; =>This Inner Loop Header: Depth=1
	s_or_b64 exec, exec, s[4:5]
	s_cmp_eq_u32 s22, 0
	s_cselect_b64 s[12:13], -1, 0
	s_cmp_lg_u32 s22, 0
	s_cselect_b64 s[14:15], -1, 0
	v_lshl_add_u64 v[0:1], v[62:63], 0, v[52:53]
	s_mov_b64 s[4:5], -1
	s_and_b64 vcc, exec, s[14:15]
	s_waitcnt lgkmcnt(0)
	s_barrier
                                        ; implicit-def: $vgpr92_vgpr93
                                        ; implicit-def: $vgpr94_vgpr95
                                        ; implicit-def: $vgpr88_vgpr89
                                        ; implicit-def: $vgpr90_vgpr91
	s_cbranch_vccz .LBB160_88
; %bb.79:                               ;   in Loop: Header=BB160_78 Depth=1
	v_cmp_gt_i32_e32 vcc, s22, v124
	v_mov_b64_e32 v[88:89], 0
	v_mov_b64_e32 v[90:91], 0
	s_and_saveexec_b64 s[4:5], vcc
	s_cbranch_execz .LBB160_81
; %bb.80:                               ;   in Loop: Header=BB160_78 Depth=1
	flat_load_dwordx2 v[90:91], v[0:1]
.LBB160_81:                             ;   in Loop: Header=BB160_78 Depth=1
	s_or_b64 exec, exec, s[4:5]
	v_cmp_gt_i32_e32 vcc, s22, v132
	s_and_saveexec_b64 s[4:5], vcc
	s_cbranch_execz .LBB160_83
; %bb.82:                               ;   in Loop: Header=BB160_78 Depth=1
	v_lshl_add_u64 v[2:3], v[60:61], 0, v[52:53]
	flat_load_dwordx2 v[88:89], v[2:3]
.LBB160_83:                             ;   in Loop: Header=BB160_78 Depth=1
	s_or_b64 exec, exec, s[4:5]
	v_cmp_gt_i32_e32 vcc, s22, v133
	v_mov_b64_e32 v[92:93], 0
	v_mov_b64_e32 v[94:95], 0
	s_and_saveexec_b64 s[4:5], vcc
	s_cbranch_execz .LBB160_85
; %bb.84:                               ;   in Loop: Header=BB160_78 Depth=1
	v_lshl_add_u64 v[2:3], v[56:57], 0, v[52:53]
	flat_load_dwordx2 v[94:95], v[2:3]
.LBB160_85:                             ;   in Loop: Header=BB160_78 Depth=1
	s_or_b64 exec, exec, s[4:5]
	v_cmp_gt_i32_e32 vcc, s22, v134
	s_and_saveexec_b64 s[4:5], vcc
	s_cbranch_execz .LBB160_87
; %bb.86:                               ;   in Loop: Header=BB160_78 Depth=1
	v_lshl_add_u64 v[2:3], v[58:59], 0, v[52:53]
	flat_load_dwordx2 v[92:93], v[2:3]
.LBB160_87:                             ;   in Loop: Header=BB160_78 Depth=1
	s_or_b64 exec, exec, s[4:5]
	s_mov_b64 s[4:5], 0
.LBB160_88:                             ;   in Loop: Header=BB160_78 Depth=1
	s_and_b64 vcc, exec, s[4:5]
	s_cbranch_vccz .LBB160_90
; %bb.89:                               ;   in Loop: Header=BB160_78 Depth=1
	s_waitcnt vmcnt(0) lgkmcnt(0)
	flat_load_dwordx2 v[90:91], v[0:1]
	v_lshl_add_u64 v[0:1], v[60:61], 0, v[52:53]
	flat_load_dwordx2 v[88:89], v[0:1]
	v_lshl_add_u64 v[0:1], v[56:57], 0, v[52:53]
	;; [unrolled: 2-line block ×3, first 2 shown]
	flat_load_dwordx2 v[92:93], v[0:1]
.LBB160_90:                             ;   in Loop: Header=BB160_78 Depth=1
	ds_read_b64 v[8:9], v127
	ds_read_b128 v[4:7], v126
	ds_read_b128 v[0:3], v126 offset:16
	s_andn2_b64 vcc, exec, s[14:15]
                                        ; implicit-def: $vgpr100_vgpr101
                                        ; implicit-def: $vgpr102_vgpr103
                                        ; implicit-def: $vgpr96_vgpr97
                                        ; implicit-def: $vgpr98_vgpr99
	s_waitcnt vmcnt(0) lgkmcnt(0)
	v_mul_f64 v[10:11], v[90:91], v[8:9]
	v_mul_f64 v[12:13], v[88:89], v[8:9]
	;; [unrolled: 1-line block ×4, first 2 shown]
	ds_write2_b64 v128, v[10:11], v[12:13] offset1:67
	ds_write2_b64 v128, v[14:15], v[8:9] offset0:134 offset1:201
	s_waitcnt lgkmcnt(0)
	s_barrier
	ds_read2_b64 v[20:23], v129 offset1:1
	ds_read2_b64 v[16:19], v129 offset0:2 offset1:3
	v_cndmask_b32_e64 v10, 0, 1, s[14:15]
	v_lshl_add_u64 v[8:9], v[70:71], 0, v[52:53]
	v_cmp_ne_u32_e64 s[4:5], 1, v10
	s_mov_b64 s[14:15], -1
	s_waitcnt lgkmcnt(0)
	s_barrier
	s_cbranch_vccnz .LBB160_100
; %bb.91:                               ;   in Loop: Header=BB160_78 Depth=1
	v_cmp_gt_i32_e32 vcc, s22, v135
	v_mov_b64_e32 v[96:97], 0
	v_mov_b64_e32 v[98:99], 0
	s_and_saveexec_b64 s[14:15], vcc
	s_cbranch_execz .LBB160_93
; %bb.92:                               ;   in Loop: Header=BB160_78 Depth=1
	flat_load_dwordx2 v[98:99], v[8:9]
.LBB160_93:                             ;   in Loop: Header=BB160_78 Depth=1
	s_or_b64 exec, exec, s[14:15]
	v_cmp_gt_i32_e32 vcc, s22, v136
	s_and_saveexec_b64 s[14:15], vcc
	s_cbranch_execz .LBB160_95
; %bb.94:                               ;   in Loop: Header=BB160_78 Depth=1
	v_lshl_add_u64 v[10:11], v[68:69], 0, v[52:53]
	flat_load_dwordx2 v[96:97], v[10:11]
.LBB160_95:                             ;   in Loop: Header=BB160_78 Depth=1
	s_or_b64 exec, exec, s[14:15]
	v_cmp_gt_i32_e32 vcc, s22, v137
	v_mov_b64_e32 v[100:101], 0
	v_mov_b64_e32 v[102:103], 0
	s_and_saveexec_b64 s[14:15], vcc
	s_cbranch_execz .LBB160_97
; %bb.96:                               ;   in Loop: Header=BB160_78 Depth=1
	v_lshl_add_u64 v[10:11], v[64:65], 0, v[52:53]
	flat_load_dwordx2 v[102:103], v[10:11]
.LBB160_97:                             ;   in Loop: Header=BB160_78 Depth=1
	s_or_b64 exec, exec, s[14:15]
	v_cmp_gt_i32_e32 vcc, s22, v138
	s_and_saveexec_b64 s[14:15], vcc
	s_cbranch_execz .LBB160_99
; %bb.98:                               ;   in Loop: Header=BB160_78 Depth=1
	v_lshl_add_u64 v[10:11], v[66:67], 0, v[52:53]
	flat_load_dwordx2 v[100:101], v[10:11]
.LBB160_99:                             ;   in Loop: Header=BB160_78 Depth=1
	s_or_b64 exec, exec, s[14:15]
	s_mov_b64 s[14:15], 0
.LBB160_100:                            ;   in Loop: Header=BB160_78 Depth=1
	s_and_b64 vcc, exec, s[14:15]
	s_cbranch_vccz .LBB160_102
; %bb.101:                              ;   in Loop: Header=BB160_78 Depth=1
	s_waitcnt vmcnt(0) lgkmcnt(0)
	flat_load_dwordx2 v[98:99], v[8:9]
	v_lshl_add_u64 v[8:9], v[68:69], 0, v[52:53]
	flat_load_dwordx2 v[96:97], v[8:9]
	v_lshl_add_u64 v[8:9], v[64:65], 0, v[52:53]
	;; [unrolled: 2-line block ×3, first 2 shown]
	flat_load_dwordx2 v[100:101], v[8:9]
.LBB160_102:                            ;   in Loop: Header=BB160_78 Depth=1
	ds_read_b64 v[24:25], v127
	ds_read_b128 v[12:15], v126 offset:128
	ds_read_b128 v[8:11], v126 offset:144
	s_and_b64 vcc, exec, s[4:5]
	s_mov_b64 s[14:15], -1
	s_waitcnt vmcnt(0) lgkmcnt(0)
	v_mul_f64 v[26:27], v[98:99], v[24:25]
	v_mul_f64 v[28:29], v[96:97], v[24:25]
	;; [unrolled: 1-line block ×4, first 2 shown]
	ds_write2_b64 v128, v[26:27], v[28:29] offset1:67
	ds_write2_b64 v128, v[30:31], v[24:25] offset0:134 offset1:201
	s_waitcnt lgkmcnt(0)
	s_barrier
	ds_read2_b64 v[36:39], v129 offset1:1
	ds_read2_b64 v[32:35], v129 offset0:2 offset1:3
	v_lshl_add_u64 v[24:25], v[78:79], 0, v[52:53]
	s_waitcnt lgkmcnt(0)
	s_barrier
                                        ; implicit-def: $vgpr108_vgpr109
                                        ; implicit-def: $vgpr110_vgpr111
                                        ; implicit-def: $vgpr104_vgpr105
                                        ; implicit-def: $vgpr106_vgpr107
	s_cbranch_vccnz .LBB160_112
; %bb.103:                              ;   in Loop: Header=BB160_78 Depth=1
	v_cmp_gt_i32_e32 vcc, s22, v139
	v_mov_b64_e32 v[104:105], 0
	v_mov_b64_e32 v[106:107], 0
	s_and_saveexec_b64 s[14:15], vcc
	s_cbranch_execz .LBB160_105
; %bb.104:                              ;   in Loop: Header=BB160_78 Depth=1
	flat_load_dwordx2 v[106:107], v[24:25]
.LBB160_105:                            ;   in Loop: Header=BB160_78 Depth=1
	s_or_b64 exec, exec, s[14:15]
	v_cmp_gt_i32_e32 vcc, s22, v140
	s_and_saveexec_b64 s[14:15], vcc
	s_cbranch_execz .LBB160_107
; %bb.106:                              ;   in Loop: Header=BB160_78 Depth=1
	v_lshl_add_u64 v[26:27], v[76:77], 0, v[52:53]
	flat_load_dwordx2 v[104:105], v[26:27]
.LBB160_107:                            ;   in Loop: Header=BB160_78 Depth=1
	s_or_b64 exec, exec, s[14:15]
	v_cmp_gt_i32_e32 vcc, s22, v141
	v_mov_b64_e32 v[108:109], 0
	v_mov_b64_e32 v[110:111], 0
	s_and_saveexec_b64 s[14:15], vcc
	s_cbranch_execz .LBB160_109
; %bb.108:                              ;   in Loop: Header=BB160_78 Depth=1
	v_lshl_add_u64 v[26:27], v[72:73], 0, v[52:53]
	flat_load_dwordx2 v[110:111], v[26:27]
.LBB160_109:                            ;   in Loop: Header=BB160_78 Depth=1
	s_or_b64 exec, exec, s[14:15]
	v_cmp_gt_i32_e32 vcc, s22, v142
	s_and_saveexec_b64 s[14:15], vcc
	s_cbranch_execz .LBB160_111
; %bb.110:                              ;   in Loop: Header=BB160_78 Depth=1
	v_lshl_add_u64 v[26:27], v[74:75], 0, v[52:53]
	flat_load_dwordx2 v[108:109], v[26:27]
.LBB160_111:                            ;   in Loop: Header=BB160_78 Depth=1
	s_or_b64 exec, exec, s[14:15]
	s_mov_b64 s[14:15], 0
.LBB160_112:                            ;   in Loop: Header=BB160_78 Depth=1
	s_and_b64 vcc, exec, s[14:15]
	s_cbranch_vccz .LBB160_114
; %bb.113:                              ;   in Loop: Header=BB160_78 Depth=1
	s_waitcnt vmcnt(0) lgkmcnt(0)
	flat_load_dwordx2 v[106:107], v[24:25]
	v_lshl_add_u64 v[24:25], v[76:77], 0, v[52:53]
	flat_load_dwordx2 v[104:105], v[24:25]
	v_lshl_add_u64 v[24:25], v[72:73], 0, v[52:53]
	;; [unrolled: 2-line block ×3, first 2 shown]
	flat_load_dwordx2 v[108:109], v[24:25]
.LBB160_114:                            ;   in Loop: Header=BB160_78 Depth=1
	ds_read_b64 v[40:41], v127
	ds_read_b128 v[28:31], v126 offset:256
	ds_read_b128 v[24:27], v126 offset:272
	v_lshl_add_u64 v[120:121], v[86:87], 0, v[52:53]
	s_and_b64 vcc, exec, s[4:5]
	s_waitcnt vmcnt(0) lgkmcnt(0)
	v_mul_f64 v[42:43], v[106:107], v[40:41]
	v_mul_f64 v[44:45], v[104:105], v[40:41]
	;; [unrolled: 1-line block ×4, first 2 shown]
	ds_write2_b64 v128, v[42:43], v[44:45] offset1:67
	ds_write2_b64 v128, v[46:47], v[40:41] offset0:134 offset1:201
	s_waitcnt lgkmcnt(0)
	s_barrier
	ds_read2_b64 v[44:47], v129 offset1:1
	ds_read2_b64 v[40:43], v129 offset0:2 offset1:3
	s_mov_b64 s[4:5], -1
	s_waitcnt lgkmcnt(0)
	s_barrier
                                        ; implicit-def: $vgpr116_vgpr117
                                        ; implicit-def: $vgpr118_vgpr119
                                        ; implicit-def: $vgpr112_vgpr113
                                        ; implicit-def: $vgpr114_vgpr115
	s_cbranch_vccnz .LBB160_124
; %bb.115:                              ;   in Loop: Header=BB160_78 Depth=1
	v_cmp_gt_i32_e32 vcc, s22, v143
	v_mov_b64_e32 v[112:113], 0
	v_mov_b64_e32 v[114:115], 0
	s_and_saveexec_b64 s[4:5], vcc
	s_cbranch_execz .LBB160_117
; %bb.116:                              ;   in Loop: Header=BB160_78 Depth=1
	flat_load_dwordx2 v[114:115], v[120:121]
.LBB160_117:                            ;   in Loop: Header=BB160_78 Depth=1
	s_or_b64 exec, exec, s[4:5]
	v_cmp_gt_i32_e32 vcc, s22, v144
	s_and_saveexec_b64 s[4:5], vcc
	s_cbranch_execz .LBB160_119
; %bb.118:                              ;   in Loop: Header=BB160_78 Depth=1
	v_lshl_add_u64 v[112:113], v[84:85], 0, v[52:53]
	flat_load_dwordx2 v[112:113], v[112:113]
.LBB160_119:                            ;   in Loop: Header=BB160_78 Depth=1
	s_or_b64 exec, exec, s[4:5]
	v_cmp_gt_i32_e32 vcc, s22, v146
	v_mov_b64_e32 v[116:117], 0
	v_mov_b64_e32 v[118:119], 0
	s_and_saveexec_b64 s[4:5], vcc
	s_cbranch_execz .LBB160_121
; %bb.120:                              ;   in Loop: Header=BB160_78 Depth=1
	v_lshl_add_u64 v[118:119], v[80:81], 0, v[52:53]
	flat_load_dwordx2 v[118:119], v[118:119]
.LBB160_121:                            ;   in Loop: Header=BB160_78 Depth=1
	s_or_b64 exec, exec, s[4:5]
	v_cmp_gt_i32_e32 vcc, s22, v147
	s_and_saveexec_b64 s[4:5], vcc
	s_cbranch_execz .LBB160_123
; %bb.122:                              ;   in Loop: Header=BB160_78 Depth=1
	v_lshl_add_u64 v[116:117], v[82:83], 0, v[52:53]
	flat_load_dwordx2 v[116:117], v[116:117]
.LBB160_123:                            ;   in Loop: Header=BB160_78 Depth=1
	s_or_b64 exec, exec, s[4:5]
	s_mov_b64 s[4:5], 0
.LBB160_124:                            ;   in Loop: Header=BB160_78 Depth=1
	s_and_b64 vcc, exec, s[4:5]
	s_cbranch_vccz .LBB160_126
; %bb.125:                              ;   in Loop: Header=BB160_78 Depth=1
	s_waitcnt vmcnt(0) lgkmcnt(0)
	v_lshl_add_u64 v[116:117], v[80:81], 0, v[52:53]
	v_lshl_add_u64 v[112:113], v[84:85], 0, v[52:53]
	flat_load_dwordx2 v[118:119], v[116:117]
	v_lshl_add_u64 v[116:117], v[82:83], 0, v[52:53]
	flat_load_dwordx2 v[114:115], v[120:121]
	s_nop 0
	flat_load_dwordx2 v[112:113], v[112:113]
	s_nop 0
	flat_load_dwordx2 v[116:117], v[116:117]
.LBB160_126:                            ;   in Loop: Header=BB160_78 Depth=1
	v_add_f64 v[44:45], v[44:45], 0
	v_add_f64 v[44:45], v[44:45], v[46:47]
	;; [unrolled: 1-line block ×4, first 2 shown]
	ds_read_b64 v[40:41], v127
	v_add_f64 v[36:37], v[36:37], 0
	v_add_f64 v[36:37], v[36:37], v[38:39]
	;; [unrolled: 1-line block ×4, first 2 shown]
	s_waitcnt vmcnt(0) lgkmcnt(0)
	v_mul_f64 v[42:43], v[114:115], v[40:41]
	v_mul_f64 v[120:121], v[112:113], v[40:41]
	ds_read_b128 v[36:39], v126 offset:384
	ds_read_b128 v[32:35], v126 offset:400
	ds_write2_b64 v128, v[42:43], v[120:121] offset1:67
	v_mul_f64 v[42:43], v[118:119], v[40:41]
	v_mul_f64 v[40:41], v[116:117], v[40:41]
	ds_write2_b64 v128, v[42:43], v[40:41] offset0:134 offset1:201
	s_waitcnt lgkmcnt(0)
	s_barrier
	ds_read2_b64 v[40:43], v129 offset1:1
	v_add_f64 v[20:21], v[20:21], 0
	v_add_f64 v[120:121], v[20:21], v[22:23]
	ds_read2_b64 v[20:23], v129 offset0:2 offset1:3
	v_add_f64 v[16:17], v[120:121], v[16:17]
	v_add_f64 v[16:17], v[16:17], v[18:19]
	s_waitcnt lgkmcnt(1)
	v_add_f64 v[18:19], v[40:41], 0
	v_cmp_gt_i32_e32 vcc, s22, v122
	v_add_f64 v[18:19], v[18:19], v[42:43]
	s_or_b64 s[4:5], s[12:13], vcc
	s_waitcnt lgkmcnt(0)
	v_add_f64 v[18:19], v[18:19], v[20:21]
	s_and_b64 s[12:13], s[6:7], s[4:5]
	v_add_f64 v[18:19], v[18:19], v[22:23]
	s_barrier
	ds_write2_b64 v145, v[16:17], v[46:47] offset1:16
	ds_write2_b64 v145, v[44:45], v[18:19] offset0:32 offset1:48
	s_waitcnt lgkmcnt(0)
	s_barrier
	s_and_saveexec_b64 s[4:5], s[12:13]
	s_cbranch_execz .LBB160_128
; %bb.127:                              ;   in Loop: Header=BB160_78 Depth=1
	ds_read2_b64 v[16:19], v130 offset1:1
	ds_read2_b64 v[20:23], v130 offset0:2 offset1:3
	ds_read2_b64 v[40:43], v130 offset0:4 offset1:5
	;; [unrolled: 1-line block ×4, first 2 shown]
	s_waitcnt lgkmcnt(4)
	v_add_f64 v[16:17], v[16:17], v[18:19]
	s_waitcnt lgkmcnt(3)
	v_add_f64 v[16:17], v[16:17], v[20:21]
	v_add_f64 v[16:17], v[16:17], v[22:23]
	s_waitcnt lgkmcnt(2)
	v_add_f64 v[16:17], v[16:17], v[40:41]
	;; [unrolled: 3-line block ×3, first 2 shown]
	ds_read2_b64 v[16:19], v130 offset0:10 offset1:11
	v_add_f64 v[20:21], v[20:21], v[46:47]
	s_waitcnt lgkmcnt(1)
	v_add_f64 v[20:21], v[20:21], v[148:149]
	v_add_f64 v[40:41], v[20:21], v[150:151]
	ds_read2_b64 v[20:23], v130 offset0:12 offset1:13
	s_waitcnt lgkmcnt(1)
	v_add_f64 v[16:17], v[40:41], v[16:17]
	ds_read_b64 v[40:41], v130 offset:112
	ds_read_b64 v[42:43], v131
	v_add_f64 v[16:17], v[16:17], v[18:19]
	v_add_u32_e32 v18, s24, v122
	s_waitcnt lgkmcnt(2)
	v_add_f64 v[16:17], v[16:17], v[20:21]
	v_add_f64 v[16:17], v[16:17], v[22:23]
	s_waitcnt lgkmcnt(1)
	v_add_f64 v[16:17], v[16:17], v[40:41]
	v_ashrrev_i32_e32 v19, 31, v18
	s_waitcnt lgkmcnt(0)
	v_add_f64 v[16:17], v[16:17], v[42:43]
	v_lshl_add_u64 v[18:19], v[18:19], 3, s[8:9]
	global_store_dwordx2 v[18:19], v[16:17], off
.LBB160_128:                            ;   in Loop: Header=BB160_78 Depth=1
	s_or_b64 exec, exec, s[4:5]
	v_fmac_f64_e32 v[50:51], v[90:91], v[4:5]
	v_fmac_f64_e32 v[50:51], v[88:89], v[6:7]
	;; [unrolled: 1-line block ×15, first 2 shown]
	s_add_i32 s4, s2, 1
	s_add_i32 s24, s24, 64
	s_add_i32 s2, s2, 2
	v_fmac_f64_e32 v[50:51], v[116:117], v[34:35]
	v_lshl_add_u64 v[56:57], v[56:57], 0, s[10:11]
	v_lshl_add_u64 v[58:59], v[58:59], 0, s[10:11]
	;; [unrolled: 1-line block ×15, first 2 shown]
	s_cmp_ge_u32 s2, s3
	v_lshl_add_u64 v[86:87], v[86:87], 0, s[10:11]
	s_barrier
	s_cbranch_scc0 .LBB160_74
.LBB160_129:
	s_movk_i32 s2, 0x218
	v_cmp_gt_i32_e32 vcc, s18, v122
	v_mad_u32_u24 v0, v123, s2, v52
	s_or_b64 s[2:3], s[20:21], vcc
	s_and_b64 s[0:1], s[0:1], s[2:3]
	ds_write_b64 v0, v[50:51]
	s_waitcnt lgkmcnt(0)
	s_barrier
	s_and_saveexec_b64 s[2:3], s[0:1]
	s_cbranch_execz .LBB160_4
; %bb.130:
	ds_read2_b64 v[0:3], v52 offset1:67
	ds_read2_b64 v[4:7], v52 offset0:134 offset1:201
	s_waitcnt lgkmcnt(1)
	v_add_f64 v[0:1], v[0:1], v[2:3]
	s_waitcnt lgkmcnt(0)
	v_add_f64 v[0:1], v[0:1], v[4:5]
	v_add_f64 v[0:1], v[0:1], v[6:7]
	v_lshl_add_u64 v[2:3], v[48:49], 3, s[8:9]
	global_store_dwordx2 v[2:3], v[0:1], off
	s_endpgm
	.section	.rodata,"a",@progbits
	.p2align	6, 0x0
	.amdhsa_kernel _ZL26rocblas_hemvn_kernel_upperILb0ELi64ELi4ELi33ELi32ELi16ElPKdPKS1_PdEviT6_lT7_lT5_lS6_lS7_lS5_lT8_i
		.amdhsa_group_segment_fixed_size 9600
		.amdhsa_private_segment_fixed_size 0
		.amdhsa_kernarg_size 376
		.amdhsa_user_sgpr_count 2
		.amdhsa_user_sgpr_dispatch_ptr 0
		.amdhsa_user_sgpr_queue_ptr 0
		.amdhsa_user_sgpr_kernarg_segment_ptr 1
		.amdhsa_user_sgpr_dispatch_id 0
		.amdhsa_user_sgpr_kernarg_preload_length 0
		.amdhsa_user_sgpr_kernarg_preload_offset 0
		.amdhsa_user_sgpr_private_segment_size 0
		.amdhsa_uses_dynamic_stack 0
		.amdhsa_enable_private_segment 0
		.amdhsa_system_sgpr_workgroup_id_x 1
		.amdhsa_system_sgpr_workgroup_id_y 0
		.amdhsa_system_sgpr_workgroup_id_z 1
		.amdhsa_system_sgpr_workgroup_info 0
		.amdhsa_system_vgpr_workitem_id 1
		.amdhsa_next_free_vgpr 152
		.amdhsa_next_free_sgpr 38
		.amdhsa_accum_offset 152
		.amdhsa_reserve_vcc 1
		.amdhsa_float_round_mode_32 0
		.amdhsa_float_round_mode_16_64 0
		.amdhsa_float_denorm_mode_32 3
		.amdhsa_float_denorm_mode_16_64 3
		.amdhsa_dx10_clamp 1
		.amdhsa_ieee_mode 1
		.amdhsa_fp16_overflow 0
		.amdhsa_tg_split 0
		.amdhsa_exception_fp_ieee_invalid_op 0
		.amdhsa_exception_fp_denorm_src 0
		.amdhsa_exception_fp_ieee_div_zero 0
		.amdhsa_exception_fp_ieee_overflow 0
		.amdhsa_exception_fp_ieee_underflow 0
		.amdhsa_exception_fp_ieee_inexact 0
		.amdhsa_exception_int_div_zero 0
	.end_amdhsa_kernel
	.section	.text._ZL26rocblas_hemvn_kernel_upperILb0ELi64ELi4ELi33ELi32ELi16ElPKdPKS1_PdEviT6_lT7_lT5_lS6_lS7_lS5_lT8_i,"axG",@progbits,_ZL26rocblas_hemvn_kernel_upperILb0ELi64ELi4ELi33ELi32ELi16ElPKdPKS1_PdEviT6_lT7_lT5_lS6_lS7_lS5_lT8_i,comdat
.Lfunc_end160:
	.size	_ZL26rocblas_hemvn_kernel_upperILb0ELi64ELi4ELi33ELi32ELi16ElPKdPKS1_PdEviT6_lT7_lT5_lS6_lS7_lS5_lT8_i, .Lfunc_end160-_ZL26rocblas_hemvn_kernel_upperILb0ELi64ELi4ELi33ELi32ELi16ElPKdPKS1_PdEviT6_lT7_lT5_lS6_lS7_lS5_lT8_i
                                        ; -- End function
	.set _ZL26rocblas_hemvn_kernel_upperILb0ELi64ELi4ELi33ELi32ELi16ElPKdPKS1_PdEviT6_lT7_lT5_lS6_lS7_lS5_lT8_i.num_vgpr, 152
	.set _ZL26rocblas_hemvn_kernel_upperILb0ELi64ELi4ELi33ELi32ELi16ElPKdPKS1_PdEviT6_lT7_lT5_lS6_lS7_lS5_lT8_i.num_agpr, 0
	.set _ZL26rocblas_hemvn_kernel_upperILb0ELi64ELi4ELi33ELi32ELi16ElPKdPKS1_PdEviT6_lT7_lT5_lS6_lS7_lS5_lT8_i.numbered_sgpr, 38
	.set _ZL26rocblas_hemvn_kernel_upperILb0ELi64ELi4ELi33ELi32ELi16ElPKdPKS1_PdEviT6_lT7_lT5_lS6_lS7_lS5_lT8_i.num_named_barrier, 0
	.set _ZL26rocblas_hemvn_kernel_upperILb0ELi64ELi4ELi33ELi32ELi16ElPKdPKS1_PdEviT6_lT7_lT5_lS6_lS7_lS5_lT8_i.private_seg_size, 0
	.set _ZL26rocblas_hemvn_kernel_upperILb0ELi64ELi4ELi33ELi32ELi16ElPKdPKS1_PdEviT6_lT7_lT5_lS6_lS7_lS5_lT8_i.uses_vcc, 1
	.set _ZL26rocblas_hemvn_kernel_upperILb0ELi64ELi4ELi33ELi32ELi16ElPKdPKS1_PdEviT6_lT7_lT5_lS6_lS7_lS5_lT8_i.uses_flat_scratch, 0
	.set _ZL26rocblas_hemvn_kernel_upperILb0ELi64ELi4ELi33ELi32ELi16ElPKdPKS1_PdEviT6_lT7_lT5_lS6_lS7_lS5_lT8_i.has_dyn_sized_stack, 0
	.set _ZL26rocblas_hemvn_kernel_upperILb0ELi64ELi4ELi33ELi32ELi16ElPKdPKS1_PdEviT6_lT7_lT5_lS6_lS7_lS5_lT8_i.has_recursion, 0
	.set _ZL26rocblas_hemvn_kernel_upperILb0ELi64ELi4ELi33ELi32ELi16ElPKdPKS1_PdEviT6_lT7_lT5_lS6_lS7_lS5_lT8_i.has_indirect_call, 0
	.section	.AMDGPU.csdata,"",@progbits
; Kernel info:
; codeLenInByte = 7116
; TotalNumSgprs: 44
; NumVgprs: 152
; NumAgprs: 0
; TotalNumVgprs: 152
; ScratchSize: 0
; MemoryBound: 0
; FloatMode: 240
; IeeeMode: 1
; LDSByteSize: 9600 bytes/workgroup (compile time only)
; SGPRBlocks: 5
; VGPRBlocks: 18
; NumSGPRsForWavesPerEU: 44
; NumVGPRsForWavesPerEU: 152
; AccumOffset: 152
; Occupancy: 3
; WaveLimiterHint : 1
; COMPUTE_PGM_RSRC2:SCRATCH_EN: 0
; COMPUTE_PGM_RSRC2:USER_SGPR: 2
; COMPUTE_PGM_RSRC2:TRAP_HANDLER: 0
; COMPUTE_PGM_RSRC2:TGID_X_EN: 1
; COMPUTE_PGM_RSRC2:TGID_Y_EN: 0
; COMPUTE_PGM_RSRC2:TGID_Z_EN: 1
; COMPUTE_PGM_RSRC2:TIDIG_COMP_CNT: 1
; COMPUTE_PGM_RSRC3_GFX90A:ACCUM_OFFSET: 37
; COMPUTE_PGM_RSRC3_GFX90A:TG_SPLIT: 0
	.section	.text._ZL36rocblas_hemvn_kernel_upper_block_sumILi64ElPKdPKPddEviT1_lS5_lT2_lT0_lPT3_i,"axG",@progbits,_ZL36rocblas_hemvn_kernel_upper_block_sumILi64ElPKdPKPddEviT1_lS5_lT2_lT0_lPT3_i,comdat
	.globl	_ZL36rocblas_hemvn_kernel_upper_block_sumILi64ElPKdPKPddEviT1_lS5_lT2_lT0_lPT3_i ; -- Begin function _ZL36rocblas_hemvn_kernel_upper_block_sumILi64ElPKdPKPddEviT1_lS5_lT2_lT0_lPT3_i
	.p2align	8
	.type	_ZL36rocblas_hemvn_kernel_upper_block_sumILi64ElPKdPKPddEviT1_lS5_lT2_lT0_lPT3_i,@function
_ZL36rocblas_hemvn_kernel_upper_block_sumILi64ElPKdPKPddEviT1_lS5_lT2_lT0_lPT3_i: ; @_ZL36rocblas_hemvn_kernel_upper_block_sumILi64ElPKdPKPddEviT1_lS5_lT2_lT0_lPT3_i
; %bb.0:
	s_load_dwordx8 s[8:15], s[0:1], 0x8
	s_mov_b32 s16, s3
	s_waitcnt lgkmcnt(0)
	s_mul_i32 s3, s11, s3
	s_mul_hi_u32 s4, s10, s16
	s_add_i32 s5, s4, s3
	s_mul_i32 s4, s10, s16
	s_lshl_b64 s[4:5], s[4:5], 3
	s_add_u32 s4, s8, s4
	s_addc_u32 s5, s9, s5
	s_load_dwordx2 s[8:9], s[4:5], 0x0
	s_mul_i32 s3, s15, s16
	s_mul_hi_u32 s4, s14, s16
	s_add_i32 s5, s4, s3
	s_mul_i32 s4, s14, s16
	s_lshl_b64 s[4:5], s[4:5], 3
	s_add_u32 s4, s12, s4
	s_addc_u32 s5, s13, s5
	s_load_dwordx2 s[12:13], s[4:5], 0x0
	s_waitcnt lgkmcnt(0)
	v_cmp_eq_f64_e64 s[4:5], s[8:9], 0
	v_cmp_eq_f64_e64 s[6:7], s[12:13], 1.0
	s_and_b64 s[4:5], s[4:5], s[6:7]
	s_and_b64 vcc, exec, s[4:5]
	s_cbranch_vccnz .LBB161_19
; %bb.1:
	s_load_dwordx2 s[10:11], s[0:1], 0x28
	s_mov_b32 s17, 0
	s_lshl_b64 s[14:15], s[16:17], 3
	s_load_dword s18, s[0:1], 0x0
	s_load_dwordx4 s[4:7], s[0:1], 0x30
	v_lshl_or_b32 v0, s2, 6, v0
	s_waitcnt lgkmcnt(0)
	s_add_u32 s10, s10, s14
	s_addc_u32 s11, s11, s15
	s_load_dwordx2 s[10:11], s[10:11], 0x0
	s_lshl_b64 s[4:5], s[4:5], 3
	v_cmp_neq_f64_e64 s[20:21], s[8:9], 0
	s_mov_b64 s[14:15], 0
	s_waitcnt lgkmcnt(0)
	s_add_u32 s10, s10, s4
	s_addc_u32 s11, s11, s5
	s_and_b64 vcc, exec, s[20:21]
	v_cmp_gt_i32_e64 s[4:5], s18, v0
	s_cbranch_vccnz .LBB161_6
; %bb.2:
	s_mov_b64 s[20:21], 0
                                        ; implicit-def: $vgpr2_vgpr3
                                        ; implicit-def: $vgpr4_vgpr5
	s_and_saveexec_b64 s[22:23], s[4:5]
	s_cbranch_execz .LBB161_7
; %bb.3:
	v_ashrrev_i32_e32 v1, 31, v0
	v_cmp_eq_f64_e64 s[4:5], s[12:13], 0
	v_mul_lo_u32 v6, s7, v0
	v_mul_lo_u32 v1, s6, v1
	v_mad_u64_u32 v[4:5], s[14:15], s6, v0, 0
	v_mov_b64_e32 v[2:3], 0
	v_add3_u32 v5, v5, v1, v6
	s_and_b64 vcc, exec, s[4:5]
	s_cbranch_vccnz .LBB161_5
; %bb.4:
	v_lshl_add_u64 v[2:3], v[4:5], 3, s[10:11]
	flat_load_dwordx2 v[2:3], v[2:3]
	s_waitcnt vmcnt(0) lgkmcnt(0)
	v_mul_f64 v[2:3], s[12:13], v[2:3]
.LBB161_5:
	s_mov_b64 s[14:15], exec
	s_or_b64 exec, exec, s[22:23]
	s_and_b64 vcc, exec, s[20:21]
	s_cbranch_vccnz .LBB161_8
	s_branch .LBB161_17
.LBB161_6:
                                        ; implicit-def: $vgpr2_vgpr3
                                        ; implicit-def: $vgpr4_vgpr5
	s_cbranch_execnz .LBB161_8
	s_branch .LBB161_17
.LBB161_7:
	s_or_b64 exec, exec, s[22:23]
	s_and_b64 vcc, exec, s[20:21]
	s_cbranch_vccz .LBB161_17
.LBB161_8:
	v_cmp_gt_i32_e32 vcc, s18, v0
                                        ; implicit-def: $vgpr2_vgpr3
                                        ; implicit-def: $vgpr4_vgpr5
	s_and_saveexec_b64 s[4:5], vcc
	s_cbranch_execz .LBB161_16
; %bb.9:
	v_ashrrev_i32_e32 v1, 31, v0
	s_cmp_lt_i32 s2, 0
	v_mov_b64_e32 v[6:7], 0
	s_cbranch_scc1 .LBB161_12
; %bb.10:
	s_load_dwordx2 s[20:21], s[0:1], 0x48
	s_load_dword s3, s[0:1], 0x58
	s_ashr_i32 s19, s18, 31
	s_mul_hi_u32 s0, s18, s16
	s_mul_i32 s1, s19, s16
	s_add_i32 s0, s0, s1
	s_mul_i32 s16, s18, s16
	s_waitcnt lgkmcnt(0)
	s_mul_i32 s0, s0, s3
	s_mul_hi_u32 s1, s16, s3
	s_add_i32 s1, s1, s0
	s_mul_i32 s0, s16, s3
	s_lshl_b64 s[0:1], s[0:1], 3
	s_add_u32 s0, s20, s0
	s_addc_u32 s1, s21, s1
	v_lshl_add_u64 v[2:3], v[0:1], 3, s[0:1]
	s_add_i32 s2, s2, 1
	s_lshl_b64 s[0:1], s[18:19], 3
	v_mov_b64_e32 v[6:7], 0
.LBB161_11:                             ; =>This Inner Loop Header: Depth=1
	global_load_dwordx2 v[4:5], v[2:3], off
	s_add_i32 s2, s2, -1
	v_lshl_add_u64 v[2:3], v[2:3], 0, s[0:1]
	s_cmp_eq_u32 s2, 0
	s_waitcnt vmcnt(0)
	v_add_f64 v[6:7], v[6:7], v[4:5]
	s_cbranch_scc0 .LBB161_11
.LBB161_12:
	v_cmp_eq_f64_e64 s[2:3], s[12:13], 0
	s_mov_b64 s[0:1], 0
	s_and_b64 vcc, exec, s[2:3]
	v_mul_lo_u32 v8, s7, v0
	v_mul_lo_u32 v1, s6, v1
	s_cbranch_vccz .LBB161_20
; %bb.13:
	v_mad_u64_u32 v[4:5], s[2:3], s6, v0, 0
	v_mul_f64 v[2:3], s[8:9], v[6:7]
	v_add3_u32 v5, v5, v1, v8
	s_andn2_b64 vcc, exec, s[0:1]
	s_cbranch_vccnz .LBB161_15
.LBB161_14:
	v_mad_u64_u32 v[4:5], s[0:1], s6, v0, 0
	v_add3_u32 v5, v5, v1, v8
	v_lshl_add_u64 v[0:1], v[4:5], 3, s[10:11]
	flat_load_dwordx2 v[0:1], v[0:1]
	s_waitcnt vmcnt(0) lgkmcnt(0)
	v_mul_f64 v[2:3], s[12:13], v[0:1]
	v_fmac_f64_e32 v[2:3], s[8:9], v[6:7]
.LBB161_15:
	s_or_b64 s[14:15], s[14:15], exec
.LBB161_16:
	s_or_b64 exec, exec, s[4:5]
.LBB161_17:
	s_and_saveexec_b64 s[0:1], s[14:15]
	s_cbranch_execz .LBB161_19
; %bb.18:
	v_lshl_add_u64 v[0:1], v[4:5], 3, s[10:11]
	flat_store_dwordx2 v[0:1], v[2:3]
.LBB161_19:
	s_endpgm
.LBB161_20:
                                        ; implicit-def: $vgpr2_vgpr3
                                        ; implicit-def: $vgpr4_vgpr5
	s_branch .LBB161_14
	.section	.rodata,"a",@progbits
	.p2align	6, 0x0
	.amdhsa_kernel _ZL36rocblas_hemvn_kernel_upper_block_sumILi64ElPKdPKPddEviT1_lS5_lT2_lT0_lPT3_i
		.amdhsa_group_segment_fixed_size 0
		.amdhsa_private_segment_fixed_size 0
		.amdhsa_kernarg_size 344
		.amdhsa_user_sgpr_count 2
		.amdhsa_user_sgpr_dispatch_ptr 0
		.amdhsa_user_sgpr_queue_ptr 0
		.amdhsa_user_sgpr_kernarg_segment_ptr 1
		.amdhsa_user_sgpr_dispatch_id 0
		.amdhsa_user_sgpr_kernarg_preload_length 0
		.amdhsa_user_sgpr_kernarg_preload_offset 0
		.amdhsa_user_sgpr_private_segment_size 0
		.amdhsa_uses_dynamic_stack 0
		.amdhsa_enable_private_segment 0
		.amdhsa_system_sgpr_workgroup_id_x 1
		.amdhsa_system_sgpr_workgroup_id_y 0
		.amdhsa_system_sgpr_workgroup_id_z 1
		.amdhsa_system_sgpr_workgroup_info 0
		.amdhsa_system_vgpr_workitem_id 0
		.amdhsa_next_free_vgpr 9
		.amdhsa_next_free_sgpr 24
		.amdhsa_accum_offset 12
		.amdhsa_reserve_vcc 1
		.amdhsa_float_round_mode_32 0
		.amdhsa_float_round_mode_16_64 0
		.amdhsa_float_denorm_mode_32 3
		.amdhsa_float_denorm_mode_16_64 3
		.amdhsa_dx10_clamp 1
		.amdhsa_ieee_mode 1
		.amdhsa_fp16_overflow 0
		.amdhsa_tg_split 0
		.amdhsa_exception_fp_ieee_invalid_op 0
		.amdhsa_exception_fp_denorm_src 0
		.amdhsa_exception_fp_ieee_div_zero 0
		.amdhsa_exception_fp_ieee_overflow 0
		.amdhsa_exception_fp_ieee_underflow 0
		.amdhsa_exception_fp_ieee_inexact 0
		.amdhsa_exception_int_div_zero 0
	.end_amdhsa_kernel
	.section	.text._ZL36rocblas_hemvn_kernel_upper_block_sumILi64ElPKdPKPddEviT1_lS5_lT2_lT0_lPT3_i,"axG",@progbits,_ZL36rocblas_hemvn_kernel_upper_block_sumILi64ElPKdPKPddEviT1_lS5_lT2_lT0_lPT3_i,comdat
.Lfunc_end161:
	.size	_ZL36rocblas_hemvn_kernel_upper_block_sumILi64ElPKdPKPddEviT1_lS5_lT2_lT0_lPT3_i, .Lfunc_end161-_ZL36rocblas_hemvn_kernel_upper_block_sumILi64ElPKdPKPddEviT1_lS5_lT2_lT0_lPT3_i
                                        ; -- End function
	.set _ZL36rocblas_hemvn_kernel_upper_block_sumILi64ElPKdPKPddEviT1_lS5_lT2_lT0_lPT3_i.num_vgpr, 9
	.set _ZL36rocblas_hemvn_kernel_upper_block_sumILi64ElPKdPKPddEviT1_lS5_lT2_lT0_lPT3_i.num_agpr, 0
	.set _ZL36rocblas_hemvn_kernel_upper_block_sumILi64ElPKdPKPddEviT1_lS5_lT2_lT0_lPT3_i.numbered_sgpr, 24
	.set _ZL36rocblas_hemvn_kernel_upper_block_sumILi64ElPKdPKPddEviT1_lS5_lT2_lT0_lPT3_i.num_named_barrier, 0
	.set _ZL36rocblas_hemvn_kernel_upper_block_sumILi64ElPKdPKPddEviT1_lS5_lT2_lT0_lPT3_i.private_seg_size, 0
	.set _ZL36rocblas_hemvn_kernel_upper_block_sumILi64ElPKdPKPddEviT1_lS5_lT2_lT0_lPT3_i.uses_vcc, 1
	.set _ZL36rocblas_hemvn_kernel_upper_block_sumILi64ElPKdPKPddEviT1_lS5_lT2_lT0_lPT3_i.uses_flat_scratch, 0
	.set _ZL36rocblas_hemvn_kernel_upper_block_sumILi64ElPKdPKPddEviT1_lS5_lT2_lT0_lPT3_i.has_dyn_sized_stack, 0
	.set _ZL36rocblas_hemvn_kernel_upper_block_sumILi64ElPKdPKPddEviT1_lS5_lT2_lT0_lPT3_i.has_recursion, 0
	.set _ZL36rocblas_hemvn_kernel_upper_block_sumILi64ElPKdPKPddEviT1_lS5_lT2_lT0_lPT3_i.has_indirect_call, 0
	.section	.AMDGPU.csdata,"",@progbits
; Kernel info:
; codeLenInByte = 672
; TotalNumSgprs: 30
; NumVgprs: 9
; NumAgprs: 0
; TotalNumVgprs: 9
; ScratchSize: 0
; MemoryBound: 0
; FloatMode: 240
; IeeeMode: 1
; LDSByteSize: 0 bytes/workgroup (compile time only)
; SGPRBlocks: 3
; VGPRBlocks: 1
; NumSGPRsForWavesPerEU: 30
; NumVGPRsForWavesPerEU: 9
; AccumOffset: 12
; Occupancy: 8
; WaveLimiterHint : 1
; COMPUTE_PGM_RSRC2:SCRATCH_EN: 0
; COMPUTE_PGM_RSRC2:USER_SGPR: 2
; COMPUTE_PGM_RSRC2:TRAP_HANDLER: 0
; COMPUTE_PGM_RSRC2:TGID_X_EN: 1
; COMPUTE_PGM_RSRC2:TGID_Y_EN: 0
; COMPUTE_PGM_RSRC2:TGID_Z_EN: 1
; COMPUTE_PGM_RSRC2:TIDIG_COMP_CNT: 0
; COMPUTE_PGM_RSRC3_GFX90A:ACCUM_OFFSET: 2
; COMPUTE_PGM_RSRC3_GFX90A:TG_SPLIT: 0
	.section	.text._ZL26rocblas_hemvn_kernel_upperILb0ELi64ELi4ELi33ELi32ELi16EiPKdPKS1_PdEviT6_lT7_lT5_lS6_lS7_lS5_lT8_i,"axG",@progbits,_ZL26rocblas_hemvn_kernel_upperILb0ELi64ELi4ELi33ELi32ELi16EiPKdPKS1_PdEviT6_lT7_lT5_lS6_lS7_lS5_lT8_i,comdat
	.globl	_ZL26rocblas_hemvn_kernel_upperILb0ELi64ELi4ELi33ELi32ELi16EiPKdPKS1_PdEviT6_lT7_lT5_lS6_lS7_lS5_lT8_i ; -- Begin function _ZL26rocblas_hemvn_kernel_upperILb0ELi64ELi4ELi33ELi32ELi16EiPKdPKS1_PdEviT6_lT7_lT5_lS6_lS7_lS5_lT8_i
	.p2align	8
	.type	_ZL26rocblas_hemvn_kernel_upperILb0ELi64ELi4ELi33ELi32ELi16EiPKdPKS1_PdEviT6_lT7_lT5_lS6_lS7_lS5_lT8_i,@function
_ZL26rocblas_hemvn_kernel_upperILb0ELi64ELi4ELi33ELi32ELi16EiPKdPKS1_PdEviT6_lT7_lT5_lS6_lS7_lS5_lT8_i: ; @_ZL26rocblas_hemvn_kernel_upperILb0ELi64ELi4ELi33ELi32ELi16EiPKdPKS1_PdEviT6_lT7_lT5_lS6_lS7_lS5_lT8_i
; %bb.0:
	s_load_dwordx2 s[4:5], s[0:1], 0x84
	s_add_u32 s12, s0, 0x78
	s_mov_b32 s22, s3
	s_addc_u32 s13, s1, 0
	s_waitcnt lgkmcnt(0)
	s_and_b32 s3, s5, 0xffff
	s_lshr_b32 s5, s4, 16
	s_and_b32 s4, s4, 0xffff
	s_mul_i32 s4, s5, s4
	s_mul_i32 s4, s4, s3
	s_cmpk_lg_i32 s4, 0x100
	s_cbranch_scc1 .LBB162_4
; %bb.1:
	s_load_dwordx8 s[4:11], s[0:1], 0x8
	s_load_dwordx4 s[16:19], s[0:1], 0x58
	s_waitcnt lgkmcnt(0)
	s_mul_i32 s3, s7, s22
	s_mul_hi_u32 s7, s6, s22
	s_mul_i32 s6, s6, s22
	s_add_i32 s7, s7, s3
	s_lshl_b64 s[6:7], s[6:7], 3
	s_mul_i32 s14, s19, s22
	s_add_u32 s4, s4, s6
	s_mul_hi_u32 s3, s18, s22
	s_addc_u32 s5, s5, s7
	s_add_i32 s7, s3, s14
	s_mul_i32 s6, s18, s22
	s_lshl_b64 s[6:7], s[6:7], 3
	s_add_u32 s6, s16, s6
	s_addc_u32 s7, s17, s7
	s_load_dwordx2 s[4:5], s[4:5], 0x0
	s_nop 0
	s_load_dwordx2 s[14:15], s[6:7], 0x0
	s_waitcnt lgkmcnt(0)
	v_cmp_eq_f64_e64 s[6:7], s[4:5], 0
	v_cmp_eq_f64_e64 s[4:5], s[14:15], 1.0
	s_and_b64 s[4:5], s[6:7], s[4:5]
	s_and_b64 vcc, exec, s[4:5]
	s_cbranch_vccnz .LBB162_4
; %bb.2:
	s_mov_b64 s[4:5], 0
	s_and_b64 vcc, exec, s[6:7]
	s_cbranch_vccz .LBB162_5
; %bb.3:
	s_andn2_b64 vcc, exec, s[4:5]
	s_cbranch_vccz .LBB162_6
.LBB162_4:
	s_endpgm
.LBB162_5:
.LBB162_6:
	s_mov_b32 s23, 0
	s_load_dwordx4 s[4:7], s[0:1], 0x38
	s_load_dword s36, s[0:1], 0x48
	s_lshl_b64 s[14:15], s[22:23], 3
	s_add_u32 s8, s8, s14
	s_addc_u32 s9, s9, s15
	s_waitcnt lgkmcnt(0)
	s_add_u32 s14, s4, s14
	s_addc_u32 s15, s5, s15
	s_load_dwordx2 s[16:17], s[14:15], 0x0
	s_load_dwordx2 s[26:27], s[0:1], 0x68
	s_load_dword s23, s[0:1], 0x0
	s_load_dword s3, s[12:13], 0x0
	s_load_dwordx2 s[4:5], s[8:9], 0x0
	s_lshl_b64 s[6:7], s[6:7], 3
	s_waitcnt lgkmcnt(0)
	s_add_u32 s6, s16, s6
	s_addc_u32 s7, s17, s7
	s_ashr_i32 s37, s23, 31
	s_lshr_b32 s9, s37, 26
	v_and_b32_e32 v50, 0x3ff, v0
	s_lshl_b32 s24, s2, 6
	s_add_i32 s9, s23, s9
	s_andn2_b32 s9, s9, 63
	v_add_u32_e32 v48, s24, v50
	v_bfe_u32 v49, v0, 10, 10
	s_add_i32 s8, s3, -1
	s_sub_i32 s33, s23, s9
	v_mul_lo_u32 v0, s36, v48
	s_cmp_eq_u32 s2, s8
	v_ashrrev_i32_e32 v1, 31, v0
	s_cselect_b32 s16, s33, 0
	v_lshl_add_u64 v[14:15], v[0:1], 3, s[6:7]
	v_cmp_eq_u32_e64 s[12:13], 0, v49
	s_and_saveexec_b64 s[6:7], s[12:13]
	s_cbranch_execz .LBB162_10
; %bb.7:
	s_cmp_eq_u32 s16, 0
	s_cselect_b64 s[8:9], -1, 0
	v_cmp_gt_i32_e32 vcc, s16, v50
	s_or_b64 s[14:15], s[8:9], vcc
	v_mov_b64_e32 v[0:1], 0
	s_and_saveexec_b64 s[8:9], s[14:15]
	s_cbranch_execz .LBB162_9
; %bb.8:
	flat_load_dwordx2 v[0:1], v[14:15]
.LBB162_9:
	s_or_b64 exec, exec, s[8:9]
	v_lshlrev_b32_e32 v2, 3, v50
	s_waitcnt vmcnt(0) lgkmcnt(0)
	ds_write_b64 v2, v[0:1] offset:9088
.LBB162_10:
	s_or_b64 exec, exec, s[6:7]
	s_lshl_b64 s[6:7], s[10:11], 3
	s_load_dword s20, s[0:1], 0x28
	s_add_u32 s4, s4, s6
	s_addc_u32 s5, s5, s7
	s_ashr_i32 s25, s24, 31
	v_lshl_add_u32 v22, v49, 6, v50
	s_lshl_b64 s[0:1], s[24:25], 3
	v_and_b32_e32 v2, 31, v50
	v_lshrrev_b32_e32 v10, 5, v22
	s_add_u32 s0, s4, s0
	s_addc_u32 s1, s5, s1
	s_waitcnt lgkmcnt(0)
	v_mad_u64_u32 v[12:13], s[4:5], s20, v10, v[2:3]
	v_ashrrev_i32_e32 v13, 31, v12
	v_lshl_add_u64 v[0:1], v[12:13], 3, s[0:1]
	s_mul_i32 s0, s20, s24
	s_ashr_i32 s1, s0, 31
	s_cmp_eq_u32 s16, 0
	s_cselect_b64 s[18:19], -1, 0
	s_cmp_lg_u32 s16, 0
	s_cselect_b64 s[30:31], -1, 0
	v_lshl_add_u64 v[6:7], s[0:1], 3, v[0:1]
	s_and_b64 vcc, exec, s[30:31]
	v_cmp_gt_i32_e64 s[0:1], s16, v2
	v_lshlrev_b32_e32 v0, 3, v2
	s_cbranch_vccz .LBB162_20
; %bb.11:
	v_sub_co_u32_e32 v4, vcc, v6, v0
	s_ashr_i32 s17, s16, 31
	s_nop 0
	v_subbrev_co_u32_e32 v5, vcc, 0, v7, vcc
	v_lshl_add_u64 v[4:5], s[16:17], 3, v[4:5]
	v_lshl_add_u64 v[4:5], v[4:5], 0, -8
	v_cndmask_b32_e64 v5, v5, v7, s[0:1]
	v_cndmask_b32_e64 v4, v4, v6, s[0:1]
	v_cmp_gt_i32_e32 vcc, s16, v10
	v_mov_b64_e32 v[8:9], 0
	v_mov_b64_e32 v[16:17], 0
	s_and_saveexec_b64 s[4:5], vcc
	s_cbranch_execz .LBB162_13
; %bb.12:
	flat_load_dwordx2 v[16:17], v[4:5]
.LBB162_13:
	s_or_b64 exec, exec, s[4:5]
	s_movk_i32 s4, 0x108
	v_mad_u32_u24 v3, v10, s4, v0
	s_waitcnt vmcnt(0) lgkmcnt(0)
	ds_write_b64 v3, v[16:17]
	v_add_u32_e32 v3, 8, v10
	v_mul_u32_u24_e32 v1, 0x108, v10
	v_cmp_gt_i32_e32 vcc, s16, v3
	s_and_saveexec_b64 s[4:5], vcc
	s_cbranch_execz .LBB162_15
; %bb.14:
	s_lshl_b32 s6, s20, 3
	s_ashr_i32 s7, s6, 31
	v_lshl_add_u64 v[8:9], s[6:7], 3, v[4:5]
	flat_load_dwordx2 v[8:9], v[8:9]
.LBB162_15:
	s_or_b64 exec, exec, s[4:5]
	v_add_u32_e32 v1, v1, v0
	v_add_u32_e32 v3, 16, v10
	s_waitcnt vmcnt(0) lgkmcnt(0)
	ds_write_b64 v1, v[8:9] offset:2112
	v_cmp_gt_i32_e32 vcc, s16, v3
	v_mov_b64_e32 v[8:9], 0
	v_mov_b64_e32 v[16:17], 0
	s_and_saveexec_b64 s[4:5], vcc
	s_cbranch_execz .LBB162_17
; %bb.16:
	s_lshl_b32 s6, s20, 4
	s_ashr_i32 s7, s6, 31
	v_lshl_add_u64 v[16:17], s[6:7], 3, v[4:5]
	flat_load_dwordx2 v[16:17], v[16:17]
.LBB162_17:
	s_or_b64 exec, exec, s[4:5]
	v_add_u32_e32 v3, 24, v10
	v_cmp_gt_i32_e32 vcc, s16, v3
	s_waitcnt vmcnt(0) lgkmcnt(0)
	ds_write_b64 v1, v[16:17] offset:4224
	s_and_saveexec_b64 s[4:5], vcc
	s_cbranch_execz .LBB162_19
; %bb.18:
	s_mul_i32 s6, s20, 24
	s_ashr_i32 s7, s6, 31
	v_lshl_add_u64 v[8:9], s[6:7], 3, v[4:5]
	flat_load_dwordx2 v[8:9], v[8:9]
.LBB162_19:
	s_or_b64 exec, exec, s[4:5]
	s_waitcnt vmcnt(0) lgkmcnt(0)
	ds_write_b64 v1, v[8:9] offset:6336
	v_mov_b32_e32 v1, 0
	v_lshl_add_u64 v[4:5], v[4:5], 0, v[0:1]
	s_lshl_b64 s[4:5], s[16:17], 3
	v_mov_b32_e32 v1, s5
	v_subrev_co_u32_e32 v4, vcc, s4, v4
	s_nop 1
	v_subb_co_u32_e32 v5, vcc, v5, v1, vcc
	v_lshl_add_u64 v[4:5], v[4:5], 0, 8
	v_cndmask_b32_e64 v5, v5, v7, s[0:1]
	v_cndmask_b32_e64 v4, v4, v6, s[0:1]
	s_branch .LBB162_22
.LBB162_20:
                                        ; implicit-def: $vgpr4_vgpr5
	s_cbranch_execz .LBB162_22
; %bb.21:
	s_lshl_b32 s0, s20, 3
	s_ashr_i32 s1, s0, 31
	s_ashr_i32 s21, s20, 31
	v_lshl_add_u64 v[4:5], s[0:1], 3, v[6:7]
	s_lshl_b64 s[0:1], s[20:21], 6
	v_lshl_add_u64 v[8:9], v[4:5], 0, s[0:1]
	v_lshl_add_u64 v[16:17], v[8:9], 0, s[0:1]
	flat_load_dwordx2 v[18:19], v[6:7]
	flat_load_dwordx2 v[20:21], v[4:5]
	;; [unrolled: 1-line block ×4, first 2 shown]
	v_mul_u32_u24_e32 v1, 0x108, v10
	v_lshl_add_u32 v1, v2, 3, v1
	v_mov_b64_e32 v[4:5], v[6:7]
	s_waitcnt vmcnt(0) lgkmcnt(0)
	ds_write_b64 v1, v[18:19]
	ds_write_b64 v1, v[20:21] offset:2112
	ds_write_b64 v1, v[24:25] offset:4224
	;; [unrolled: 1-line block ×3, first 2 shown]
.LBB162_22:
	v_lshlrev_b32_e32 v3, 2, v10
	v_lshl_or_b32 v1, v2, 8, v0
	v_cmp_gt_u32_e64 s[4:5], v3, v2
	v_lshl_add_u32 v1, v3, 3, v1
	s_waitcnt lgkmcnt(0)
	s_barrier
	s_and_saveexec_b64 s[0:1], s[4:5]
	s_cbranch_execz .LBB162_24
; %bb.23:
	s_movk_i32 s6, 0x420
	v_mad_u32_u24 v6, v10, s6, v0
	ds_read_b64 v[6:7], v6
	s_waitcnt lgkmcnt(0)
	ds_write_b64 v1, v[6:7]
.LBB162_24:
	s_or_b64 exec, exec, s[0:1]
	v_or_b32_e32 v11, 1, v3
	v_cmp_ge_u32_e64 s[6:7], v3, v2
	s_and_saveexec_b64 s[0:1], s[6:7]
	s_cbranch_execz .LBB162_26
; %bb.25:
	s_movk_i32 s8, 0x108
	v_mad_u32_u24 v6, v11, s8, v0
	ds_read_b64 v[6:7], v6
	s_waitcnt lgkmcnt(0)
	ds_write_b64 v1, v[6:7] offset:8
.LBB162_26:
	s_or_b64 exec, exec, s[0:1]
	v_or_b32_e32 v6, 2, v3
	v_cmp_gt_u32_e64 s[8:9], v6, v2
	s_and_saveexec_b64 s[0:1], s[8:9]
	s_cbranch_execz .LBB162_28
; %bb.27:
	s_movk_i32 s10, 0x108
	v_mad_u32_u24 v6, v6, s10, v0
	ds_read_b64 v[6:7], v6
	s_waitcnt lgkmcnt(0)
	ds_write_b64 v1, v[6:7] offset:16
.LBB162_28:
	s_or_b64 exec, exec, s[0:1]
	v_or_b32_e32 v7, 3, v3
	v_cmp_gt_u32_e64 s[10:11], v7, v2
	v_cmp_le_u32_e32 vcc, v7, v2
                                        ; implicit-def: $vgpr6
	s_and_saveexec_b64 s[0:1], vcc
	s_xor_b64 s[0:1], exec, s[0:1]
; %bb.29:
	v_mul_u32_u24_e32 v6, 0x108, v7
                                        ; implicit-def: $vgpr7
                                        ; implicit-def: $vgpr1
; %bb.30:
	s_andn2_saveexec_b64 s[0:1], s[0:1]
	s_cbranch_execz .LBB162_32
; %bb.31:
	s_movk_i32 s14, 0x108
	v_mad_u32_u24 v6, v7, s14, v0
	ds_read_b64 v[8:9], v6
	v_mul_u32_u24_e32 v6, 0x108, v7
	s_waitcnt lgkmcnt(0)
	ds_write_b64 v1, v[8:9] offset:24
.LBB162_32:
	s_or_b64 exec, exec, s[0:1]
	s_movk_i32 s0, 0x420
	v_mad_u32_u24 v1, v10, s0, v0
	s_movk_i32 s0, 0x108
	s_waitcnt lgkmcnt(0)
	s_barrier
	v_lshlrev_b32_e32 v16, 3, v3
	ds_read_b64 v[20:21], v1
	ds_read_b128 v[24:27], v16 offset:9088
	v_mad_u32_u24 v1, v11, s0, v0
	ds_read2_b64 v[28:31], v1 offset1:33
	v_add_u32_e32 v18, v0, v6
	ds_read_b128 v[6:9], v16 offset:9104
	ds_read_b64 v[32:33], v18
	s_waitcnt lgkmcnt(3)
	v_fma_f64 v[20:21], v[20:21], v[24:25], 0
	v_mul_u32_u24_e32 v1, 33, v2
	s_waitcnt lgkmcnt(2)
	v_fmac_f64_e32 v[20:21], v[28:29], v[26:27]
	s_waitcnt lgkmcnt(1)
	v_fmac_f64_e32 v[20:21], v[30:31], v[6:7]
	v_lshlrev_b32_e32 v23, 3, v1
	v_mov_b64_e32 v[52:53], 0
	s_waitcnt lgkmcnt(0)
	v_fmac_f64_e32 v[20:21], v[32:33], v[8:9]
	v_lshl_add_u32 v24, v10, 3, v23
	v_cmp_gt_u32_e64 s[0:1], 32, v22
	s_barrier
	ds_write_b64 v24, v[20:21]
	s_waitcnt lgkmcnt(0)
	s_barrier
	s_and_saveexec_b64 s[14:15], s[0:1]
	s_cbranch_execz .LBB162_34
; %bb.33:
	ds_read2_b64 v[6:9], v23 offset1:1
	ds_read2_b64 v[26:29], v23 offset0:2 offset1:3
	ds_read2_b64 v[30:33], v23 offset0:4 offset1:5
	s_waitcnt lgkmcnt(2)
	v_add_f64 v[20:21], v[6:7], v[8:9]
	ds_read2_b64 v[6:9], v23 offset0:6 offset1:7
	s_waitcnt lgkmcnt(2)
	v_add_f64 v[20:21], v[20:21], v[26:27]
	v_add_f64 v[20:21], v[20:21], v[28:29]
	s_waitcnt lgkmcnt(1)
	v_add_f64 v[20:21], v[20:21], v[30:31]
	v_add_f64 v[20:21], v[20:21], v[32:33]
	;; [unrolled: 3-line block ×3, first 2 shown]
.LBB162_34:
	s_or_b64 exec, exec, s[14:15]
	s_lshl_b32 s28, s20, 5
	s_ashr_i32 s29, s28, 31
	v_lshl_add_u64 v[6:7], s[28:29], 3, v[4:5]
	s_mov_b64 s[14:15], 0x100
	v_lshl_add_u64 v[4:5], v[6:7], 0, s[14:15]
	s_and_b64 vcc, exec, s[30:31]
	s_barrier
	s_cbranch_vccz .LBB162_44
; %bb.35:
	v_sub_co_u32_e32 v8, vcc, v6, v0
	s_ashr_i32 s17, s16, 31
	s_nop 0
	v_subbrev_co_u32_e32 v9, vcc, 0, v7, vcc
	v_or_b32_e32 v1, 32, v2
	v_lshl_add_u64 v[8:9], s[16:17], 3, v[8:9]
	v_lshl_add_u64 v[8:9], v[8:9], 0, -8
	v_cmp_gt_i32_e32 vcc, s16, v1
	s_sub_i32 s21, s16, 32
	v_cmp_gt_i32_e64 s[14:15], s21, v10
	v_cndmask_b32_e32 v9, v9, v5, vcc
	v_cndmask_b32_e32 v8, v8, v4, vcc
	v_mov_b64_e32 v[20:21], 0
	v_mov_b64_e32 v[26:27], 0
	s_and_saveexec_b64 s[34:35], s[14:15]
	s_cbranch_execz .LBB162_37
; %bb.36:
	flat_load_dwordx2 v[26:27], v[8:9]
.LBB162_37:
	s_or_b64 exec, exec, s[34:35]
	s_movk_i32 s14, 0x108
	v_mad_u32_u24 v17, v10, s14, v0
	s_waitcnt vmcnt(0) lgkmcnt(0)
	ds_write_b64 v17, v[26:27]
	v_add_u32_e32 v17, 8, v10
	v_mul_u32_u24_e32 v1, 0x108, v10
	v_cmp_gt_i32_e64 s[14:15], s21, v17
	s_and_saveexec_b64 s[34:35], s[14:15]
	s_cbranch_execz .LBB162_39
; %bb.38:
	s_lshl_b32 s14, s20, 3
	s_ashr_i32 s15, s14, 31
	v_lshl_add_u64 v[20:21], s[14:15], 3, v[8:9]
	flat_load_dwordx2 v[20:21], v[20:21]
.LBB162_39:
	s_or_b64 exec, exec, s[34:35]
	v_add_u32_e32 v1, v1, v0
	v_add_u32_e32 v17, 16, v10
	s_waitcnt vmcnt(0) lgkmcnt(0)
	ds_write_b64 v1, v[20:21] offset:2112
	v_cmp_gt_i32_e64 s[14:15], s21, v17
	v_mov_b64_e32 v[20:21], 0
	v_mov_b64_e32 v[26:27], 0
	s_and_saveexec_b64 s[34:35], s[14:15]
	s_cbranch_execz .LBB162_41
; %bb.40:
	s_lshl_b32 s14, s20, 4
	s_ashr_i32 s15, s14, 31
	v_lshl_add_u64 v[26:27], s[14:15], 3, v[8:9]
	flat_load_dwordx2 v[26:27], v[26:27]
.LBB162_41:
	s_or_b64 exec, exec, s[34:35]
	v_add_u32_e32 v17, 24, v10
	v_cmp_gt_i32_e64 s[14:15], s21, v17
	s_waitcnt vmcnt(0) lgkmcnt(0)
	ds_write_b64 v1, v[26:27] offset:4224
	s_and_saveexec_b64 s[34:35], s[14:15]
	s_cbranch_execz .LBB162_43
; %bb.42:
	s_mul_i32 s14, s20, 24
	s_ashr_i32 s15, s14, 31
	v_lshl_add_u64 v[20:21], s[14:15], 3, v[8:9]
	flat_load_dwordx2 v[20:21], v[20:21]
.LBB162_43:
	s_or_b64 exec, exec, s[34:35]
	s_waitcnt vmcnt(0) lgkmcnt(0)
	ds_write_b64 v1, v[20:21] offset:6336
	v_mov_b32_e32 v1, 0
	v_lshl_add_u64 v[8:9], v[8:9], 0, v[0:1]
	s_lshl_b64 s[14:15], s[16:17], 3
	v_mov_b32_e32 v1, s15
	v_subrev_co_u32_e64 v8, s[14:15], s14, v8
	s_nop 1
	v_subb_co_u32_e64 v9, s[14:15], v9, v1, s[14:15]
	s_mov_b64 s[14:15], 0x108
	s_nop 0
	v_lshl_add_u64 v[8:9], v[8:9], 0, s[14:15]
	v_cndmask_b32_e32 v9, v9, v5, vcc
	v_cndmask_b32_e32 v8, v8, v4, vcc
	v_mul_u32_u24_e32 v1, 0x420, v10
	s_branch .LBB162_46
.LBB162_44:
                                        ; implicit-def: $vgpr8_vgpr9
	v_mul_u32_u24_e32 v1, 0x420, v10
	s_cbranch_execz .LBB162_46
; %bb.45:
	s_lshl_b32 s14, s20, 3
	s_ashr_i32 s15, s14, 31
	s_ashr_i32 s21, s20, 31
	v_lshl_add_u64 v[8:9], s[14:15], 3, v[6:7]
	s_lshl_b64 s[14:15], s[20:21], 6
	v_lshl_add_u64 v[20:21], v[8:9], 0, s[14:15]
	v_lshl_add_u64 v[26:27], v[20:21], 0, s[14:15]
	flat_load_dwordx2 v[28:29], v[6:7] offset:256
	flat_load_dwordx2 v[30:31], v[8:9] offset:256
	;; [unrolled: 1-line block ×4, first 2 shown]
	s_movk_i32 s14, 0x108
	v_mad_u32_u24 v6, v10, s14, v0
	v_mov_b64_e32 v[8:9], v[4:5]
	s_waitcnt vmcnt(0) lgkmcnt(0)
	ds_write_b64 v6, v[28:29]
	ds_write_b64 v6, v[30:31] offset:2112
	ds_write_b64 v6, v[32:33] offset:4224
	;; [unrolled: 1-line block ×3, first 2 shown]
.LBB162_46:
	v_mul_u32_u24_e32 v4, 0x108, v11
	v_add_u32_e32 v6, v0, v1
	v_lshl_add_u32 v1, v3, 3, v23
	s_waitcnt lgkmcnt(0)
	s_barrier
	s_and_saveexec_b64 s[14:15], s[4:5]
	s_cbranch_execz .LBB162_50
; %bb.47:
	ds_read_b64 v[20:21], v6
	s_waitcnt lgkmcnt(0)
	ds_write_b64 v1, v[20:21]
	s_or_b64 exec, exec, s[14:15]
	v_add_u32_e32 v7, v0, v4
	s_and_saveexec_b64 s[4:5], s[6:7]
	s_cbranch_execnz .LBB162_51
.LBB162_48:
	s_or_b64 exec, exec, s[4:5]
	s_and_saveexec_b64 s[4:5], s[8:9]
	s_cbranch_execz .LBB162_52
.LBB162_49:
	ds_read_b64 v[4:5], v7 offset:264
	s_waitcnt lgkmcnt(0)
	ds_write_b64 v1, v[4:5] offset:16
	s_or_b64 exec, exec, s[4:5]
	v_add_u32_e32 v19, 0x2380, v16
	s_and_saveexec_b64 s[4:5], s[10:11]
	s_cbranch_execnz .LBB162_53
	s_branch .LBB162_54
.LBB162_50:
	s_or_b64 exec, exec, s[14:15]
	v_add_u32_e32 v7, v0, v4
	s_and_saveexec_b64 s[4:5], s[6:7]
	s_cbranch_execz .LBB162_48
.LBB162_51:
	ds_read_b64 v[4:5], v7
	s_waitcnt lgkmcnt(0)
	ds_write_b64 v1, v[4:5] offset:8
	s_or_b64 exec, exec, s[4:5]
	s_and_saveexec_b64 s[4:5], s[8:9]
	s_cbranch_execnz .LBB162_49
.LBB162_52:
	s_or_b64 exec, exec, s[4:5]
	v_add_u32_e32 v19, 0x2380, v16
	s_and_saveexec_b64 s[4:5], s[10:11]
	s_cbranch_execz .LBB162_54
.LBB162_53:
	ds_read_b64 v[4:5], v18
	s_waitcnt lgkmcnt(0)
	ds_write_b64 v1, v[4:5] offset:24
.LBB162_54:
	s_or_b64 exec, exec, s[4:5]
	s_waitcnt lgkmcnt(0)
	s_barrier
	ds_read_b64 v[4:5], v6
	ds_read_b128 v[26:29], v19 offset:256
	ds_read2_b64 v[30:33], v7 offset1:33
	ds_read_b128 v[34:37], v19 offset:272
	ds_read_b64 v[16:17], v18
	v_cmp_eq_u32_e64 s[4:5], 1, v10
	s_waitcnt lgkmcnt(3)
	v_fma_f64 v[4:5], v[4:5], v[26:27], 0
	s_waitcnt lgkmcnt(2)
	v_fmac_f64_e32 v[4:5], v[30:31], v[28:29]
	s_waitcnt lgkmcnt(1)
	v_fmac_f64_e32 v[4:5], v[32:33], v[34:35]
	;; [unrolled: 2-line block ×3, first 2 shown]
	s_barrier
	ds_write_b64 v24, v[4:5]
	s_waitcnt lgkmcnt(0)
	s_barrier
	s_and_saveexec_b64 s[6:7], s[4:5]
	s_cbranch_execz .LBB162_56
; %bb.55:
	ds_read2_b64 v[26:29], v23 offset1:1
	ds_read2_b64 v[30:33], v23 offset0:2 offset1:3
	ds_read2_b64 v[34:37], v23 offset0:4 offset1:5
	s_waitcnt lgkmcnt(2)
	v_add_f64 v[4:5], v[26:27], v[28:29]
	ds_read2_b64 v[26:29], v23 offset0:6 offset1:7
	s_waitcnt lgkmcnt(2)
	v_add_f64 v[4:5], v[4:5], v[30:31]
	v_add_f64 v[4:5], v[4:5], v[32:33]
	s_waitcnt lgkmcnt(1)
	v_add_f64 v[4:5], v[4:5], v[34:35]
	v_add_f64 v[4:5], v[4:5], v[36:37]
	;; [unrolled: 3-line block ×3, first 2 shown]
.LBB162_56:
	s_or_b64 exec, exec, s[6:7]
	s_movk_i32 s6, 0xff00
	s_mov_b32 s7, -1
	v_lshl_add_u64 v[4:5], v[8:9], 0, s[6:7]
	s_and_b64 vcc, exec, s[30:31]
	s_barrier
	s_cbranch_vccz .LBB162_66
; %bb.57:
	v_sub_co_u32_e32 v8, vcc, v4, v0
	s_ashr_i32 s17, s16, 31
	s_nop 0
	v_subbrev_co_u32_e32 v9, vcc, 0, v5, vcc
	v_lshl_add_u64 v[8:9], s[16:17], 3, v[8:9]
	v_lshl_add_u64 v[8:9], v[8:9], 0, -8
	v_cmp_gt_i32_e32 vcc, s16, v2
	s_sub_i32 s10, s16, 32
	v_cmp_gt_i32_e64 s[6:7], s10, v10
	v_cndmask_b32_e32 v3, v9, v5, vcc
	v_cndmask_b32_e32 v2, v8, v4, vcc
	v_mov_b64_e32 v[16:17], 0
	v_mov_b64_e32 v[8:9], 0
	s_and_saveexec_b64 s[8:9], s[6:7]
	s_cbranch_execz .LBB162_59
; %bb.58:
	flat_load_dwordx2 v[8:9], v[2:3]
.LBB162_59:
	s_or_b64 exec, exec, s[8:9]
	s_movk_i32 s6, 0x108
	v_mad_u32_u24 v11, v10, s6, v0
	s_waitcnt vmcnt(0) lgkmcnt(0)
	ds_write_b64 v11, v[8:9]
	v_add_u32_e32 v8, 8, v10
	v_mul_u32_u24_e32 v1, 0x108, v10
	v_cmp_gt_i32_e64 s[6:7], s10, v8
	s_and_saveexec_b64 s[8:9], s[6:7]
	s_cbranch_execz .LBB162_61
; %bb.60:
	s_lshl_b32 s6, s20, 3
	s_ashr_i32 s7, s6, 31
	v_lshl_add_u64 v[16:17], s[6:7], 3, v[2:3]
	flat_load_dwordx2 v[16:17], v[16:17]
.LBB162_61:
	s_or_b64 exec, exec, s[8:9]
	v_add_u32_e32 v1, v1, v0
	v_add_u32_e32 v9, 16, v10
	s_waitcnt vmcnt(0) lgkmcnt(0)
	ds_write_b64 v1, v[16:17] offset:2112
	v_cmp_gt_i32_e64 s[6:7], s10, v9
	v_mov_b64_e32 v[16:17], 0
	v_mov_b64_e32 v[20:21], 0
	s_and_saveexec_b64 s[8:9], s[6:7]
	s_cbranch_execz .LBB162_63
; %bb.62:
	s_lshl_b32 s6, s20, 4
	s_ashr_i32 s7, s6, 31
	v_lshl_add_u64 v[20:21], s[6:7], 3, v[2:3]
	flat_load_dwordx2 v[20:21], v[20:21]
.LBB162_63:
	s_or_b64 exec, exec, s[8:9]
	v_add_u32_e32 v11, 24, v10
	v_cmp_gt_i32_e64 s[6:7], s10, v11
	s_waitcnt vmcnt(0) lgkmcnt(0)
	ds_write_b64 v1, v[20:21] offset:4224
	s_and_saveexec_b64 s[8:9], s[6:7]
	s_cbranch_execz .LBB162_65
; %bb.64:
	s_mul_i32 s6, s20, 24
	s_ashr_i32 s7, s6, 31
	v_lshl_add_u64 v[16:17], s[6:7], 3, v[2:3]
	flat_load_dwordx2 v[16:17], v[16:17]
.LBB162_65:
	s_or_b64 exec, exec, s[8:9]
	s_waitcnt vmcnt(0) lgkmcnt(0)
	ds_write_b64 v1, v[16:17] offset:6336
	v_mov_b32_e32 v1, 0
	v_lshl_add_u64 v[2:3], v[2:3], 0, v[0:1]
	s_lshl_b64 s[6:7], s[16:17], 3
	v_mov_b32_e32 v1, s7
	v_subrev_co_u32_e64 v2, s[6:7], s6, v2
	s_nop 1
	v_subb_co_u32_e64 v3, s[6:7], v3, v1, s[6:7]
	v_lshl_add_u64 v[2:3], v[2:3], 0, 8
	v_cndmask_b32_e32 v17, v3, v5, vcc
	v_cndmask_b32_e32 v16, v2, v4, vcc
	s_branch .LBB162_68
.LBB162_66:
                                        ; implicit-def: $vgpr16_vgpr17
                                        ; implicit-def: $vgpr8
                                        ; implicit-def: $vgpr9
                                        ; implicit-def: $vgpr11
	s_cbranch_execz .LBB162_68
; %bb.67:
	s_lshl_b32 s6, s20, 3
	s_ashr_i32 s7, s6, 31
	s_ashr_i32 s21, s20, 31
	v_lshl_add_u64 v[2:3], s[6:7], 3, v[4:5]
	s_lshl_b64 s[6:7], s[20:21], 6
	v_lshl_add_u64 v[8:9], v[2:3], 0, s[6:7]
	v_lshl_add_u64 v[16:17], v[8:9], 0, s[6:7]
	flat_load_dwordx2 v[20:21], v[4:5]
	flat_load_dwordx2 v[26:27], v[2:3]
	;; [unrolled: 1-line block ×4, first 2 shown]
	s_movk_i32 s6, 0x108
	v_add_u32_e32 v8, 8, v10
	v_add_u32_e32 v9, 16, v10
	;; [unrolled: 1-line block ×3, first 2 shown]
	v_mad_u32_u24 v0, v10, s6, v0
	v_mov_b64_e32 v[16:17], v[4:5]
	s_waitcnt vmcnt(0) lgkmcnt(0)
	ds_write_b64 v0, v[20:21]
	ds_write_b64 v0, v[26:27] offset:2112
	ds_write_b64 v0, v[28:29] offset:4224
	;; [unrolled: 1-line block ×3, first 2 shown]
.LBB162_68:
	v_lshlrev_b32_e32 v0, 3, v10
	v_add_u32_e32 v1, v23, v0
	s_waitcnt lgkmcnt(0)
	s_barrier
	v_lshlrev_b32_e32 v2, 3, v8
	ds_read_b64 v[26:27], v1
	ds_read_b64 v[28:29], v2 offset:9088
	ds_read_b64 v[30:31], v0 offset:9088
	v_add_u32_e32 v0, v23, v2
	v_lshlrev_b32_e32 v1, 3, v9
	v_add_u32_e32 v2, v23, v1
	v_lshlrev_b32_e32 v3, 3, v11
	ds_read_b64 v[32:33], v0
	ds_read_b64 v[34:35], v2
	ds_read_b64 v[36:37], v3 offset:9088
	ds_read_b64 v[38:39], v1 offset:9088
	s_waitcnt lgkmcnt(4)
	v_fma_f64 v[26:27], v[26:27], v[30:31], 0
	s_waitcnt lgkmcnt(3)
	v_fmac_f64_e32 v[26:27], v[32:33], v[28:29]
	v_add_u32_e32 v0, v23, v3
	ds_read_b64 v[40:41], v0
	ds_read_b64 v[20:21], v6
	ds_read_b128 v[8:11], v19 offset:256
	ds_read_b128 v[0:3], v19 offset:272
	ds_read2_b64 v[4:7], v7 offset1:33
	ds_read_b64 v[18:19], v18
	s_waitcnt lgkmcnt(6)
	v_fmac_f64_e32 v[26:27], v[34:35], v[38:39]
	s_waitcnt lgkmcnt(5)
	v_fmac_f64_e32 v[26:27], v[40:41], v[36:37]
	s_waitcnt lgkmcnt(0)
	s_barrier
	ds_write_b64 v24, v[26:27]
	s_waitcnt lgkmcnt(0)
	s_barrier
	s_and_saveexec_b64 s[6:7], s[4:5]
	s_cbranch_execz .LBB162_70
; %bb.69:
	ds_read2_b64 v[26:29], v23 offset1:1
	ds_read2_b64 v[30:33], v23 offset0:2 offset1:3
	ds_read2_b64 v[34:37], v23 offset0:4 offset1:5
	s_waitcnt lgkmcnt(2)
	v_add_f64 v[26:27], v[52:53], v[26:27]
	v_add_f64 v[38:39], v[26:27], v[28:29]
	ds_read2_b64 v[26:29], v23 offset0:6 offset1:7
	s_waitcnt lgkmcnt(2)
	v_add_f64 v[30:31], v[38:39], v[30:31]
	v_add_f64 v[30:31], v[30:31], v[32:33]
	s_waitcnt lgkmcnt(1)
	v_add_f64 v[30:31], v[30:31], v[34:35]
	v_add_f64 v[30:31], v[30:31], v[36:37]
	;; [unrolled: 3-line block ×3, first 2 shown]
.LBB162_70:
	s_or_b64 exec, exec, s[6:7]
	v_fma_f64 v[8:9], v[20:21], v[8:9], 0
	v_fmac_f64_e32 v[8:9], v[4:5], v[10:11]
	v_fmac_f64_e32 v[8:9], v[6:7], v[0:1]
	;; [unrolled: 1-line block ×3, first 2 shown]
	s_barrier
	ds_write_b64 v24, v[8:9]
	s_waitcnt lgkmcnt(0)
	s_barrier
	s_and_saveexec_b64 s[4:5], s[0:1]
	s_cbranch_execz .LBB162_72
; %bb.71:
	ds_read2_b64 v[0:3], v23 offset1:1
	ds_read2_b64 v[4:7], v23 offset0:2 offset1:3
	ds_read2_b64 v[8:11], v23 offset0:4 offset1:5
	s_waitcnt lgkmcnt(2)
	v_add_f64 v[0:1], v[52:53], v[0:1]
	v_add_f64 v[18:19], v[0:1], v[2:3]
	ds_read2_b64 v[0:3], v23 offset0:6 offset1:7
	s_waitcnt lgkmcnt(2)
	v_add_f64 v[4:5], v[18:19], v[4:5]
	v_add_f64 v[4:5], v[4:5], v[6:7]
	s_waitcnt lgkmcnt(1)
	v_add_f64 v[4:5], v[4:5], v[8:9]
	v_add_f64 v[4:5], v[4:5], v[10:11]
	;; [unrolled: 3-line block ×3, first 2 shown]
.LBB162_72:
	s_or_b64 exec, exec, s[4:5]
	s_mul_hi_u32 s0, s23, s22
	s_mul_i32 s37, s37, s22
	s_add_i32 s0, s0, s37
	s_mul_i32 s4, s23, s22
	s_mul_i32 s0, s0, s3
	s_mul_hi_u32 s1, s4, s3
	s_add_i32 s1, s1, s0
	s_mul_i32 s0, s4, s3
	s_lshl_b64 s[0:1], s[0:1], 3
	s_add_u32 s4, s26, s0
	s_addc_u32 s5, s27, s1
	s_mul_hi_i32 s1, s23, s2
	s_mul_i32 s0, s23, s2
	s_lshl_b64 s[0:1], s[0:1], 3
	s_add_u32 s6, s4, s0
	s_addc_u32 s7, s5, s1
	s_add_i32 s8, s2, 1
	s_cmp_ge_u32 s8, s3
	v_lshlrev_b32_e32 v51, 3, v50
	s_barrier
	s_cbranch_scc1 .LBB162_129
; %bb.73:
	s_mul_i32 s0, s36, s24
	s_ashr_i32 s1, s0, 31
	s_lshl_b64 s[0:1], s[0:1], 3
	v_lshrrev_b32_e32 v2, 4, v22
	v_mov_b32_e32 v4, 0x2180
	v_lshlrev_b32_e32 v144, 2, v49
	v_mov_b32_e32 v0, s1
	v_subrev_co_u32_e32 v54, vcc, s0, v14
	v_lshl_add_u32 v145, v49, 5, v4
	v_lshlrev_b32_e32 v4, 5, v2
	v_mul_i32_i24_e32 v6, 0xffffffe8, v2
	v_and_b32_e32 v2, 48, v50
	v_subb_co_u32_e32 v55, vcc, v15, v0, vcc
	v_and_b32_e32 v3, 15, v50
	v_mad_u64_u32 v[0:1], s[0:1], s20, v144, v[50:51]
	s_movk_i32 s10, 0x218
	v_lshlrev_b32_e32 v2, 3, v2
	v_ashrrev_i32_e32 v1, 31, v0
	v_mad_u32_u24 v147, v3, s10, v2
	v_or_b32_e32 v2, 0x78, v51
	s_lshl_b32 s24, s36, 6
	v_mad_u32_u24 v146, v3, s10, v4
	s_lshl_b32 s4, s20, 4
	v_mad_u32_u24 v148, v3, s10, v2
	s_ashr_i32 s21, s20, 31
	s_lshl_b32 s26, s20, 1
	s_mul_i32 s30, s20, 3
	s_mul_i32 s36, s36, s8
	v_lshlrev_b64 v[2:3], 3, v[0:1]
	s_lshl_b64 s[14:15], s[28:29], 3
	s_add_i32 s17, s3, -2
	s_ashr_i32 s5, s4, 31
	s_ashr_i32 s27, s26, 31
	;; [unrolled: 1-line block ×3, first 2 shown]
	s_lshl_b64 s[22:23], s[20:21], 3
	s_lshl_b32 s8, s36, 6
	v_lshlrev_b64 v[4:5], 3, v[12:13]
	s_lshl_b64 s[34:35], s[20:21], 4
	v_mad_i64_i32 v[62:63], s[38:39], v12, -8, v[2:3]
	v_lshl_add_u64 v[2:3], s[28:29], 0, v[0:1]
	v_sub_co_u32_e32 v58, vcc, 0, v4
	s_add_u32 s36, s34, s14
	v_lshlrev_b64 v[2:3], 3, v[2:3]
	v_subb_co_u32_e32 v59, vcc, 0, v5, vcc
	s_addc_u32 s37, s35, s15
	s_lshl_b64 s[10:11], s[4:5], 5
	v_mad_i64_i32 v[4:5], s[38:39], s20, 24, v[2:3]
	s_add_u32 s38, s22, s14
	s_addc_u32 s39, s23, s15
	s_lshl_b64 s[26:27], s[26:27], 3
	s_add_u32 s40, s14, s26
	s_addc_u32 s41, s15, s27
	s_lshl_b64 s[30:31], s[30:31], 3
	v_lshl_add_u64 v[68:69], v[16:17], 0, s[40:41]
	s_add_u32 s40, s14, s30
	s_addc_u32 s41, s15, s31
	v_lshl_add_u64 v[70:71], v[16:17], 0, s[40:41]
	s_lshl_b64 s[40:41], s[4:5], 3
	s_add_u32 s42, s36, s40
	s_addc_u32 s43, s37, s41
	s_add_u32 s28, s28, s4
	s_addc_u32 s29, s29, s5
	v_lshl_add_u64 v[0:1], s[28:29], 0, v[0:1]
	v_lshlrev_b64 v[0:1], 3, v[0:1]
	v_mad_i64_i32 v[0:1], s[28:29], s20, 24, v[0:1]
	s_add_u32 s28, s38, s40
	s_addc_u32 s29, s39, s41
	v_lshl_add_u64 v[76:77], v[16:17], 0, s[28:29]
	s_add_u32 s28, s14, s40
	s_addc_u32 s29, s15, s41
	v_lshl_add_u64 v[66:67], v[16:17], 0, s[38:39]
	;; [unrolled: 3-line block ×4, first 2 shown]
	s_lshl_b64 s[28:29], s[4:5], 4
	v_lshl_add_u64 v[60:61], v[16:17], 0, s[36:37]
	s_add_u32 s36, s36, s28
	s_mul_i32 s44, s20, 24
	s_addc_u32 s37, s37, s29
	s_mul_hi_i32 s25, s20, 24
	v_lshl_add_u64 v[84:85], v[16:17], 0, s[36:37]
	s_add_u32 s36, s44, s28
	s_addc_u32 s37, s25, s29
	v_lshl_add_u64 v[56:57], v[16:17], 0, s[14:15]
	s_add_u32 s14, s28, s14
	s_addc_u32 s15, s29, s15
	s_add_u32 s28, s14, s22
	s_addc_u32 s29, s15, s23
	v_lshl_add_u64 v[74:75], v[16:17], 0, v[0:1]
	v_lshl_add_u64 v[0:1], s[36:37], 0, v[2:3]
	s_add_u32 s36, s14, s26
	s_addc_u32 s37, s15, s27
	v_lshl_add_u64 v[80:81], v[16:17], 0, s[38:39]
	s_add_u32 s38, s14, s30
	s_addc_u32 s39, s15, s31
	s_mul_i32 s25, s20, 0x180
	s_mul_hi_i32 s40, s4, 24
	s_add_u32 s34, s25, s34
	s_addc_u32 s35, s40, s35
	v_lshl_add_u64 v[86:87], v[16:17], 0, v[0:1]
	v_lshl_add_u64 v[0:1], s[34:35], 0, v[2:3]
	s_add_u32 s20, s20, s4
	v_lshl_add_u64 v[88:89], v[16:17], 0, v[0:1]
	s_addc_u32 s5, s21, s5
	v_mad_u64_u32 v[0:1], s[20:21], s20, 24, v[2:3]
	v_lshl_add_u64 v[64:65], v[16:17], 0, v[4:5]
	v_mov_b32_e32 v4, v1
	v_mad_u64_u32 v[4:5], s[20:21], s5, 24, v[4:5]
	v_mov_b32_e32 v1, v4
	v_lshl_add_u64 v[90:91], v[16:17], 0, v[0:1]
	v_mad_i64_i32 v[0:1], s[4:5], s4, 24, v[2:3]
	v_lshl_add_u64 v[2:3], v[0:1], 0, s[22:23]
	s_movk_i32 s9, 0x860
	v_lshl_add_u64 v[92:93], v[16:17], 0, v[2:3]
	v_lshl_add_u64 v[94:95], v[16:17], 0, v[0:1]
	v_lshl_add_u64 v[2:3], v[0:1], 0, s[26:27]
	v_lshl_add_u64 v[0:1], v[0:1], 0, s[30:31]
	v_cmp_gt_u32_e64 s[0:1], 64, v22
	v_lshl_add_u64 v[72:73], v[16:17], 0, s[42:43]
	v_lshl_add_u64 v[96:97], v[16:17], 0, v[2:3]
	;; [unrolled: 1-line block ×7, first 2 shown]
	v_add_u32_e32 v149, v146, v6
	v_add_u32_e32 v150, 0x2380, v51
	v_mad_u32_u24 v151, v49, s9, v51
	v_or_b32_e32 v152, 3, v144
	v_add_u32_e32 v153, 16, v144
	v_add_u32_e32 v154, 17, v144
	;; [unrolled: 1-line block ×13, first 2 shown]
	s_cmp_eq_u32 s17, s2
	s_cselect_b32 s22, s33, 0
	s_and_saveexec_b64 s[4:5], s[12:13]
	s_cbranch_execz .LBB162_78
	s_branch .LBB162_75
.LBB162_74:                             ;   in Loop: Header=BB162_78 Depth=1
	s_mov_b32 s2, s4
	s_cmp_eq_u32 s17, s2
	s_cselect_b32 s22, s33, 0
	s_and_saveexec_b64 s[4:5], s[12:13]
	s_cbranch_execz .LBB162_78
.LBB162_75:
	s_cmp_eq_u32 s22, 0
	s_cselect_b64 s[14:15], -1, 0
	v_cmp_gt_i32_e32 vcc, s22, v50
	s_or_b64 s[20:21], s[14:15], vcc
	v_mov_b64_e32 v[0:1], 0
	s_and_saveexec_b64 s[14:15], s[20:21]
	s_cbranch_execz .LBB162_77
; %bb.76:
	s_ashr_i32 s9, s8, 31
	v_lshl_add_u64 v[0:1], s[8:9], 3, v[54:55]
	flat_load_dwordx2 v[0:1], v[0:1]
.LBB162_77:
	s_or_b64 exec, exec, s[14:15]
	v_add_u32_e32 v2, 0x2180, v51
	s_waitcnt vmcnt(0) lgkmcnt(0)
	ds_write_b64 v2, v[0:1]
.LBB162_78:                             ; =>This Inner Loop Header: Depth=1
	s_or_b64 exec, exec, s[4:5]
	s_cmp_eq_u32 s22, 0
	s_cselect_b64 s[14:15], -1, 0
	s_cmp_lg_u32 s22, 0
	s_cselect_b64 s[20:21], -1, 0
	v_lshl_add_u64 v[0:1], v[56:57], 0, v[62:63]
	s_mov_b64 s[4:5], -1
	s_and_b64 vcc, exec, s[20:21]
	s_waitcnt lgkmcnt(0)
	s_barrier
                                        ; implicit-def: $vgpr114_vgpr115
                                        ; implicit-def: $vgpr116_vgpr117
                                        ; implicit-def: $vgpr110_vgpr111
                                        ; implicit-def: $vgpr112_vgpr113
	s_cbranch_vccz .LBB162_88
; %bb.79:                               ;   in Loop: Header=BB162_78 Depth=1
	v_cmp_gt_i32_e32 vcc, s22, v144
	v_mov_b64_e32 v[110:111], 0
	v_mov_b64_e32 v[112:113], 0
	s_and_saveexec_b64 s[4:5], vcc
	s_cbranch_execz .LBB162_81
; %bb.80:                               ;   in Loop: Header=BB162_78 Depth=1
	flat_load_dwordx2 v[112:113], v[0:1]
.LBB162_81:                             ;   in Loop: Header=BB162_78 Depth=1
	s_or_b64 exec, exec, s[4:5]
	v_or_b32_e32 v2, 1, v144
	v_cmp_gt_i32_e32 vcc, s22, v2
	s_and_saveexec_b64 s[4:5], vcc
	s_cbranch_execz .LBB162_83
; %bb.82:                               ;   in Loop: Header=BB162_78 Depth=1
	v_lshl_add_u64 v[2:3], v[66:67], 0, v[62:63]
	flat_load_dwordx2 v[110:111], v[2:3]
.LBB162_83:                             ;   in Loop: Header=BB162_78 Depth=1
	s_or_b64 exec, exec, s[4:5]
	v_or_b32_e32 v2, 2, v144
	v_cmp_gt_i32_e32 vcc, s22, v2
	v_mov_b64_e32 v[114:115], 0
	v_mov_b64_e32 v[116:117], 0
	s_and_saveexec_b64 s[4:5], vcc
	s_cbranch_execz .LBB162_85
; %bb.84:                               ;   in Loop: Header=BB162_78 Depth=1
	v_lshl_add_u64 v[2:3], v[68:69], 0, v[62:63]
	flat_load_dwordx2 v[116:117], v[2:3]
.LBB162_85:                             ;   in Loop: Header=BB162_78 Depth=1
	s_or_b64 exec, exec, s[4:5]
	v_cmp_gt_i32_e32 vcc, s22, v152
	s_and_saveexec_b64 s[4:5], vcc
	s_cbranch_execz .LBB162_87
; %bb.86:                               ;   in Loop: Header=BB162_78 Depth=1
	v_lshl_add_u64 v[2:3], v[70:71], 0, v[62:63]
	flat_load_dwordx2 v[114:115], v[2:3]
.LBB162_87:                             ;   in Loop: Header=BB162_78 Depth=1
	s_or_b64 exec, exec, s[4:5]
	s_mov_b64 s[4:5], 0
.LBB162_88:                             ;   in Loop: Header=BB162_78 Depth=1
	s_and_b64 vcc, exec, s[4:5]
	s_cbranch_vccz .LBB162_90
; %bb.89:                               ;   in Loop: Header=BB162_78 Depth=1
	s_waitcnt vmcnt(0) lgkmcnt(0)
	flat_load_dwordx2 v[112:113], v[0:1]
	v_lshl_add_u64 v[0:1], v[66:67], 0, v[62:63]
	flat_load_dwordx2 v[110:111], v[0:1]
	v_lshl_add_u64 v[0:1], v[60:61], 0, v[62:63]
	;; [unrolled: 2-line block ×3, first 2 shown]
	flat_load_dwordx2 v[114:115], v[0:1]
.LBB162_90:                             ;   in Loop: Header=BB162_78 Depth=1
	ds_read_b64 v[8:9], v150
	ds_read_b128 v[4:7], v145
	ds_read_b128 v[0:3], v145 offset:16
	s_andn2_b64 vcc, exec, s[20:21]
                                        ; implicit-def: $vgpr122_vgpr123
                                        ; implicit-def: $vgpr124_vgpr125
                                        ; implicit-def: $vgpr118_vgpr119
                                        ; implicit-def: $vgpr120_vgpr121
	s_waitcnt vmcnt(0) lgkmcnt(0)
	v_mul_f64 v[10:11], v[112:113], v[8:9]
	v_mul_f64 v[12:13], v[110:111], v[8:9]
	;; [unrolled: 1-line block ×4, first 2 shown]
	ds_write2_b64 v151, v[10:11], v[12:13] offset1:67
	ds_write2_b64 v151, v[14:15], v[8:9] offset0:134 offset1:201
	s_waitcnt lgkmcnt(0)
	s_barrier
	ds_read2_b64 v[20:23], v146 offset1:1
	ds_read2_b64 v[16:19], v146 offset0:2 offset1:3
	v_cndmask_b32_e64 v10, 0, 1, s[20:21]
	v_lshl_add_u64 v[8:9], v[78:79], 0, v[62:63]
	v_cmp_ne_u32_e64 s[4:5], 1, v10
	s_mov_b64 s[20:21], -1
	s_waitcnt lgkmcnt(0)
	s_barrier
	s_cbranch_vccnz .LBB162_100
; %bb.91:                               ;   in Loop: Header=BB162_78 Depth=1
	v_cmp_gt_i32_e32 vcc, s22, v153
	v_mov_b64_e32 v[118:119], 0
	v_mov_b64_e32 v[120:121], 0
	s_and_saveexec_b64 s[20:21], vcc
	s_cbranch_execz .LBB162_93
; %bb.92:                               ;   in Loop: Header=BB162_78 Depth=1
	flat_load_dwordx2 v[120:121], v[8:9]
.LBB162_93:                             ;   in Loop: Header=BB162_78 Depth=1
	s_or_b64 exec, exec, s[20:21]
	v_cmp_gt_i32_e32 vcc, s22, v154
	s_and_saveexec_b64 s[20:21], vcc
	s_cbranch_execz .LBB162_95
; %bb.94:                               ;   in Loop: Header=BB162_78 Depth=1
	v_lshl_add_u64 v[10:11], v[76:77], 0, v[62:63]
	flat_load_dwordx2 v[118:119], v[10:11]
.LBB162_95:                             ;   in Loop: Header=BB162_78 Depth=1
	s_or_b64 exec, exec, s[20:21]
	v_cmp_gt_i32_e32 vcc, s22, v155
	v_mov_b64_e32 v[122:123], 0
	v_mov_b64_e32 v[124:125], 0
	s_and_saveexec_b64 s[20:21], vcc
	s_cbranch_execz .LBB162_97
; %bb.96:                               ;   in Loop: Header=BB162_78 Depth=1
	v_lshl_add_u64 v[10:11], v[80:81], 0, v[62:63]
	flat_load_dwordx2 v[124:125], v[10:11]
.LBB162_97:                             ;   in Loop: Header=BB162_78 Depth=1
	s_or_b64 exec, exec, s[20:21]
	v_cmp_gt_i32_e32 vcc, s22, v156
	s_and_saveexec_b64 s[20:21], vcc
	s_cbranch_execz .LBB162_99
; %bb.98:                               ;   in Loop: Header=BB162_78 Depth=1
	v_lshl_add_u64 v[10:11], v[82:83], 0, v[62:63]
	flat_load_dwordx2 v[122:123], v[10:11]
.LBB162_99:                             ;   in Loop: Header=BB162_78 Depth=1
	s_or_b64 exec, exec, s[20:21]
	s_mov_b64 s[20:21], 0
.LBB162_100:                            ;   in Loop: Header=BB162_78 Depth=1
	s_and_b64 vcc, exec, s[20:21]
	s_cbranch_vccz .LBB162_102
; %bb.101:                              ;   in Loop: Header=BB162_78 Depth=1
	s_waitcnt vmcnt(0) lgkmcnt(0)
	flat_load_dwordx2 v[120:121], v[8:9]
	v_lshl_add_u64 v[8:9], v[76:77], 0, v[62:63]
	flat_load_dwordx2 v[118:119], v[8:9]
	v_lshl_add_u64 v[8:9], v[72:73], 0, v[62:63]
	;; [unrolled: 2-line block ×3, first 2 shown]
	flat_load_dwordx2 v[122:123], v[8:9]
.LBB162_102:                            ;   in Loop: Header=BB162_78 Depth=1
	ds_read_b64 v[24:25], v150
	ds_read_b128 v[12:15], v145 offset:128
	ds_read_b128 v[8:11], v145 offset:144
	s_and_b64 vcc, exec, s[4:5]
	s_mov_b64 s[20:21], -1
	s_waitcnt vmcnt(0) lgkmcnt(0)
	v_mul_f64 v[26:27], v[120:121], v[24:25]
	v_mul_f64 v[28:29], v[118:119], v[24:25]
	;; [unrolled: 1-line block ×4, first 2 shown]
	ds_write2_b64 v151, v[26:27], v[28:29] offset1:67
	ds_write2_b64 v151, v[30:31], v[24:25] offset0:134 offset1:201
	s_waitcnt lgkmcnt(0)
	s_barrier
	ds_read2_b64 v[36:39], v146 offset1:1
	ds_read2_b64 v[32:35], v146 offset0:2 offset1:3
	v_lshl_add_u64 v[24:25], v[102:103], 0, v[62:63]
	s_waitcnt lgkmcnt(0)
	s_barrier
                                        ; implicit-def: $vgpr130_vgpr131
                                        ; implicit-def: $vgpr132_vgpr133
                                        ; implicit-def: $vgpr126_vgpr127
                                        ; implicit-def: $vgpr128_vgpr129
	s_cbranch_vccnz .LBB162_112
; %bb.103:                              ;   in Loop: Header=BB162_78 Depth=1
	v_cmp_gt_i32_e32 vcc, s22, v157
	v_mov_b64_e32 v[126:127], 0
	v_mov_b64_e32 v[128:129], 0
	s_and_saveexec_b64 s[20:21], vcc
	s_cbranch_execz .LBB162_105
; %bb.104:                              ;   in Loop: Header=BB162_78 Depth=1
	flat_load_dwordx2 v[128:129], v[24:25]
.LBB162_105:                            ;   in Loop: Header=BB162_78 Depth=1
	s_or_b64 exec, exec, s[20:21]
	v_cmp_gt_i32_e32 vcc, s22, v158
	s_and_saveexec_b64 s[20:21], vcc
	s_cbranch_execz .LBB162_107
; %bb.106:                              ;   in Loop: Header=BB162_78 Depth=1
	v_lshl_add_u64 v[26:27], v[100:101], 0, v[62:63]
	flat_load_dwordx2 v[126:127], v[26:27]
.LBB162_107:                            ;   in Loop: Header=BB162_78 Depth=1
	s_or_b64 exec, exec, s[20:21]
	v_cmp_gt_i32_e32 vcc, s22, v159
	v_mov_b64_e32 v[130:131], 0
	v_mov_b64_e32 v[132:133], 0
	s_and_saveexec_b64 s[20:21], vcc
	s_cbranch_execz .LBB162_109
; %bb.108:                              ;   in Loop: Header=BB162_78 Depth=1
	v_lshl_add_u64 v[26:27], v[104:105], 0, v[62:63]
	flat_load_dwordx2 v[132:133], v[26:27]
.LBB162_109:                            ;   in Loop: Header=BB162_78 Depth=1
	s_or_b64 exec, exec, s[20:21]
	v_cmp_gt_i32_e32 vcc, s22, v160
	s_and_saveexec_b64 s[20:21], vcc
	s_cbranch_execz .LBB162_111
; %bb.110:                              ;   in Loop: Header=BB162_78 Depth=1
	v_lshl_add_u64 v[26:27], v[106:107], 0, v[62:63]
	flat_load_dwordx2 v[130:131], v[26:27]
.LBB162_111:                            ;   in Loop: Header=BB162_78 Depth=1
	s_or_b64 exec, exec, s[20:21]
	s_mov_b64 s[20:21], 0
.LBB162_112:                            ;   in Loop: Header=BB162_78 Depth=1
	s_and_b64 vcc, exec, s[20:21]
	s_cbranch_vccz .LBB162_114
; %bb.113:                              ;   in Loop: Header=BB162_78 Depth=1
	s_waitcnt vmcnt(0) lgkmcnt(0)
	flat_load_dwordx2 v[128:129], v[24:25]
	v_lshl_add_u64 v[24:25], v[100:101], 0, v[62:63]
	flat_load_dwordx2 v[126:127], v[24:25]
	v_lshl_add_u64 v[24:25], v[84:85], 0, v[62:63]
	;; [unrolled: 2-line block ×3, first 2 shown]
	flat_load_dwordx2 v[130:131], v[24:25]
.LBB162_114:                            ;   in Loop: Header=BB162_78 Depth=1
	ds_read_b64 v[40:41], v150
	ds_read_b128 v[28:31], v145 offset:256
	ds_read_b128 v[24:27], v145 offset:272
	v_lshl_add_u64 v[142:143], v[94:95], 0, v[58:59]
	s_and_b64 vcc, exec, s[4:5]
	s_waitcnt vmcnt(0) lgkmcnt(0)
	v_mul_f64 v[42:43], v[128:129], v[40:41]
	v_mul_f64 v[44:45], v[126:127], v[40:41]
	;; [unrolled: 1-line block ×4, first 2 shown]
	ds_write2_b64 v151, v[42:43], v[44:45] offset1:67
	ds_write2_b64 v151, v[46:47], v[40:41] offset0:134 offset1:201
	s_waitcnt lgkmcnt(0)
	s_barrier
	ds_read2_b64 v[44:47], v146 offset1:1
	ds_read2_b64 v[40:43], v146 offset0:2 offset1:3
	s_mov_b64 s[4:5], -1
	s_waitcnt lgkmcnt(0)
	s_barrier
                                        ; implicit-def: $vgpr138_vgpr139
                                        ; implicit-def: $vgpr140_vgpr141
                                        ; implicit-def: $vgpr134_vgpr135
                                        ; implicit-def: $vgpr136_vgpr137
	s_cbranch_vccnz .LBB162_124
; %bb.115:                              ;   in Loop: Header=BB162_78 Depth=1
	v_cmp_gt_i32_e32 vcc, s22, v161
	v_mov_b64_e32 v[134:135], 0
	v_mov_b64_e32 v[136:137], 0
	s_and_saveexec_b64 s[4:5], vcc
	s_cbranch_execz .LBB162_117
; %bb.116:                              ;   in Loop: Header=BB162_78 Depth=1
	flat_load_dwordx2 v[136:137], v[142:143]
.LBB162_117:                            ;   in Loop: Header=BB162_78 Depth=1
	s_or_b64 exec, exec, s[4:5]
	v_cmp_gt_i32_e32 vcc, s22, v162
	s_and_saveexec_b64 s[4:5], vcc
	s_cbranch_execz .LBB162_119
; %bb.118:                              ;   in Loop: Header=BB162_78 Depth=1
	v_lshl_add_u64 v[134:135], v[92:93], 0, v[58:59]
	flat_load_dwordx2 v[134:135], v[134:135]
.LBB162_119:                            ;   in Loop: Header=BB162_78 Depth=1
	s_or_b64 exec, exec, s[4:5]
	v_cmp_gt_i32_e32 vcc, s22, v163
	v_mov_b64_e32 v[138:139], 0
	v_mov_b64_e32 v[140:141], 0
	s_and_saveexec_b64 s[4:5], vcc
	s_cbranch_execz .LBB162_121
; %bb.120:                              ;   in Loop: Header=BB162_78 Depth=1
	v_lshl_add_u64 v[140:141], v[96:97], 0, v[58:59]
	flat_load_dwordx2 v[140:141], v[140:141]
.LBB162_121:                            ;   in Loop: Header=BB162_78 Depth=1
	s_or_b64 exec, exec, s[4:5]
	v_cmp_gt_i32_e32 vcc, s22, v164
	s_and_saveexec_b64 s[4:5], vcc
	s_cbranch_execz .LBB162_123
; %bb.122:                              ;   in Loop: Header=BB162_78 Depth=1
	v_lshl_add_u64 v[138:139], v[98:99], 0, v[58:59]
	flat_load_dwordx2 v[138:139], v[138:139]
.LBB162_123:                            ;   in Loop: Header=BB162_78 Depth=1
	s_or_b64 exec, exec, s[4:5]
	s_mov_b64 s[4:5], 0
.LBB162_124:                            ;   in Loop: Header=BB162_78 Depth=1
	s_and_b64 vcc, exec, s[4:5]
	s_cbranch_vccz .LBB162_126
; %bb.125:                              ;   in Loop: Header=BB162_78 Depth=1
	s_waitcnt vmcnt(0) lgkmcnt(0)
	v_lshl_add_u64 v[138:139], v[88:89], 0, v[58:59]
	v_lshl_add_u64 v[134:135], v[92:93], 0, v[58:59]
	flat_load_dwordx2 v[140:141], v[138:139]
	v_lshl_add_u64 v[138:139], v[90:91], 0, v[58:59]
	flat_load_dwordx2 v[136:137], v[142:143]
	s_nop 0
	flat_load_dwordx2 v[134:135], v[134:135]
	s_nop 0
	flat_load_dwordx2 v[138:139], v[138:139]
.LBB162_126:                            ;   in Loop: Header=BB162_78 Depth=1
	v_add_f64 v[44:45], v[44:45], 0
	v_add_f64 v[44:45], v[44:45], v[46:47]
	;; [unrolled: 1-line block ×4, first 2 shown]
	ds_read_b64 v[40:41], v150
	v_add_f64 v[36:37], v[36:37], 0
	v_add_f64 v[36:37], v[36:37], v[38:39]
	;; [unrolled: 1-line block ×4, first 2 shown]
	s_waitcnt vmcnt(0) lgkmcnt(0)
	v_mul_f64 v[42:43], v[136:137], v[40:41]
	v_mul_f64 v[142:143], v[134:135], v[40:41]
	ds_read_b128 v[36:39], v145 offset:384
	ds_read_b128 v[32:35], v145 offset:400
	ds_write2_b64 v151, v[42:43], v[142:143] offset1:67
	v_mul_f64 v[42:43], v[140:141], v[40:41]
	v_mul_f64 v[40:41], v[138:139], v[40:41]
	ds_write2_b64 v151, v[42:43], v[40:41] offset0:134 offset1:201
	s_waitcnt lgkmcnt(0)
	s_barrier
	ds_read2_b64 v[40:43], v146 offset1:1
	v_add_f64 v[20:21], v[20:21], 0
	v_add_f64 v[142:143], v[20:21], v[22:23]
	ds_read2_b64 v[20:23], v146 offset0:2 offset1:3
	v_add_f64 v[16:17], v[142:143], v[16:17]
	v_add_f64 v[16:17], v[16:17], v[18:19]
	s_waitcnt lgkmcnt(1)
	v_add_f64 v[18:19], v[40:41], 0
	v_cmp_gt_i32_e32 vcc, s22, v50
	v_add_f64 v[18:19], v[18:19], v[42:43]
	s_or_b64 s[4:5], s[14:15], vcc
	s_waitcnt lgkmcnt(0)
	v_add_f64 v[18:19], v[18:19], v[20:21]
	s_and_b64 s[14:15], s[0:1], s[4:5]
	v_add_f64 v[18:19], v[18:19], v[22:23]
	s_barrier
	ds_write2_b64 v149, v[16:17], v[46:47] offset1:16
	ds_write2_b64 v149, v[44:45], v[18:19] offset0:32 offset1:48
	s_waitcnt lgkmcnt(0)
	s_barrier
	s_and_saveexec_b64 s[4:5], s[14:15]
	s_cbranch_execz .LBB162_128
; %bb.127:                              ;   in Loop: Header=BB162_78 Depth=1
	ds_read2_b64 v[16:19], v147 offset1:1
	ds_read2_b64 v[20:23], v147 offset0:2 offset1:3
	ds_read2_b64 v[40:43], v147 offset0:4 offset1:5
	;; [unrolled: 1-line block ×4, first 2 shown]
	s_waitcnt lgkmcnt(4)
	v_add_f64 v[16:17], v[16:17], v[18:19]
	s_waitcnt lgkmcnt(3)
	v_add_f64 v[16:17], v[16:17], v[20:21]
	v_add_f64 v[16:17], v[16:17], v[22:23]
	s_waitcnt lgkmcnt(2)
	v_add_f64 v[16:17], v[16:17], v[40:41]
	;; [unrolled: 3-line block ×3, first 2 shown]
	ds_read2_b64 v[16:19], v147 offset0:10 offset1:11
	v_add_f64 v[20:21], v[20:21], v[46:47]
	s_waitcnt lgkmcnt(1)
	v_add_f64 v[20:21], v[20:21], v[166:167]
	v_add_f64 v[40:41], v[20:21], v[168:169]
	ds_read2_b64 v[20:23], v147 offset0:12 offset1:13
	s_waitcnt lgkmcnt(1)
	v_add_f64 v[16:17], v[40:41], v[16:17]
	ds_read_b64 v[40:41], v147 offset:112
	ds_read_b64 v[42:43], v148
	v_add_f64 v[16:17], v[16:17], v[18:19]
	v_ashrrev_i32_e32 v109, 31, v108
	s_waitcnt lgkmcnt(2)
	v_add_f64 v[16:17], v[16:17], v[20:21]
	v_add_f64 v[16:17], v[16:17], v[22:23]
	s_waitcnt lgkmcnt(1)
	v_add_f64 v[16:17], v[16:17], v[40:41]
	s_waitcnt lgkmcnt(0)
	v_add_f64 v[16:17], v[16:17], v[42:43]
	v_lshl_add_u64 v[18:19], v[108:109], 3, s[6:7]
	global_store_dwordx2 v[18:19], v[16:17], off
.LBB162_128:                            ;   in Loop: Header=BB162_78 Depth=1
	s_or_b64 exec, exec, s[4:5]
	v_fmac_f64_e32 v[52:53], v[112:113], v[4:5]
	v_fmac_f64_e32 v[52:53], v[110:111], v[6:7]
	;; [unrolled: 1-line block ×15, first 2 shown]
	s_add_i32 s4, s2, 1
	s_add_i32 s8, s8, s24
	s_add_i32 s2, s2, 2
	v_fmac_f64_e32 v[52:53], v[138:139], v[34:35]
	v_add_u32_e32 v108, 64, v108
	v_lshl_add_u64 v[60:61], v[60:61], 0, s[10:11]
	v_lshl_add_u64 v[64:65], v[64:65], 0, s[10:11]
	;; [unrolled: 1-line block ×23, first 2 shown]
	s_cmp_ge_u32 s2, s3
	v_lshl_add_u64 v[98:99], v[98:99], 0, s[10:11]
	s_barrier
	s_cbranch_scc0 .LBB162_74
.LBB162_129:
	s_movk_i32 s0, 0x218
	v_cmp_gt_i32_e32 vcc, s16, v50
	v_mad_u32_u24 v0, v49, s0, v51
	s_or_b64 s[0:1], s[18:19], vcc
	s_and_b64 s[0:1], s[12:13], s[0:1]
	ds_write_b64 v0, v[52:53]
	s_waitcnt lgkmcnt(0)
	s_barrier
	s_and_saveexec_b64 s[2:3], s[0:1]
	s_cbranch_execz .LBB162_4
; %bb.130:
	ds_read2_b64 v[0:3], v51 offset1:67
	ds_read2_b64 v[4:7], v51 offset0:134 offset1:201
	v_ashrrev_i32_e32 v49, 31, v48
	s_waitcnt lgkmcnt(1)
	v_add_f64 v[0:1], v[0:1], v[2:3]
	s_waitcnt lgkmcnt(0)
	v_add_f64 v[0:1], v[0:1], v[4:5]
	v_add_f64 v[0:1], v[0:1], v[6:7]
	v_lshl_add_u64 v[2:3], v[48:49], 3, s[6:7]
	global_store_dwordx2 v[2:3], v[0:1], off
	s_endpgm
	.section	.rodata,"a",@progbits
	.p2align	6, 0x0
	.amdhsa_kernel _ZL26rocblas_hemvn_kernel_upperILb0ELi64ELi4ELi33ELi32ELi16EiPKdPKS1_PdEviT6_lT7_lT5_lS6_lS7_lS5_lT8_i
		.amdhsa_group_segment_fixed_size 9600
		.amdhsa_private_segment_fixed_size 0
		.amdhsa_kernarg_size 376
		.amdhsa_user_sgpr_count 2
		.amdhsa_user_sgpr_dispatch_ptr 0
		.amdhsa_user_sgpr_queue_ptr 0
		.amdhsa_user_sgpr_kernarg_segment_ptr 1
		.amdhsa_user_sgpr_dispatch_id 0
		.amdhsa_user_sgpr_kernarg_preload_length 0
		.amdhsa_user_sgpr_kernarg_preload_offset 0
		.amdhsa_user_sgpr_private_segment_size 0
		.amdhsa_uses_dynamic_stack 0
		.amdhsa_enable_private_segment 0
		.amdhsa_system_sgpr_workgroup_id_x 1
		.amdhsa_system_sgpr_workgroup_id_y 0
		.amdhsa_system_sgpr_workgroup_id_z 1
		.amdhsa_system_sgpr_workgroup_info 0
		.amdhsa_system_vgpr_workitem_id 1
		.amdhsa_next_free_vgpr 170
		.amdhsa_next_free_sgpr 45
		.amdhsa_accum_offset 172
		.amdhsa_reserve_vcc 1
		.amdhsa_float_round_mode_32 0
		.amdhsa_float_round_mode_16_64 0
		.amdhsa_float_denorm_mode_32 3
		.amdhsa_float_denorm_mode_16_64 3
		.amdhsa_dx10_clamp 1
		.amdhsa_ieee_mode 1
		.amdhsa_fp16_overflow 0
		.amdhsa_tg_split 0
		.amdhsa_exception_fp_ieee_invalid_op 0
		.amdhsa_exception_fp_denorm_src 0
		.amdhsa_exception_fp_ieee_div_zero 0
		.amdhsa_exception_fp_ieee_overflow 0
		.amdhsa_exception_fp_ieee_underflow 0
		.amdhsa_exception_fp_ieee_inexact 0
		.amdhsa_exception_int_div_zero 0
	.end_amdhsa_kernel
	.section	.text._ZL26rocblas_hemvn_kernel_upperILb0ELi64ELi4ELi33ELi32ELi16EiPKdPKS1_PdEviT6_lT7_lT5_lS6_lS7_lS5_lT8_i,"axG",@progbits,_ZL26rocblas_hemvn_kernel_upperILb0ELi64ELi4ELi33ELi32ELi16EiPKdPKS1_PdEviT6_lT7_lT5_lS6_lS7_lS5_lT8_i,comdat
.Lfunc_end162:
	.size	_ZL26rocblas_hemvn_kernel_upperILb0ELi64ELi4ELi33ELi32ELi16EiPKdPKS1_PdEviT6_lT7_lT5_lS6_lS7_lS5_lT8_i, .Lfunc_end162-_ZL26rocblas_hemvn_kernel_upperILb0ELi64ELi4ELi33ELi32ELi16EiPKdPKS1_PdEviT6_lT7_lT5_lS6_lS7_lS5_lT8_i
                                        ; -- End function
	.set _ZL26rocblas_hemvn_kernel_upperILb0ELi64ELi4ELi33ELi32ELi16EiPKdPKS1_PdEviT6_lT7_lT5_lS6_lS7_lS5_lT8_i.num_vgpr, 170
	.set _ZL26rocblas_hemvn_kernel_upperILb0ELi64ELi4ELi33ELi32ELi16EiPKdPKS1_PdEviT6_lT7_lT5_lS6_lS7_lS5_lT8_i.num_agpr, 0
	.set _ZL26rocblas_hemvn_kernel_upperILb0ELi64ELi4ELi33ELi32ELi16EiPKdPKS1_PdEviT6_lT7_lT5_lS6_lS7_lS5_lT8_i.numbered_sgpr, 45
	.set _ZL26rocblas_hemvn_kernel_upperILb0ELi64ELi4ELi33ELi32ELi16EiPKdPKS1_PdEviT6_lT7_lT5_lS6_lS7_lS5_lT8_i.num_named_barrier, 0
	.set _ZL26rocblas_hemvn_kernel_upperILb0ELi64ELi4ELi33ELi32ELi16EiPKdPKS1_PdEviT6_lT7_lT5_lS6_lS7_lS5_lT8_i.private_seg_size, 0
	.set _ZL26rocblas_hemvn_kernel_upperILb0ELi64ELi4ELi33ELi32ELi16EiPKdPKS1_PdEviT6_lT7_lT5_lS6_lS7_lS5_lT8_i.uses_vcc, 1
	.set _ZL26rocblas_hemvn_kernel_upperILb0ELi64ELi4ELi33ELi32ELi16EiPKdPKS1_PdEviT6_lT7_lT5_lS6_lS7_lS5_lT8_i.uses_flat_scratch, 0
	.set _ZL26rocblas_hemvn_kernel_upperILb0ELi64ELi4ELi33ELi32ELi16EiPKdPKS1_PdEviT6_lT7_lT5_lS6_lS7_lS5_lT8_i.has_dyn_sized_stack, 0
	.set _ZL26rocblas_hemvn_kernel_upperILb0ELi64ELi4ELi33ELi32ELi16EiPKdPKS1_PdEviT6_lT7_lT5_lS6_lS7_lS5_lT8_i.has_recursion, 0
	.set _ZL26rocblas_hemvn_kernel_upperILb0ELi64ELi4ELi33ELi32ELi16EiPKdPKS1_PdEviT6_lT7_lT5_lS6_lS7_lS5_lT8_i.has_indirect_call, 0
	.section	.AMDGPU.csdata,"",@progbits
; Kernel info:
; codeLenInByte = 6908
; TotalNumSgprs: 51
; NumVgprs: 170
; NumAgprs: 0
; TotalNumVgprs: 170
; ScratchSize: 0
; MemoryBound: 0
; FloatMode: 240
; IeeeMode: 1
; LDSByteSize: 9600 bytes/workgroup (compile time only)
; SGPRBlocks: 6
; VGPRBlocks: 21
; NumSGPRsForWavesPerEU: 51
; NumVGPRsForWavesPerEU: 170
; AccumOffset: 172
; Occupancy: 2
; WaveLimiterHint : 1
; COMPUTE_PGM_RSRC2:SCRATCH_EN: 0
; COMPUTE_PGM_RSRC2:USER_SGPR: 2
; COMPUTE_PGM_RSRC2:TRAP_HANDLER: 0
; COMPUTE_PGM_RSRC2:TGID_X_EN: 1
; COMPUTE_PGM_RSRC2:TGID_Y_EN: 0
; COMPUTE_PGM_RSRC2:TGID_Z_EN: 1
; COMPUTE_PGM_RSRC2:TIDIG_COMP_CNT: 1
; COMPUTE_PGM_RSRC3_GFX90A:ACCUM_OFFSET: 42
; COMPUTE_PGM_RSRC3_GFX90A:TG_SPLIT: 0
	.section	.text._ZL36rocblas_hemvn_kernel_upper_block_sumILi64EiPKdPKPddEviT1_lS5_lT2_lT0_lPT3_i,"axG",@progbits,_ZL36rocblas_hemvn_kernel_upper_block_sumILi64EiPKdPKPddEviT1_lS5_lT2_lT0_lPT3_i,comdat
	.globl	_ZL36rocblas_hemvn_kernel_upper_block_sumILi64EiPKdPKPddEviT1_lS5_lT2_lT0_lPT3_i ; -- Begin function _ZL36rocblas_hemvn_kernel_upper_block_sumILi64EiPKdPKPddEviT1_lS5_lT2_lT0_lPT3_i
	.p2align	8
	.type	_ZL36rocblas_hemvn_kernel_upper_block_sumILi64EiPKdPKPddEviT1_lS5_lT2_lT0_lPT3_i,@function
_ZL36rocblas_hemvn_kernel_upper_block_sumILi64EiPKdPKPddEviT1_lS5_lT2_lT0_lPT3_i: ; @_ZL36rocblas_hemvn_kernel_upper_block_sumILi64EiPKdPKPddEviT1_lS5_lT2_lT0_lPT3_i
; %bb.0:
	s_load_dwordx8 s[4:11], s[0:1], 0x8
	s_mov_b32 s14, s3
	s_waitcnt lgkmcnt(0)
	s_mul_i32 s3, s7, s3
	s_mul_hi_u32 s7, s6, s14
	s_add_i32 s7, s7, s3
	s_mul_i32 s6, s6, s14
	s_lshl_b64 s[6:7], s[6:7], 3
	s_add_u32 s4, s4, s6
	s_addc_u32 s5, s5, s7
	s_load_dwordx2 s[6:7], s[4:5], 0x0
	s_mul_i32 s3, s11, s14
	s_mul_hi_u32 s4, s10, s14
	s_add_i32 s5, s4, s3
	s_mul_i32 s4, s10, s14
	s_lshl_b64 s[4:5], s[4:5], 3
	s_add_u32 s4, s8, s4
	s_addc_u32 s5, s9, s5
	s_load_dwordx2 s[10:11], s[4:5], 0x0
	s_waitcnt lgkmcnt(0)
	v_cmp_eq_f64_e64 s[4:5], s[6:7], 0
	v_cmp_eq_f64_e64 s[8:9], s[10:11], 1.0
	s_and_b64 s[4:5], s[4:5], s[8:9]
	s_and_b64 vcc, exec, s[4:5]
	s_cbranch_vccnz .LBB163_19
; %bb.1:
	s_load_dwordx4 s[20:23], s[0:1], 0x28
	s_mov_b32 s15, 0
	s_lshl_b64 s[4:5], s[14:15], 3
	s_load_dword s3, s[0:1], 0x38
	s_load_dword s16, s[0:1], 0x0
	v_lshl_or_b32 v0, s2, 6, v0
	s_waitcnt lgkmcnt(0)
	s_add_u32 s4, s20, s4
	s_addc_u32 s5, s21, s5
	s_load_dwordx2 s[4:5], s[4:5], 0x0
	s_lshl_b64 s[8:9], s[22:23], 3
	v_cmp_neq_f64_e64 s[18:19], s[6:7], 0
	s_mov_b64 s[12:13], 0
	s_waitcnt lgkmcnt(0)
	s_add_u32 s8, s4, s8
	s_addc_u32 s9, s5, s9
	s_and_b64 vcc, exec, s[18:19]
	v_cmp_gt_i32_e64 s[4:5], s16, v0
	s_cbranch_vccnz .LBB163_6
; %bb.2:
	s_mov_b64 s[18:19], 0
                                        ; implicit-def: $vgpr4_vgpr5
                                        ; implicit-def: $vgpr2_vgpr3
	s_and_saveexec_b64 s[20:21], s[4:5]
	s_cbranch_execz .LBB163_7
; %bb.3:
	v_cmp_eq_f64_e64 s[4:5], s[10:11], 0
	v_mul_lo_u32 v2, s3, v0
	v_mov_b64_e32 v[4:5], 0
	v_ashrrev_i32_e32 v3, 31, v2
	s_and_b64 vcc, exec, s[4:5]
	s_cbranch_vccnz .LBB163_5
; %bb.4:
	v_lshl_add_u64 v[4:5], v[2:3], 3, s[8:9]
	flat_load_dwordx2 v[4:5], v[4:5]
	s_waitcnt vmcnt(0) lgkmcnt(0)
	v_mul_f64 v[4:5], s[10:11], v[4:5]
.LBB163_5:
	s_mov_b64 s[12:13], exec
	s_or_b64 exec, exec, s[20:21]
	s_and_b64 vcc, exec, s[18:19]
	s_cbranch_vccnz .LBB163_8
	s_branch .LBB163_17
.LBB163_6:
                                        ; implicit-def: $vgpr4_vgpr5
                                        ; implicit-def: $vgpr2_vgpr3
	s_cbranch_execnz .LBB163_8
	s_branch .LBB163_17
.LBB163_7:
	s_or_b64 exec, exec, s[20:21]
	s_and_b64 vcc, exec, s[18:19]
	s_cbranch_vccz .LBB163_17
.LBB163_8:
	v_cmp_gt_i32_e32 vcc, s16, v0
                                        ; implicit-def: $vgpr4_vgpr5
                                        ; implicit-def: $vgpr2_vgpr3
	s_and_saveexec_b64 s[4:5], vcc
	s_cbranch_execz .LBB163_16
; %bb.9:
	s_cmp_lt_i32 s2, 0
	v_mov_b64_e32 v[6:7], 0
	s_cbranch_scc1 .LBB163_12
; %bb.10:
	s_load_dwordx2 s[18:19], s[0:1], 0x48
	s_load_dword s15, s[0:1], 0x58
	s_ashr_i32 s17, s16, 31
	s_mul_hi_u32 s0, s16, s14
	s_mul_i32 s1, s17, s14
	s_add_i32 s0, s0, s1
	s_mul_i32 s14, s16, s14
	s_waitcnt lgkmcnt(0)
	s_mul_i32 s0, s0, s15
	s_mul_hi_u32 s1, s14, s15
	s_add_i32 s1, s1, s0
	s_mul_i32 s0, s14, s15
	s_lshl_b64 s[0:1], s[0:1], 3
	s_add_u32 s0, s18, s0
	s_addc_u32 s1, s19, s1
	v_mov_b32_e32 v1, 0
	v_lshl_add_u64 v[2:3], v[0:1], 3, s[0:1]
	s_add_i32 s2, s2, 1
	s_lshl_b64 s[0:1], s[16:17], 3
	v_mov_b64_e32 v[6:7], 0
.LBB163_11:                             ; =>This Inner Loop Header: Depth=1
	global_load_dwordx2 v[4:5], v[2:3], off
	s_add_i32 s2, s2, -1
	v_lshl_add_u64 v[2:3], v[2:3], 0, s[0:1]
	s_cmp_eq_u32 s2, 0
	s_waitcnt vmcnt(0)
	v_add_f64 v[6:7], v[6:7], v[4:5]
	s_cbranch_scc0 .LBB163_11
.LBB163_12:
	v_cmp_eq_f64_e64 s[14:15], s[10:11], 0
	v_mul_lo_u32 v2, s3, v0
	s_mov_b64 s[0:1], 0
	s_and_b64 vcc, exec, s[14:15]
	v_ashrrev_i32_e32 v3, 31, v2
	s_cbranch_vccz .LBB163_20
; %bb.13:
	v_mul_f64 v[4:5], s[6:7], v[6:7]
	s_andn2_b64 vcc, exec, s[0:1]
	s_cbranch_vccnz .LBB163_15
.LBB163_14:
	v_lshl_add_u64 v[0:1], v[2:3], 3, s[8:9]
	flat_load_dwordx2 v[0:1], v[0:1]
	s_waitcnt vmcnt(0) lgkmcnt(0)
	v_mul_f64 v[4:5], s[10:11], v[0:1]
	v_fmac_f64_e32 v[4:5], s[6:7], v[6:7]
.LBB163_15:
	s_or_b64 s[12:13], s[12:13], exec
.LBB163_16:
	s_or_b64 exec, exec, s[4:5]
.LBB163_17:
	s_and_saveexec_b64 s[0:1], s[12:13]
	s_cbranch_execz .LBB163_19
; %bb.18:
	v_lshl_add_u64 v[0:1], v[2:3], 3, s[8:9]
	flat_store_dwordx2 v[0:1], v[4:5]
.LBB163_19:
	s_endpgm
.LBB163_20:
                                        ; implicit-def: $vgpr4_vgpr5
	s_branch .LBB163_14
	.section	.rodata,"a",@progbits
	.p2align	6, 0x0
	.amdhsa_kernel _ZL36rocblas_hemvn_kernel_upper_block_sumILi64EiPKdPKPddEviT1_lS5_lT2_lT0_lPT3_i
		.amdhsa_group_segment_fixed_size 0
		.amdhsa_private_segment_fixed_size 0
		.amdhsa_kernarg_size 344
		.amdhsa_user_sgpr_count 2
		.amdhsa_user_sgpr_dispatch_ptr 0
		.amdhsa_user_sgpr_queue_ptr 0
		.amdhsa_user_sgpr_kernarg_segment_ptr 1
		.amdhsa_user_sgpr_dispatch_id 0
		.amdhsa_user_sgpr_kernarg_preload_length 0
		.amdhsa_user_sgpr_kernarg_preload_offset 0
		.amdhsa_user_sgpr_private_segment_size 0
		.amdhsa_uses_dynamic_stack 0
		.amdhsa_enable_private_segment 0
		.amdhsa_system_sgpr_workgroup_id_x 1
		.amdhsa_system_sgpr_workgroup_id_y 0
		.amdhsa_system_sgpr_workgroup_id_z 1
		.amdhsa_system_sgpr_workgroup_info 0
		.amdhsa_system_vgpr_workitem_id 0
		.amdhsa_next_free_vgpr 8
		.amdhsa_next_free_sgpr 24
		.amdhsa_accum_offset 8
		.amdhsa_reserve_vcc 1
		.amdhsa_float_round_mode_32 0
		.amdhsa_float_round_mode_16_64 0
		.amdhsa_float_denorm_mode_32 3
		.amdhsa_float_denorm_mode_16_64 3
		.amdhsa_dx10_clamp 1
		.amdhsa_ieee_mode 1
		.amdhsa_fp16_overflow 0
		.amdhsa_tg_split 0
		.amdhsa_exception_fp_ieee_invalid_op 0
		.amdhsa_exception_fp_denorm_src 0
		.amdhsa_exception_fp_ieee_div_zero 0
		.amdhsa_exception_fp_ieee_overflow 0
		.amdhsa_exception_fp_ieee_underflow 0
		.amdhsa_exception_fp_ieee_inexact 0
		.amdhsa_exception_int_div_zero 0
	.end_amdhsa_kernel
	.section	.text._ZL36rocblas_hemvn_kernel_upper_block_sumILi64EiPKdPKPddEviT1_lS5_lT2_lT0_lPT3_i,"axG",@progbits,_ZL36rocblas_hemvn_kernel_upper_block_sumILi64EiPKdPKPddEviT1_lS5_lT2_lT0_lPT3_i,comdat
.Lfunc_end163:
	.size	_ZL36rocblas_hemvn_kernel_upper_block_sumILi64EiPKdPKPddEviT1_lS5_lT2_lT0_lPT3_i, .Lfunc_end163-_ZL36rocblas_hemvn_kernel_upper_block_sumILi64EiPKdPKPddEviT1_lS5_lT2_lT0_lPT3_i
                                        ; -- End function
	.set _ZL36rocblas_hemvn_kernel_upper_block_sumILi64EiPKdPKPddEviT1_lS5_lT2_lT0_lPT3_i.num_vgpr, 8
	.set _ZL36rocblas_hemvn_kernel_upper_block_sumILi64EiPKdPKPddEviT1_lS5_lT2_lT0_lPT3_i.num_agpr, 0
	.set _ZL36rocblas_hemvn_kernel_upper_block_sumILi64EiPKdPKPddEviT1_lS5_lT2_lT0_lPT3_i.numbered_sgpr, 24
	.set _ZL36rocblas_hemvn_kernel_upper_block_sumILi64EiPKdPKPddEviT1_lS5_lT2_lT0_lPT3_i.num_named_barrier, 0
	.set _ZL36rocblas_hemvn_kernel_upper_block_sumILi64EiPKdPKPddEviT1_lS5_lT2_lT0_lPT3_i.private_seg_size, 0
	.set _ZL36rocblas_hemvn_kernel_upper_block_sumILi64EiPKdPKPddEviT1_lS5_lT2_lT0_lPT3_i.uses_vcc, 1
	.set _ZL36rocblas_hemvn_kernel_upper_block_sumILi64EiPKdPKPddEviT1_lS5_lT2_lT0_lPT3_i.uses_flat_scratch, 0
	.set _ZL36rocblas_hemvn_kernel_upper_block_sumILi64EiPKdPKPddEviT1_lS5_lT2_lT0_lPT3_i.has_dyn_sized_stack, 0
	.set _ZL36rocblas_hemvn_kernel_upper_block_sumILi64EiPKdPKPddEviT1_lS5_lT2_lT0_lPT3_i.has_recursion, 0
	.set _ZL36rocblas_hemvn_kernel_upper_block_sumILi64EiPKdPKPddEviT1_lS5_lT2_lT0_lPT3_i.has_indirect_call, 0
	.section	.AMDGPU.csdata,"",@progbits
; Kernel info:
; codeLenInByte = 612
; TotalNumSgprs: 30
; NumVgprs: 8
; NumAgprs: 0
; TotalNumVgprs: 8
; ScratchSize: 0
; MemoryBound: 0
; FloatMode: 240
; IeeeMode: 1
; LDSByteSize: 0 bytes/workgroup (compile time only)
; SGPRBlocks: 3
; VGPRBlocks: 0
; NumSGPRsForWavesPerEU: 30
; NumVGPRsForWavesPerEU: 8
; AccumOffset: 8
; Occupancy: 8
; WaveLimiterHint : 1
; COMPUTE_PGM_RSRC2:SCRATCH_EN: 0
; COMPUTE_PGM_RSRC2:USER_SGPR: 2
; COMPUTE_PGM_RSRC2:TRAP_HANDLER: 0
; COMPUTE_PGM_RSRC2:TGID_X_EN: 1
; COMPUTE_PGM_RSRC2:TGID_Y_EN: 0
; COMPUTE_PGM_RSRC2:TGID_Z_EN: 1
; COMPUTE_PGM_RSRC2:TIDIG_COMP_CNT: 0
; COMPUTE_PGM_RSRC3_GFX90A:ACCUM_OFFSET: 1
; COMPUTE_PGM_RSRC3_GFX90A:TG_SPLIT: 0
	.section	.text._ZL26rocblas_hemvn_kernel_upperILb0ELi64ELi4ELi33ELi32ELi16EldPKPKdPdEviT6_lT7_lT5_lS6_lS7_lS5_lT8_i,"axG",@progbits,_ZL26rocblas_hemvn_kernel_upperILb0ELi64ELi4ELi33ELi32ELi16EldPKPKdPdEviT6_lT7_lT5_lS6_lS7_lS5_lT8_i,comdat
	.globl	_ZL26rocblas_hemvn_kernel_upperILb0ELi64ELi4ELi33ELi32ELi16EldPKPKdPdEviT6_lT7_lT5_lS6_lS7_lS5_lT8_i ; -- Begin function _ZL26rocblas_hemvn_kernel_upperILb0ELi64ELi4ELi33ELi32ELi16EldPKPKdPdEviT6_lT7_lT5_lS6_lS7_lS5_lT8_i
	.p2align	8
	.type	_ZL26rocblas_hemvn_kernel_upperILb0ELi64ELi4ELi33ELi32ELi16EldPKPKdPdEviT6_lT7_lT5_lS6_lS7_lS5_lT8_i,@function
_ZL26rocblas_hemvn_kernel_upperILb0ELi64ELi4ELi33ELi32ELi16EldPKPKdPdEviT6_lT7_lT5_lS6_lS7_lS5_lT8_i: ; @_ZL26rocblas_hemvn_kernel_upperILb0ELi64ELi4ELi33ELi32ELi16EldPKPKdPdEviT6_lT7_lT5_lS6_lS7_lS5_lT8_i
; %bb.0:
	s_load_dwordx2 s[4:5], s[0:1], 0x84
	s_add_u32 s8, s0, 0x78
	s_mov_b32 s28, s3
	s_addc_u32 s9, s1, 0
	s_waitcnt lgkmcnt(0)
	s_and_b32 s3, s5, 0xffff
	s_lshr_b32 s5, s4, 16
	s_and_b32 s4, s4, 0xffff
	s_mul_i32 s4, s5, s4
	s_mul_i32 s4, s4, s3
	s_cmpk_lg_i32 s4, 0x100
	s_cbranch_scc1 .LBB164_4
; %bb.1:
	s_load_dwordx2 s[4:5], s[0:1], 0x8
	s_load_dwordx2 s[10:11], s[0:1], 0x58
	s_waitcnt lgkmcnt(0)
	v_cmp_eq_f64_e64 s[6:7], s[4:5], 0
	v_cmp_eq_f64_e64 s[4:5], s[10:11], 1.0
	s_and_b64 s[4:5], s[6:7], s[4:5]
	s_and_b64 vcc, exec, s[4:5]
	s_cbranch_vccnz .LBB164_4
; %bb.2:
	s_mov_b64 s[4:5], 0
	s_and_b64 vcc, exec, s[6:7]
	s_cbranch_vccz .LBB164_5
; %bb.3:
	s_andn2_b64 vcc, exec, s[4:5]
	s_cbranch_vccz .LBB164_6
.LBB164_4:
	s_endpgm
.LBB164_5:
.LBB164_6:
	s_load_dword s33, s[0:1], 0x0
	s_load_dwordx4 s[4:7], s[0:1], 0x18
	s_load_dwordx2 s[24:25], s[0:1], 0x28
	s_load_dwordx4 s[12:15], s[0:1], 0x38
	s_mov_b32 s29, 0
	s_lshl_b64 s[10:11], s[28:29], 3
	s_waitcnt lgkmcnt(0)
	s_add_u32 s16, s4, s10
	s_addc_u32 s17, s5, s11
	s_add_u32 s10, s12, s10
	s_addc_u32 s11, s13, s11
	s_load_dwordx2 s[12:13], s[10:11], 0x0
	s_load_dword s3, s[8:9], 0x0
	s_load_dwordx2 s[18:19], s[0:1], 0x48
	s_load_dwordx2 s[4:5], s[16:17], 0x0
	s_lshl_b64 s[8:9], s[14:15], 3
	s_waitcnt lgkmcnt(0)
	s_add_u32 s8, s12, s8
	s_addc_u32 s9, s13, s9
	s_ashr_i32 s36, s33, 31
	s_lshr_b32 s11, s36, 26
	v_and_b32_e32 v122, 0x3ff, v0
	s_lshl_b32 s26, s2, 6
	s_add_i32 s11, s33, s11
	s_andn2_b32 s11, s11, 63
	v_add_u32_e32 v48, s26, v122
	s_add_i32 s10, s3, -1
	s_sub_i32 s29, s33, s11
	v_ashrrev_i32_e32 v49, 31, v48
	v_bfe_u32 v123, v0, 10, 10
	s_cmp_eq_u32 s2, s10
	v_mul_lo_u32 v2, s18, v49
	v_mul_lo_u32 v3, s19, v48
	v_mad_u64_u32 v[0:1], s[10:11], s18, v48, 0
	v_add3_u32 v1, v1, v2, v3
	s_cselect_b32 s20, s29, 0
	v_lshl_add_u64 v[12:13], v[0:1], 3, s[8:9]
	v_cmp_eq_u32_e64 s[14:15], 0, v123
	s_and_saveexec_b64 s[8:9], s[14:15]
	s_cbranch_execz .LBB164_10
; %bb.7:
	s_cmp_eq_u32 s20, 0
	s_cselect_b64 s[10:11], -1, 0
	v_cmp_gt_i32_e32 vcc, s20, v122
	s_or_b64 s[12:13], s[10:11], vcc
	v_mov_b64_e32 v[0:1], 0
	s_and_saveexec_b64 s[10:11], s[12:13]
	s_cbranch_execz .LBB164_9
; %bb.8:
	flat_load_dwordx2 v[0:1], v[12:13]
.LBB164_9:
	s_or_b64 exec, exec, s[10:11]
	v_lshlrev_b32_e32 v2, 3, v122
	s_waitcnt vmcnt(0) lgkmcnt(0)
	ds_write_b64 v2, v[0:1] offset:9088
.LBB164_10:
	s_or_b64 exec, exec, s[8:9]
	s_lshl_b64 s[6:7], s[6:7], 3
	s_add_u32 s6, s4, s6
	s_addc_u32 s7, s5, s7
	s_ashr_i32 s27, s26, 31
	v_lshl_add_u32 v22, v123, 6, v122
	s_lshl_b64 s[4:5], s[26:27], 3
	v_and_b32_e32 v2, 31, v122
	v_lshrrev_b32_e32 v10, 5, v22
	s_add_u32 s4, s6, s4
	v_mov_b32_e32 v3, 0
	s_addc_u32 s5, s7, s5
	v_mad_u64_u32 v[14:15], s[6:7], s24, v10, v[2:3]
	v_mov_b32_e32 v0, v15
	v_mad_u64_u32 v[0:1], s[6:7], s25, v10, v[0:1]
	v_mov_b32_e32 v15, v0
	v_lshl_add_u64 v[0:1], v[14:15], 3, s[4:5]
	s_mul_hi_u32 s4, s24, s26
	s_mul_i32 s5, s24, s27
	s_add_i32 s4, s4, s5
	s_mul_i32 s5, s25, s26
	s_add_i32 s5, s4, s5
	s_cmp_eq_u32 s20, 0
	s_cselect_b64 s[22:23], -1, 0
	s_cmp_lg_u32 s20, 0
	s_mul_i32 s4, s24, s26
	s_cselect_b64 s[30:31], -1, 0
	v_lshl_add_u64 v[6:7], s[4:5], 3, v[0:1]
	s_and_b64 vcc, exec, s[30:31]
	v_cmp_gt_i32_e64 s[4:5], s20, v2
	v_lshlrev_b32_e32 v0, 3, v2
	s_cbranch_vccz .LBB164_20
; %bb.11:
	v_sub_co_u32_e32 v4, vcc, v6, v0
	s_ashr_i32 s21, s20, 31
	s_nop 0
	v_subbrev_co_u32_e32 v5, vcc, 0, v7, vcc
	v_lshl_add_u64 v[4:5], s[20:21], 3, v[4:5]
	v_lshl_add_u64 v[4:5], v[4:5], 0, -8
	v_cndmask_b32_e64 v5, v5, v7, s[4:5]
	v_cndmask_b32_e64 v4, v4, v6, s[4:5]
	v_cmp_gt_i32_e32 vcc, s20, v10
	v_mov_b64_e32 v[8:9], 0
	v_mov_b64_e32 v[16:17], 0
	s_and_saveexec_b64 s[6:7], vcc
	s_cbranch_execz .LBB164_13
; %bb.12:
	flat_load_dwordx2 v[16:17], v[4:5]
.LBB164_13:
	s_or_b64 exec, exec, s[6:7]
	v_lshlrev_b32_e32 v1, 3, v2
	s_movk_i32 s6, 0x108
	v_mad_u32_u24 v11, v10, s6, v1
	s_waitcnt vmcnt(0) lgkmcnt(0)
	ds_write_b64 v11, v[16:17]
	v_add_u32_e32 v11, 8, v10
	v_mul_u32_u24_e32 v3, 0x108, v10
	v_cmp_gt_i32_e32 vcc, s20, v11
	s_and_saveexec_b64 s[6:7], vcc
	s_cbranch_execz .LBB164_15
; %bb.14:
	s_lshl_b64 s[8:9], s[24:25], 6
	v_lshl_add_u64 v[8:9], v[4:5], 0, s[8:9]
	flat_load_dwordx2 v[8:9], v[8:9]
.LBB164_15:
	s_or_b64 exec, exec, s[6:7]
	v_add_u32_e32 v1, v3, v1
	v_add_u32_e32 v3, 16, v10
	s_waitcnt vmcnt(0) lgkmcnt(0)
	ds_write_b64 v1, v[8:9] offset:2112
	v_cmp_gt_i32_e32 vcc, s20, v3
	v_mov_b64_e32 v[8:9], 0
	v_mov_b64_e32 v[16:17], 0
	s_and_saveexec_b64 s[6:7], vcc
	s_cbranch_execz .LBB164_17
; %bb.16:
	s_lshl_b64 s[8:9], s[24:25], 7
	v_lshl_add_u64 v[16:17], v[4:5], 0, s[8:9]
	flat_load_dwordx2 v[16:17], v[16:17]
.LBB164_17:
	s_or_b64 exec, exec, s[6:7]
	v_add_u32_e32 v3, 24, v10
	v_cmp_gt_i32_e32 vcc, s20, v3
	s_waitcnt vmcnt(0) lgkmcnt(0)
	ds_write_b64 v1, v[16:17] offset:4224
	s_and_saveexec_b64 s[6:7], vcc
	s_cbranch_execz .LBB164_19
; %bb.18:
	v_mov_b32_e32 v3, 0xc0
	v_mad_u64_u32 v[8:9], s[8:9], s24, v3, v[4:5]
	s_mul_i32 s8, s25, 0xc0
	s_nop 0
	v_add_u32_e32 v9, s8, v9
	flat_load_dwordx2 v[8:9], v[8:9]
.LBB164_19:
	s_or_b64 exec, exec, s[6:7]
	s_waitcnt vmcnt(0) lgkmcnt(0)
	ds_write_b64 v1, v[8:9] offset:6336
	v_mov_b32_e32 v1, 0
	v_lshl_add_u64 v[4:5], v[4:5], 0, v[0:1]
	s_lshl_b64 s[6:7], s[20:21], 3
	v_mov_b32_e32 v1, s7
	v_subrev_co_u32_e32 v4, vcc, s6, v4
	s_nop 1
	v_subb_co_u32_e32 v5, vcc, v5, v1, vcc
	v_lshl_add_u64 v[4:5], v[4:5], 0, 8
	v_cndmask_b32_e64 v5, v5, v7, s[4:5]
	v_cndmask_b32_e64 v4, v4, v6, s[4:5]
	s_branch .LBB164_22
.LBB164_20:
                                        ; implicit-def: $vgpr4_vgpr5
	s_cbranch_execz .LBB164_22
; %bb.21:
	s_lshl_b64 s[4:5], s[24:25], 6
	v_lshl_add_u64 v[4:5], v[6:7], 0, s[4:5]
	v_lshl_add_u64 v[8:9], v[4:5], 0, s[4:5]
	;; [unrolled: 1-line block ×3, first 2 shown]
	flat_load_dwordx2 v[18:19], v[6:7]
	flat_load_dwordx2 v[20:21], v[4:5]
	;; [unrolled: 1-line block ×4, first 2 shown]
	v_mul_u32_u24_e32 v1, 0x108, v10
	v_lshl_add_u32 v1, v2, 3, v1
	v_mov_b64_e32 v[4:5], v[6:7]
	s_waitcnt vmcnt(0) lgkmcnt(0)
	ds_write_b64 v1, v[18:19]
	ds_write_b64 v1, v[20:21] offset:2112
	ds_write_b64 v1, v[24:25] offset:4224
	;; [unrolled: 1-line block ×3, first 2 shown]
.LBB164_22:
	v_lshlrev_b32_e32 v11, 3, v2
	v_lshlrev_b32_e32 v3, 2, v10
	v_lshl_or_b32 v1, v2, 8, v11
	v_cmp_gt_u32_e64 s[6:7], v3, v2
	v_lshl_add_u32 v1, v3, 3, v1
	s_waitcnt lgkmcnt(0)
	s_barrier
	s_and_saveexec_b64 s[4:5], s[6:7]
	s_cbranch_execz .LBB164_24
; %bb.23:
	s_movk_i32 s8, 0x420
	v_mad_u32_u24 v6, v10, s8, v11
	ds_read_b64 v[6:7], v6
	s_waitcnt lgkmcnt(0)
	ds_write_b64 v1, v[6:7]
.LBB164_24:
	s_or_b64 exec, exec, s[4:5]
	v_or_b32_e32 v16, 1, v3
	v_cmp_ge_u32_e64 s[8:9], v3, v2
	s_and_saveexec_b64 s[4:5], s[8:9]
	s_cbranch_execz .LBB164_26
; %bb.25:
	s_movk_i32 s10, 0x108
	v_mad_u32_u24 v6, v16, s10, v11
	ds_read_b64 v[6:7], v6
	s_waitcnt lgkmcnt(0)
	ds_write_b64 v1, v[6:7] offset:8
.LBB164_26:
	s_or_b64 exec, exec, s[4:5]
	v_or_b32_e32 v6, 2, v3
	v_cmp_gt_u32_e64 s[10:11], v6, v2
	s_and_saveexec_b64 s[4:5], s[10:11]
	s_cbranch_execz .LBB164_28
; %bb.27:
	s_movk_i32 s12, 0x108
	v_mad_u32_u24 v6, v6, s12, v11
	ds_read_b64 v[6:7], v6
	s_waitcnt lgkmcnt(0)
	ds_write_b64 v1, v[6:7] offset:16
.LBB164_28:
	s_or_b64 exec, exec, s[4:5]
	v_or_b32_e32 v7, 3, v3
	v_cmp_gt_u32_e64 s[12:13], v7, v2
	v_cmp_le_u32_e32 vcc, v7, v2
                                        ; implicit-def: $vgpr6
	s_and_saveexec_b64 s[4:5], vcc
	s_xor_b64 s[4:5], exec, s[4:5]
; %bb.29:
	v_mul_u32_u24_e32 v6, 0x108, v7
                                        ; implicit-def: $vgpr7
                                        ; implicit-def: $vgpr1
; %bb.30:
	s_andn2_saveexec_b64 s[4:5], s[4:5]
	s_cbranch_execz .LBB164_32
; %bb.31:
	s_movk_i32 s16, 0x108
	v_mad_u32_u24 v6, v7, s16, v11
	ds_read_b64 v[8:9], v6
	v_mul_u32_u24_e32 v6, 0x108, v7
	s_waitcnt lgkmcnt(0)
	ds_write_b64 v1, v[8:9] offset:24
.LBB164_32:
	s_or_b64 exec, exec, s[4:5]
	s_movk_i32 s4, 0x420
	v_mad_u32_u24 v1, v10, s4, v11
	s_movk_i32 s4, 0x108
	s_waitcnt lgkmcnt(0)
	s_barrier
	v_lshlrev_b32_e32 v17, 3, v3
	ds_read_b64 v[20:21], v1
	ds_read_b128 v[24:27], v17 offset:9088
	v_mad_u32_u24 v1, v16, s4, v11
	ds_read2_b64 v[28:31], v1 offset1:33
	v_add_u32_e32 v18, v11, v6
	ds_read_b128 v[6:9], v17 offset:9104
	ds_read_b64 v[32:33], v18
	s_waitcnt lgkmcnt(3)
	v_fma_f64 v[20:21], v[20:21], v[24:25], 0
	v_mul_u32_u24_e32 v1, 33, v2
	s_waitcnt lgkmcnt(2)
	v_fmac_f64_e32 v[20:21], v[28:29], v[26:27]
	s_waitcnt lgkmcnt(1)
	v_fmac_f64_e32 v[20:21], v[30:31], v[6:7]
	v_lshlrev_b32_e32 v23, 3, v1
	v_mov_b64_e32 v[50:51], 0
	s_waitcnt lgkmcnt(0)
	v_fmac_f64_e32 v[20:21], v[32:33], v[8:9]
	v_lshl_add_u32 v24, v10, 3, v23
	v_cmp_gt_u32_e64 s[4:5], 32, v22
	s_barrier
	ds_write_b64 v24, v[20:21]
	s_waitcnt lgkmcnt(0)
	s_barrier
	s_and_saveexec_b64 s[16:17], s[4:5]
	s_cbranch_execz .LBB164_34
; %bb.33:
	ds_read2_b64 v[6:9], v23 offset1:1
	ds_read2_b64 v[26:29], v23 offset0:2 offset1:3
	ds_read2_b64 v[30:33], v23 offset0:4 offset1:5
	s_waitcnt lgkmcnt(2)
	v_add_f64 v[20:21], v[6:7], v[8:9]
	ds_read2_b64 v[6:9], v23 offset0:6 offset1:7
	s_waitcnt lgkmcnt(2)
	v_add_f64 v[20:21], v[20:21], v[26:27]
	v_add_f64 v[20:21], v[20:21], v[28:29]
	s_waitcnt lgkmcnt(1)
	v_add_f64 v[20:21], v[20:21], v[30:31]
	v_add_f64 v[20:21], v[20:21], v[32:33]
	;; [unrolled: 3-line block ×3, first 2 shown]
.LBB164_34:
	s_or_b64 exec, exec, s[16:17]
	s_lshl_b64 s[16:17], s[24:25], 8
	v_lshl_add_u64 v[6:7], v[4:5], 0, s[16:17]
	s_mov_b64 s[16:17], 0x100
	v_lshl_add_u64 v[4:5], v[6:7], 0, s[16:17]
	s_and_b64 vcc, exec, s[30:31]
	s_barrier
	s_cbranch_vccz .LBB164_44
; %bb.35:
	v_sub_co_u32_e32 v8, vcc, v6, v0
	s_ashr_i32 s21, s20, 31
	s_nop 0
	v_subbrev_co_u32_e32 v9, vcc, 0, v7, vcc
	v_or_b32_e32 v1, 32, v2
	v_lshl_add_u64 v[8:9], s[20:21], 3, v[8:9]
	v_lshl_add_u64 v[8:9], v[8:9], 0, -8
	v_cmp_gt_i32_e32 vcc, s20, v1
	s_sub_i32 s37, s20, 32
	v_cmp_gt_i32_e64 s[16:17], s37, v10
	v_cndmask_b32_e32 v9, v9, v5, vcc
	v_cndmask_b32_e32 v8, v8, v4, vcc
	v_mov_b64_e32 v[20:21], 0
	v_mov_b64_e32 v[26:27], 0
	s_and_saveexec_b64 s[34:35], s[16:17]
	s_cbranch_execz .LBB164_37
; %bb.36:
	flat_load_dwordx2 v[26:27], v[8:9]
.LBB164_37:
	s_or_b64 exec, exec, s[34:35]
	s_movk_i32 s16, 0x108
	v_mad_u32_u24 v19, v10, s16, v11
	s_waitcnt vmcnt(0) lgkmcnt(0)
	ds_write_b64 v19, v[26:27]
	v_add_u32_e32 v19, 8, v10
	v_mul_u32_u24_e32 v1, 0x108, v10
	v_cmp_gt_i32_e64 s[16:17], s37, v19
	s_and_saveexec_b64 s[34:35], s[16:17]
	s_cbranch_execz .LBB164_39
; %bb.38:
	s_lshl_b64 s[16:17], s[24:25], 6
	v_lshl_add_u64 v[20:21], v[8:9], 0, s[16:17]
	flat_load_dwordx2 v[20:21], v[20:21]
.LBB164_39:
	s_or_b64 exec, exec, s[34:35]
	v_add_u32_e32 v1, v1, v11
	v_add_u32_e32 v19, 16, v10
	s_waitcnt vmcnt(0) lgkmcnt(0)
	ds_write_b64 v1, v[20:21] offset:2112
	v_cmp_gt_i32_e64 s[16:17], s37, v19
	v_mov_b64_e32 v[20:21], 0
	v_mov_b64_e32 v[26:27], 0
	s_and_saveexec_b64 s[34:35], s[16:17]
	s_cbranch_execz .LBB164_41
; %bb.40:
	s_lshl_b64 s[16:17], s[24:25], 7
	v_lshl_add_u64 v[26:27], v[8:9], 0, s[16:17]
	flat_load_dwordx2 v[26:27], v[26:27]
.LBB164_41:
	s_or_b64 exec, exec, s[34:35]
	v_add_u32_e32 v19, 24, v10
	v_cmp_gt_i32_e64 s[16:17], s37, v19
	s_waitcnt vmcnt(0) lgkmcnt(0)
	ds_write_b64 v1, v[26:27] offset:4224
	s_and_saveexec_b64 s[34:35], s[16:17]
	s_cbranch_execz .LBB164_43
; %bb.42:
	v_mov_b32_e32 v19, 0xc0
	v_mad_u64_u32 v[20:21], s[16:17], s24, v19, v[8:9]
	s_mul_i32 s16, s25, 0xc0
	s_nop 0
	v_add_u32_e32 v21, s16, v21
	flat_load_dwordx2 v[20:21], v[20:21]
.LBB164_43:
	s_or_b64 exec, exec, s[34:35]
	s_waitcnt vmcnt(0) lgkmcnt(0)
	ds_write_b64 v1, v[20:21] offset:6336
	v_mov_b32_e32 v1, 0
	v_lshl_add_u64 v[8:9], v[8:9], 0, v[0:1]
	s_lshl_b64 s[16:17], s[20:21], 3
	v_mov_b32_e32 v1, s17
	v_subrev_co_u32_e64 v8, s[16:17], s16, v8
	s_nop 1
	v_subb_co_u32_e64 v9, s[16:17], v9, v1, s[16:17]
	s_mov_b64 s[16:17], 0x108
	s_nop 0
	v_lshl_add_u64 v[8:9], v[8:9], 0, s[16:17]
	v_cndmask_b32_e32 v9, v9, v5, vcc
	v_cndmask_b32_e32 v8, v8, v4, vcc
	v_mul_u32_u24_e32 v1, 0x420, v10
	s_branch .LBB164_46
.LBB164_44:
                                        ; implicit-def: $vgpr8_vgpr9
	v_mul_u32_u24_e32 v1, 0x420, v10
	s_cbranch_execz .LBB164_46
; %bb.45:
	s_lshl_b64 s[16:17], s[24:25], 6
	v_lshl_add_u64 v[8:9], v[6:7], 0, s[16:17]
	v_lshl_add_u64 v[20:21], v[8:9], 0, s[16:17]
	;; [unrolled: 1-line block ×3, first 2 shown]
	flat_load_dwordx2 v[28:29], v[6:7] offset:256
	flat_load_dwordx2 v[30:31], v[8:9] offset:256
	;; [unrolled: 1-line block ×4, first 2 shown]
	s_movk_i32 s16, 0x108
	v_mad_u32_u24 v6, v10, s16, v11
	v_mov_b64_e32 v[8:9], v[4:5]
	s_waitcnt vmcnt(0) lgkmcnt(0)
	ds_write_b64 v6, v[28:29]
	ds_write_b64 v6, v[30:31] offset:2112
	ds_write_b64 v6, v[32:33] offset:4224
	;; [unrolled: 1-line block ×3, first 2 shown]
.LBB164_46:
	v_mul_u32_u24_e32 v4, 0x108, v16
	v_add_u32_e32 v6, v11, v1
	v_lshl_add_u32 v1, v3, 3, v23
	s_waitcnt lgkmcnt(0)
	s_barrier
	s_and_saveexec_b64 s[16:17], s[6:7]
	s_cbranch_execz .LBB164_50
; %bb.47:
	ds_read_b64 v[20:21], v6
	s_waitcnt lgkmcnt(0)
	ds_write_b64 v1, v[20:21]
	s_or_b64 exec, exec, s[16:17]
	v_add_u32_e32 v7, v11, v4
	s_and_saveexec_b64 s[6:7], s[8:9]
	s_cbranch_execnz .LBB164_51
.LBB164_48:
	s_or_b64 exec, exec, s[6:7]
	s_and_saveexec_b64 s[6:7], s[10:11]
	s_cbranch_execz .LBB164_52
.LBB164_49:
	ds_read_b64 v[4:5], v7 offset:264
	s_waitcnt lgkmcnt(0)
	ds_write_b64 v1, v[4:5] offset:16
	s_or_b64 exec, exec, s[6:7]
	v_add_u32_e32 v19, 0x2380, v17
	s_and_saveexec_b64 s[6:7], s[12:13]
	s_cbranch_execnz .LBB164_53
	s_branch .LBB164_54
.LBB164_50:
	s_or_b64 exec, exec, s[16:17]
	v_add_u32_e32 v7, v11, v4
	s_and_saveexec_b64 s[6:7], s[8:9]
	s_cbranch_execz .LBB164_48
.LBB164_51:
	ds_read_b64 v[4:5], v7
	s_waitcnt lgkmcnt(0)
	ds_write_b64 v1, v[4:5] offset:8
	s_or_b64 exec, exec, s[6:7]
	s_and_saveexec_b64 s[6:7], s[10:11]
	s_cbranch_execnz .LBB164_49
.LBB164_52:
	s_or_b64 exec, exec, s[6:7]
	v_add_u32_e32 v19, 0x2380, v17
	s_and_saveexec_b64 s[6:7], s[12:13]
	s_cbranch_execz .LBB164_54
.LBB164_53:
	ds_read_b64 v[4:5], v18
	s_waitcnt lgkmcnt(0)
	ds_write_b64 v1, v[4:5] offset:24
.LBB164_54:
	s_or_b64 exec, exec, s[6:7]
	s_waitcnt lgkmcnt(0)
	s_barrier
	ds_read_b64 v[4:5], v6
	ds_read_b128 v[26:29], v19 offset:256
	ds_read2_b64 v[30:33], v7 offset1:33
	ds_read_b128 v[34:37], v19 offset:272
	ds_read_b64 v[16:17], v18
	v_cmp_eq_u32_e64 s[6:7], 1, v10
	s_waitcnt lgkmcnt(3)
	v_fma_f64 v[4:5], v[4:5], v[26:27], 0
	s_waitcnt lgkmcnt(2)
	v_fmac_f64_e32 v[4:5], v[30:31], v[28:29]
	s_waitcnt lgkmcnt(1)
	v_fmac_f64_e32 v[4:5], v[32:33], v[34:35]
	;; [unrolled: 2-line block ×3, first 2 shown]
	s_barrier
	ds_write_b64 v24, v[4:5]
	s_waitcnt lgkmcnt(0)
	s_barrier
	s_and_saveexec_b64 s[8:9], s[6:7]
	s_cbranch_execz .LBB164_56
; %bb.55:
	ds_read2_b64 v[26:29], v23 offset1:1
	ds_read2_b64 v[30:33], v23 offset0:2 offset1:3
	ds_read2_b64 v[34:37], v23 offset0:4 offset1:5
	s_waitcnt lgkmcnt(2)
	v_add_f64 v[4:5], v[26:27], v[28:29]
	ds_read2_b64 v[26:29], v23 offset0:6 offset1:7
	s_waitcnt lgkmcnt(2)
	v_add_f64 v[4:5], v[4:5], v[30:31]
	v_add_f64 v[4:5], v[4:5], v[32:33]
	s_waitcnt lgkmcnt(1)
	v_add_f64 v[4:5], v[4:5], v[34:35]
	v_add_f64 v[4:5], v[4:5], v[36:37]
	;; [unrolled: 3-line block ×3, first 2 shown]
.LBB164_56:
	s_or_b64 exec, exec, s[8:9]
	s_movk_i32 s8, 0xff00
	s_mov_b32 s9, -1
	v_lshl_add_u64 v[4:5], v[8:9], 0, s[8:9]
	s_and_b64 vcc, exec, s[30:31]
	s_barrier
	s_cbranch_vccz .LBB164_66
; %bb.57:
	v_sub_co_u32_e32 v8, vcc, v4, v0
	s_ashr_i32 s21, s20, 31
	s_nop 0
	v_subbrev_co_u32_e32 v9, vcc, 0, v5, vcc
	v_lshl_add_u64 v[8:9], s[20:21], 3, v[8:9]
	v_lshl_add_u64 v[8:9], v[8:9], 0, -8
	v_cmp_gt_i32_e32 vcc, s20, v2
	s_sub_i32 s12, s20, 32
	v_cmp_gt_i32_e64 s[8:9], s12, v10
	v_cndmask_b32_e32 v3, v9, v5, vcc
	v_cndmask_b32_e32 v2, v8, v4, vcc
	v_mov_b64_e32 v[16:17], 0
	v_mov_b64_e32 v[8:9], 0
	s_and_saveexec_b64 s[10:11], s[8:9]
	s_cbranch_execz .LBB164_59
; %bb.58:
	flat_load_dwordx2 v[8:9], v[2:3]
.LBB164_59:
	s_or_b64 exec, exec, s[10:11]
	s_movk_i32 s8, 0x108
	v_mad_u32_u24 v20, v10, s8, v11
	s_waitcnt vmcnt(0) lgkmcnt(0)
	ds_write_b64 v20, v[8:9]
	v_add_u32_e32 v8, 8, v10
	v_mul_u32_u24_e32 v1, 0x108, v10
	v_cmp_gt_i32_e64 s[8:9], s12, v8
	s_and_saveexec_b64 s[10:11], s[8:9]
	s_cbranch_execz .LBB164_61
; %bb.60:
	s_lshl_b64 s[8:9], s[24:25], 6
	v_lshl_add_u64 v[16:17], v[2:3], 0, s[8:9]
	flat_load_dwordx2 v[16:17], v[16:17]
.LBB164_61:
	s_or_b64 exec, exec, s[10:11]
	v_add_u32_e32 v1, v1, v11
	v_add_u32_e32 v9, 16, v10
	s_waitcnt vmcnt(0) lgkmcnt(0)
	ds_write_b64 v1, v[16:17] offset:2112
	v_cmp_gt_i32_e64 s[8:9], s12, v9
	v_mov_b64_e32 v[16:17], 0
	v_mov_b64_e32 v[20:21], 0
	s_and_saveexec_b64 s[10:11], s[8:9]
	s_cbranch_execz .LBB164_63
; %bb.62:
	s_lshl_b64 s[8:9], s[24:25], 7
	v_lshl_add_u64 v[20:21], v[2:3], 0, s[8:9]
	flat_load_dwordx2 v[20:21], v[20:21]
.LBB164_63:
	s_or_b64 exec, exec, s[10:11]
	s_waitcnt vmcnt(0) lgkmcnt(0)
	ds_write_b64 v1, v[20:21] offset:4224
	v_add_u32_e32 v20, 24, v10
	v_cmp_gt_i32_e64 s[8:9], s12, v20
	s_and_saveexec_b64 s[10:11], s[8:9]
	s_cbranch_execz .LBB164_65
; %bb.64:
	v_mov_b32_e32 v16, 0xc0
	v_mad_u64_u32 v[16:17], s[8:9], s24, v16, v[2:3]
	s_mul_i32 s8, s25, 0xc0
	s_nop 0
	v_add_u32_e32 v17, s8, v17
	flat_load_dwordx2 v[16:17], v[16:17]
.LBB164_65:
	s_or_b64 exec, exec, s[10:11]
	s_waitcnt vmcnt(0) lgkmcnt(0)
	ds_write_b64 v1, v[16:17] offset:6336
	v_mov_b32_e32 v1, 0
	v_lshl_add_u64 v[0:1], v[2:3], 0, v[0:1]
	s_lshl_b64 s[8:9], s[20:21], 3
	v_mov_b32_e32 v2, s9
	v_subrev_co_u32_e64 v0, s[8:9], s8, v0
	s_nop 1
	v_subb_co_u32_e64 v1, s[8:9], v1, v2, s[8:9]
	v_lshl_add_u64 v[0:1], v[0:1], 0, 8
	v_cndmask_b32_e32 v17, v1, v5, vcc
	v_cndmask_b32_e32 v16, v0, v4, vcc
	s_branch .LBB164_68
.LBB164_66:
                                        ; implicit-def: $vgpr16_vgpr17
                                        ; implicit-def: $vgpr8
                                        ; implicit-def: $vgpr9
                                        ; implicit-def: $vgpr20
	s_cbranch_execz .LBB164_68
; %bb.67:
	s_lshl_b64 s[8:9], s[24:25], 6
	v_lshl_add_u64 v[0:1], v[4:5], 0, s[8:9]
	v_lshl_add_u64 v[2:3], v[0:1], 0, s[8:9]
	;; [unrolled: 1-line block ×3, first 2 shown]
	flat_load_dwordx2 v[16:17], v[4:5]
	flat_load_dwordx2 v[26:27], v[0:1]
	;; [unrolled: 1-line block ×4, first 2 shown]
	s_movk_i32 s8, 0x108
	v_mad_u32_u24 v0, v10, s8, v11
	v_add_u32_e32 v8, 8, v10
	v_add_u32_e32 v9, 16, v10
	;; [unrolled: 1-line block ×3, first 2 shown]
	s_waitcnt vmcnt(0) lgkmcnt(0)
	ds_write_b64 v0, v[16:17]
	ds_write_b64 v0, v[26:27] offset:2112
	ds_write_b64 v0, v[28:29] offset:4224
	;; [unrolled: 1-line block ×3, first 2 shown]
	v_mov_b64_e32 v[16:17], v[4:5]
.LBB164_68:
	v_lshlrev_b32_e32 v0, 3, v10
	v_add_u32_e32 v1, v23, v0
	s_waitcnt lgkmcnt(0)
	s_barrier
	v_lshlrev_b32_e32 v2, 3, v8
	ds_read_b64 v[26:27], v1
	ds_read_b64 v[28:29], v2 offset:9088
	ds_read_b64 v[30:31], v0 offset:9088
	v_add_u32_e32 v0, v23, v2
	v_lshlrev_b32_e32 v1, 3, v9
	v_add_u32_e32 v2, v23, v1
	v_lshlrev_b32_e32 v3, 3, v20
	ds_read_b64 v[32:33], v0
	ds_read_b64 v[34:35], v2
	ds_read_b64 v[36:37], v3 offset:9088
	ds_read_b64 v[38:39], v1 offset:9088
	s_waitcnt lgkmcnt(4)
	v_fma_f64 v[26:27], v[26:27], v[30:31], 0
	s_waitcnt lgkmcnt(3)
	v_fmac_f64_e32 v[26:27], v[32:33], v[28:29]
	v_add_u32_e32 v0, v23, v3
	ds_read_b64 v[40:41], v0
	ds_read_b64 v[20:21], v6
	ds_read_b128 v[8:11], v19 offset:256
	ds_read_b128 v[0:3], v19 offset:272
	ds_read2_b64 v[4:7], v7 offset1:33
	ds_read_b64 v[18:19], v18
	s_waitcnt lgkmcnt(6)
	v_fmac_f64_e32 v[26:27], v[34:35], v[38:39]
	s_waitcnt lgkmcnt(5)
	v_fmac_f64_e32 v[26:27], v[40:41], v[36:37]
	s_waitcnt lgkmcnt(0)
	s_barrier
	ds_write_b64 v24, v[26:27]
	s_waitcnt lgkmcnt(0)
	s_barrier
	s_and_saveexec_b64 s[8:9], s[6:7]
	s_cbranch_execz .LBB164_70
; %bb.69:
	ds_read2_b64 v[26:29], v23 offset1:1
	ds_read2_b64 v[30:33], v23 offset0:2 offset1:3
	ds_read2_b64 v[34:37], v23 offset0:4 offset1:5
	s_waitcnt lgkmcnt(2)
	v_add_f64 v[26:27], v[50:51], v[26:27]
	v_add_f64 v[38:39], v[26:27], v[28:29]
	ds_read2_b64 v[26:29], v23 offset0:6 offset1:7
	s_waitcnt lgkmcnt(2)
	v_add_f64 v[30:31], v[38:39], v[30:31]
	v_add_f64 v[30:31], v[30:31], v[32:33]
	s_waitcnt lgkmcnt(1)
	v_add_f64 v[30:31], v[30:31], v[34:35]
	v_add_f64 v[30:31], v[30:31], v[36:37]
	;; [unrolled: 3-line block ×3, first 2 shown]
.LBB164_70:
	s_or_b64 exec, exec, s[8:9]
	v_fma_f64 v[8:9], v[20:21], v[8:9], 0
	v_fmac_f64_e32 v[8:9], v[4:5], v[10:11]
	v_fmac_f64_e32 v[8:9], v[6:7], v[0:1]
	;; [unrolled: 1-line block ×3, first 2 shown]
	s_barrier
	ds_write_b64 v24, v[8:9]
	s_waitcnt lgkmcnt(0)
	s_barrier
	s_and_saveexec_b64 s[6:7], s[4:5]
	s_cbranch_execz .LBB164_72
; %bb.71:
	ds_read2_b64 v[0:3], v23 offset1:1
	ds_read2_b64 v[4:7], v23 offset0:2 offset1:3
	ds_read2_b64 v[8:11], v23 offset0:4 offset1:5
	s_waitcnt lgkmcnt(2)
	v_add_f64 v[0:1], v[50:51], v[0:1]
	v_add_f64 v[18:19], v[0:1], v[2:3]
	ds_read2_b64 v[0:3], v23 offset0:6 offset1:7
	s_waitcnt lgkmcnt(2)
	v_add_f64 v[4:5], v[18:19], v[4:5]
	v_add_f64 v[4:5], v[4:5], v[6:7]
	s_waitcnt lgkmcnt(1)
	v_add_f64 v[4:5], v[4:5], v[8:9]
	v_add_f64 v[4:5], v[4:5], v[10:11]
	;; [unrolled: 3-line block ×3, first 2 shown]
.LBB164_72:
	s_or_b64 exec, exec, s[6:7]
	s_load_dwordx2 s[0:1], s[0:1], 0x68
	s_mul_hi_u32 s4, s33, s28
	s_mul_i32 s36, s36, s28
	s_add_i32 s4, s4, s36
	s_mul_i32 s6, s33, s28
	s_mul_i32 s4, s4, s3
	s_mul_hi_u32 s5, s6, s3
	s_add_i32 s5, s5, s4
	s_mul_i32 s4, s6, s3
	s_lshl_b64 s[4:5], s[4:5], 3
	s_waitcnt lgkmcnt(0)
	s_add_u32 s4, s0, s4
	s_addc_u32 s5, s1, s5
	s_mul_hi_i32 s1, s33, s2
	s_mul_i32 s0, s33, s2
	s_lshl_b64 s[0:1], s[0:1], 3
	s_add_u32 s6, s4, s0
	s_addc_u32 s7, s5, s1
	s_add_i32 s0, s2, 1
	s_cmp_ge_u32 s0, s3
	v_lshlrev_b32_e32 v52, 3, v122
	s_barrier
	s_cbranch_scc1 .LBB164_129
; %bb.73:
	s_mul_i32 s0, s18, s27
	s_mul_hi_u32 s1, s18, s26
	s_add_i32 s0, s1, s0
	s_mul_i32 s1, s19, s26
	s_add_i32 s1, s0, s1
	s_mul_i32 s0, s18, s26
	s_lshl_b64 s[0:1], s[0:1], 3
	v_mov_b32_e32 v0, s1
	v_subrev_co_u32_e32 v54, vcc, s0, v12
	v_and_b32_e32 v1, 15, v122
	s_nop 0
	v_subb_co_u32_e32 v55, vcc, v13, v0, vcc
	v_lshrrev_b32_e32 v0, 4, v22
	v_lshlrev_b32_e32 v2, 5, v0
	v_mul_i32_i24_e32 v38, 0xffffffe8, v0
	v_and_b32_e32 v0, 48, v122
	v_lshlrev_b32_e32 v36, 5, v123
	s_movk_i32 s4, 0x218
	v_lshlrev_b32_e32 v0, 3, v0
	v_mad_u32_u24 v130, v1, s4, v0
	v_or_b32_e32 v0, 0x78, v52
	v_add_u32_e32 v3, 0x110, v36
	v_mad_u32_u24 v129, v1, s4, v2
	v_mad_u32_u24 v131, v1, s4, v0
	v_mad_u64_u32 v[0:1], s[4:5], s24, v3, 0
	v_mov_b32_e32 v2, v1
	v_lshlrev_b64 v[4:5], 3, v[14:15]
	v_mad_u64_u32 v[2:3], s[4:5], s25, v3, v[2:3]
	v_sub_co_u32_e32 v0, vcc, v0, v4
	v_add_u32_e32 v7, 0x118, v36
	s_nop 0
	v_subb_co_u32_e32 v1, vcc, v2, v5, vcc
	v_mad_u64_u32 v[2:3], s[4:5], s24, v7, 0
	v_mov_b32_e32 v6, v3
	v_mad_u64_u32 v[6:7], s[4:5], s25, v7, v[6:7]
	v_sub_co_u32_e32 v2, vcc, v2, v4
	v_add_u32_e32 v9, 0x108, v36
	s_nop 0
	v_subb_co_u32_e32 v3, vcc, v6, v5, vcc
	v_mad_u64_u32 v[6:7], s[4:5], s24, v9, 0
	v_mov_b32_e32 v8, v7
	;; [unrolled: 7-line block ×7, first 2 shown]
	v_mad_u64_u32 v[20:21], s[4:5], s25, v21, v[20:21]
	v_sub_co_u32_e32 v18, vcc, v18, v4
	v_add_u32_e32 v23, 0x210, v36
	s_movk_i32 s0, 0x860
	v_subb_co_u32_e32 v19, vcc, v20, v5, vcc
	v_mad_u64_u32 v[20:21], s[4:5], s24, v23, 0
	v_mad_u32_u24 v128, v123, s0, v52
	v_cmp_gt_u32_e64 s[0:1], 64, v22
	v_mov_b32_e32 v22, v21
	v_mad_u64_u32 v[22:23], s[4:5], s25, v23, v[22:23]
	v_sub_co_u32_e32 v20, vcc, v20, v4
	v_add_u32_e32 v25, 0x218, v36
	s_nop 0
	v_subb_co_u32_e32 v21, vcc, v22, v5, vcc
	v_mad_u64_u32 v[22:23], s[4:5], s24, v25, 0
	v_mov_b32_e32 v24, v23
	v_mad_u64_u32 v[24:25], s[4:5], s25, v25, v[24:25]
	v_sub_co_u32_e32 v22, vcc, v22, v4
	v_add_u32_e32 v27, 0x208, v36
	s_nop 0
	v_subb_co_u32_e32 v23, vcc, v24, v5, vcc
	v_mad_u64_u32 v[24:25], s[4:5], s24, v27, 0
	;; [unrolled: 7-line block ×7, first 2 shown]
	v_add_u32_e32 v126, 0x2180, v36
	v_mov_b32_e32 v36, v35
	v_mad_u64_u32 v[36:37], s[4:5], s25, v37, v[36:37]
	v_sub_co_u32_e32 v4, vcc, v34, v4
	v_lshlrev_b32_e32 v124, 2, v123
	s_nop 0
	v_subb_co_u32_e32 v5, vcc, v36, v5, vcc
	s_add_i32 s16, s3, -2
	v_add_u32_e32 v125, 0x2180, v52
	v_add_u32_e32 v127, 0x2380, v52
	v_or_b32_e32 v132, 1, v124
	v_or_b32_e32 v133, 2, v124
	;; [unrolled: 1-line block ×3, first 2 shown]
	v_add_u32_e32 v135, 16, v124
	v_add_u32_e32 v136, 17, v124
	;; [unrolled: 1-line block ×8, first 2 shown]
	v_lshl_add_u64 v[56:57], v[16:17], 0, v[0:1]
	v_lshl_add_u64 v[58:59], v[16:17], 0, v[2:3]
	;; [unrolled: 1-line block ×16, first 2 shown]
	v_add_u32_e32 v143, 48, v124
	v_add_u32_e32 v144, 49, v124
	s_add_i32 s17, s26, 64
	v_mov_b32_e32 v53, 0
	s_lshl_b64 s[8:9], s[24:25], 9
	v_add_u32_e32 v145, v129, v38
	v_add_u32_e32 v146, 50, v124
	;; [unrolled: 1-line block ×3, first 2 shown]
	s_cmp_eq_u32 s16, s2
	s_cselect_b32 s21, s29, 0
	s_and_saveexec_b64 s[4:5], s[14:15]
	s_cbranch_execz .LBB164_78
	s_branch .LBB164_75
.LBB164_74:                             ;   in Loop: Header=BB164_78 Depth=1
	s_mov_b32 s2, s4
	s_cmp_eq_u32 s16, s2
	s_cselect_b32 s21, s29, 0
	s_and_saveexec_b64 s[4:5], s[14:15]
	s_cbranch_execz .LBB164_78
.LBB164_75:
	s_cmp_eq_u32 s21, 0
	s_cselect_b64 s[10:11], -1, 0
	v_cmp_gt_i32_e32 vcc, s21, v122
	s_or_b64 s[12:13], s[10:11], vcc
	v_mov_b64_e32 v[0:1], 0
	s_and_saveexec_b64 s[10:11], s[12:13]
	s_cbranch_execz .LBB164_77
; %bb.76:
	s_ashr_i32 s12, s17, 31
	s_mul_hi_u32 s13, s18, s17
	s_mul_i32 s12, s18, s12
	s_add_i32 s12, s13, s12
	s_mul_i32 s13, s19, s17
	s_add_i32 s13, s12, s13
	s_mul_i32 s12, s18, s17
	v_lshl_add_u64 v[0:1], s[12:13], 3, v[54:55]
	flat_load_dwordx2 v[0:1], v[0:1]
.LBB164_77:
	s_or_b64 exec, exec, s[10:11]
	s_waitcnt vmcnt(0) lgkmcnt(0)
	ds_write_b64 v125, v[0:1]
.LBB164_78:                             ; =>This Inner Loop Header: Depth=1
	s_or_b64 exec, exec, s[4:5]
	s_cmp_eq_u32 s21, 0
	s_cselect_b64 s[10:11], -1, 0
	s_cmp_lg_u32 s21, 0
	s_cselect_b64 s[12:13], -1, 0
	v_lshl_add_u64 v[0:1], v[62:63], 0, v[52:53]
	s_mov_b64 s[4:5], -1
	s_and_b64 vcc, exec, s[12:13]
	s_waitcnt lgkmcnt(0)
	s_barrier
                                        ; implicit-def: $vgpr92_vgpr93
                                        ; implicit-def: $vgpr94_vgpr95
                                        ; implicit-def: $vgpr88_vgpr89
                                        ; implicit-def: $vgpr90_vgpr91
	s_cbranch_vccz .LBB164_88
; %bb.79:                               ;   in Loop: Header=BB164_78 Depth=1
	v_cmp_gt_i32_e32 vcc, s21, v124
	v_mov_b64_e32 v[88:89], 0
	v_mov_b64_e32 v[90:91], 0
	s_and_saveexec_b64 s[4:5], vcc
	s_cbranch_execz .LBB164_81
; %bb.80:                               ;   in Loop: Header=BB164_78 Depth=1
	flat_load_dwordx2 v[90:91], v[0:1]
.LBB164_81:                             ;   in Loop: Header=BB164_78 Depth=1
	s_or_b64 exec, exec, s[4:5]
	v_cmp_gt_i32_e32 vcc, s21, v132
	s_and_saveexec_b64 s[4:5], vcc
	s_cbranch_execz .LBB164_83
; %bb.82:                               ;   in Loop: Header=BB164_78 Depth=1
	v_lshl_add_u64 v[2:3], v[60:61], 0, v[52:53]
	flat_load_dwordx2 v[88:89], v[2:3]
.LBB164_83:                             ;   in Loop: Header=BB164_78 Depth=1
	s_or_b64 exec, exec, s[4:5]
	v_cmp_gt_i32_e32 vcc, s21, v133
	v_mov_b64_e32 v[92:93], 0
	v_mov_b64_e32 v[94:95], 0
	s_and_saveexec_b64 s[4:5], vcc
	s_cbranch_execz .LBB164_85
; %bb.84:                               ;   in Loop: Header=BB164_78 Depth=1
	v_lshl_add_u64 v[2:3], v[56:57], 0, v[52:53]
	flat_load_dwordx2 v[94:95], v[2:3]
.LBB164_85:                             ;   in Loop: Header=BB164_78 Depth=1
	s_or_b64 exec, exec, s[4:5]
	v_cmp_gt_i32_e32 vcc, s21, v134
	s_and_saveexec_b64 s[4:5], vcc
	s_cbranch_execz .LBB164_87
; %bb.86:                               ;   in Loop: Header=BB164_78 Depth=1
	v_lshl_add_u64 v[2:3], v[58:59], 0, v[52:53]
	flat_load_dwordx2 v[92:93], v[2:3]
.LBB164_87:                             ;   in Loop: Header=BB164_78 Depth=1
	s_or_b64 exec, exec, s[4:5]
	s_mov_b64 s[4:5], 0
.LBB164_88:                             ;   in Loop: Header=BB164_78 Depth=1
	s_and_b64 vcc, exec, s[4:5]
	s_cbranch_vccz .LBB164_90
; %bb.89:                               ;   in Loop: Header=BB164_78 Depth=1
	s_waitcnt vmcnt(0) lgkmcnt(0)
	flat_load_dwordx2 v[90:91], v[0:1]
	v_lshl_add_u64 v[0:1], v[60:61], 0, v[52:53]
	flat_load_dwordx2 v[88:89], v[0:1]
	v_lshl_add_u64 v[0:1], v[56:57], 0, v[52:53]
	;; [unrolled: 2-line block ×3, first 2 shown]
	flat_load_dwordx2 v[92:93], v[0:1]
.LBB164_90:                             ;   in Loop: Header=BB164_78 Depth=1
	ds_read_b64 v[8:9], v127
	ds_read_b128 v[4:7], v126
	ds_read_b128 v[0:3], v126 offset:16
	s_andn2_b64 vcc, exec, s[12:13]
                                        ; implicit-def: $vgpr100_vgpr101
                                        ; implicit-def: $vgpr102_vgpr103
                                        ; implicit-def: $vgpr96_vgpr97
                                        ; implicit-def: $vgpr98_vgpr99
	s_waitcnt vmcnt(0) lgkmcnt(0)
	v_mul_f64 v[10:11], v[90:91], v[8:9]
	v_mul_f64 v[12:13], v[88:89], v[8:9]
	;; [unrolled: 1-line block ×4, first 2 shown]
	ds_write2_b64 v128, v[10:11], v[12:13] offset1:67
	ds_write2_b64 v128, v[14:15], v[8:9] offset0:134 offset1:201
	s_waitcnt lgkmcnt(0)
	s_barrier
	ds_read2_b64 v[20:23], v129 offset1:1
	ds_read2_b64 v[16:19], v129 offset0:2 offset1:3
	v_cndmask_b32_e64 v10, 0, 1, s[12:13]
	v_lshl_add_u64 v[8:9], v[70:71], 0, v[52:53]
	v_cmp_ne_u32_e64 s[4:5], 1, v10
	s_mov_b64 s[12:13], -1
	s_waitcnt lgkmcnt(0)
	s_barrier
	s_cbranch_vccnz .LBB164_100
; %bb.91:                               ;   in Loop: Header=BB164_78 Depth=1
	v_cmp_gt_i32_e32 vcc, s21, v135
	v_mov_b64_e32 v[96:97], 0
	v_mov_b64_e32 v[98:99], 0
	s_and_saveexec_b64 s[12:13], vcc
	s_cbranch_execz .LBB164_93
; %bb.92:                               ;   in Loop: Header=BB164_78 Depth=1
	flat_load_dwordx2 v[98:99], v[8:9]
.LBB164_93:                             ;   in Loop: Header=BB164_78 Depth=1
	s_or_b64 exec, exec, s[12:13]
	v_cmp_gt_i32_e32 vcc, s21, v136
	s_and_saveexec_b64 s[12:13], vcc
	s_cbranch_execz .LBB164_95
; %bb.94:                               ;   in Loop: Header=BB164_78 Depth=1
	v_lshl_add_u64 v[10:11], v[68:69], 0, v[52:53]
	flat_load_dwordx2 v[96:97], v[10:11]
.LBB164_95:                             ;   in Loop: Header=BB164_78 Depth=1
	s_or_b64 exec, exec, s[12:13]
	v_cmp_gt_i32_e32 vcc, s21, v137
	v_mov_b64_e32 v[100:101], 0
	v_mov_b64_e32 v[102:103], 0
	s_and_saveexec_b64 s[12:13], vcc
	s_cbranch_execz .LBB164_97
; %bb.96:                               ;   in Loop: Header=BB164_78 Depth=1
	v_lshl_add_u64 v[10:11], v[64:65], 0, v[52:53]
	flat_load_dwordx2 v[102:103], v[10:11]
.LBB164_97:                             ;   in Loop: Header=BB164_78 Depth=1
	s_or_b64 exec, exec, s[12:13]
	v_cmp_gt_i32_e32 vcc, s21, v138
	s_and_saveexec_b64 s[12:13], vcc
	s_cbranch_execz .LBB164_99
; %bb.98:                               ;   in Loop: Header=BB164_78 Depth=1
	v_lshl_add_u64 v[10:11], v[66:67], 0, v[52:53]
	flat_load_dwordx2 v[100:101], v[10:11]
.LBB164_99:                             ;   in Loop: Header=BB164_78 Depth=1
	s_or_b64 exec, exec, s[12:13]
	s_mov_b64 s[12:13], 0
.LBB164_100:                            ;   in Loop: Header=BB164_78 Depth=1
	s_and_b64 vcc, exec, s[12:13]
	s_cbranch_vccz .LBB164_102
; %bb.101:                              ;   in Loop: Header=BB164_78 Depth=1
	s_waitcnt vmcnt(0) lgkmcnt(0)
	flat_load_dwordx2 v[98:99], v[8:9]
	v_lshl_add_u64 v[8:9], v[68:69], 0, v[52:53]
	flat_load_dwordx2 v[96:97], v[8:9]
	v_lshl_add_u64 v[8:9], v[64:65], 0, v[52:53]
	;; [unrolled: 2-line block ×3, first 2 shown]
	flat_load_dwordx2 v[100:101], v[8:9]
.LBB164_102:                            ;   in Loop: Header=BB164_78 Depth=1
	ds_read_b64 v[24:25], v127
	ds_read_b128 v[12:15], v126 offset:128
	ds_read_b128 v[8:11], v126 offset:144
	s_and_b64 vcc, exec, s[4:5]
	s_mov_b64 s[12:13], -1
	s_waitcnt vmcnt(0) lgkmcnt(0)
	v_mul_f64 v[26:27], v[98:99], v[24:25]
	v_mul_f64 v[28:29], v[96:97], v[24:25]
	;; [unrolled: 1-line block ×4, first 2 shown]
	ds_write2_b64 v128, v[26:27], v[28:29] offset1:67
	ds_write2_b64 v128, v[30:31], v[24:25] offset0:134 offset1:201
	s_waitcnt lgkmcnt(0)
	s_barrier
	ds_read2_b64 v[36:39], v129 offset1:1
	ds_read2_b64 v[32:35], v129 offset0:2 offset1:3
	v_lshl_add_u64 v[24:25], v[78:79], 0, v[52:53]
	s_waitcnt lgkmcnt(0)
	s_barrier
                                        ; implicit-def: $vgpr108_vgpr109
                                        ; implicit-def: $vgpr110_vgpr111
                                        ; implicit-def: $vgpr104_vgpr105
                                        ; implicit-def: $vgpr106_vgpr107
	s_cbranch_vccnz .LBB164_112
; %bb.103:                              ;   in Loop: Header=BB164_78 Depth=1
	v_cmp_gt_i32_e32 vcc, s21, v139
	v_mov_b64_e32 v[104:105], 0
	v_mov_b64_e32 v[106:107], 0
	s_and_saveexec_b64 s[12:13], vcc
	s_cbranch_execz .LBB164_105
; %bb.104:                              ;   in Loop: Header=BB164_78 Depth=1
	flat_load_dwordx2 v[106:107], v[24:25]
.LBB164_105:                            ;   in Loop: Header=BB164_78 Depth=1
	s_or_b64 exec, exec, s[12:13]
	v_cmp_gt_i32_e32 vcc, s21, v140
	s_and_saveexec_b64 s[12:13], vcc
	s_cbranch_execz .LBB164_107
; %bb.106:                              ;   in Loop: Header=BB164_78 Depth=1
	v_lshl_add_u64 v[26:27], v[76:77], 0, v[52:53]
	flat_load_dwordx2 v[104:105], v[26:27]
.LBB164_107:                            ;   in Loop: Header=BB164_78 Depth=1
	s_or_b64 exec, exec, s[12:13]
	v_cmp_gt_i32_e32 vcc, s21, v141
	v_mov_b64_e32 v[108:109], 0
	v_mov_b64_e32 v[110:111], 0
	s_and_saveexec_b64 s[12:13], vcc
	s_cbranch_execz .LBB164_109
; %bb.108:                              ;   in Loop: Header=BB164_78 Depth=1
	v_lshl_add_u64 v[26:27], v[72:73], 0, v[52:53]
	flat_load_dwordx2 v[110:111], v[26:27]
.LBB164_109:                            ;   in Loop: Header=BB164_78 Depth=1
	s_or_b64 exec, exec, s[12:13]
	v_cmp_gt_i32_e32 vcc, s21, v142
	s_and_saveexec_b64 s[12:13], vcc
	s_cbranch_execz .LBB164_111
; %bb.110:                              ;   in Loop: Header=BB164_78 Depth=1
	v_lshl_add_u64 v[26:27], v[74:75], 0, v[52:53]
	flat_load_dwordx2 v[108:109], v[26:27]
.LBB164_111:                            ;   in Loop: Header=BB164_78 Depth=1
	s_or_b64 exec, exec, s[12:13]
	s_mov_b64 s[12:13], 0
.LBB164_112:                            ;   in Loop: Header=BB164_78 Depth=1
	s_and_b64 vcc, exec, s[12:13]
	s_cbranch_vccz .LBB164_114
; %bb.113:                              ;   in Loop: Header=BB164_78 Depth=1
	s_waitcnt vmcnt(0) lgkmcnt(0)
	flat_load_dwordx2 v[106:107], v[24:25]
	v_lshl_add_u64 v[24:25], v[76:77], 0, v[52:53]
	flat_load_dwordx2 v[104:105], v[24:25]
	v_lshl_add_u64 v[24:25], v[72:73], 0, v[52:53]
	;; [unrolled: 2-line block ×3, first 2 shown]
	flat_load_dwordx2 v[108:109], v[24:25]
.LBB164_114:                            ;   in Loop: Header=BB164_78 Depth=1
	ds_read_b64 v[40:41], v127
	ds_read_b128 v[28:31], v126 offset:256
	ds_read_b128 v[24:27], v126 offset:272
	v_lshl_add_u64 v[120:121], v[86:87], 0, v[52:53]
	s_and_b64 vcc, exec, s[4:5]
	s_waitcnt vmcnt(0) lgkmcnt(0)
	v_mul_f64 v[42:43], v[106:107], v[40:41]
	v_mul_f64 v[44:45], v[104:105], v[40:41]
	;; [unrolled: 1-line block ×4, first 2 shown]
	ds_write2_b64 v128, v[42:43], v[44:45] offset1:67
	ds_write2_b64 v128, v[46:47], v[40:41] offset0:134 offset1:201
	s_waitcnt lgkmcnt(0)
	s_barrier
	ds_read2_b64 v[44:47], v129 offset1:1
	ds_read2_b64 v[40:43], v129 offset0:2 offset1:3
	s_mov_b64 s[4:5], -1
	s_waitcnt lgkmcnt(0)
	s_barrier
                                        ; implicit-def: $vgpr116_vgpr117
                                        ; implicit-def: $vgpr118_vgpr119
                                        ; implicit-def: $vgpr112_vgpr113
                                        ; implicit-def: $vgpr114_vgpr115
	s_cbranch_vccnz .LBB164_124
; %bb.115:                              ;   in Loop: Header=BB164_78 Depth=1
	v_cmp_gt_i32_e32 vcc, s21, v143
	v_mov_b64_e32 v[112:113], 0
	v_mov_b64_e32 v[114:115], 0
	s_and_saveexec_b64 s[4:5], vcc
	s_cbranch_execz .LBB164_117
; %bb.116:                              ;   in Loop: Header=BB164_78 Depth=1
	flat_load_dwordx2 v[114:115], v[120:121]
.LBB164_117:                            ;   in Loop: Header=BB164_78 Depth=1
	s_or_b64 exec, exec, s[4:5]
	v_cmp_gt_i32_e32 vcc, s21, v144
	s_and_saveexec_b64 s[4:5], vcc
	s_cbranch_execz .LBB164_119
; %bb.118:                              ;   in Loop: Header=BB164_78 Depth=1
	v_lshl_add_u64 v[112:113], v[84:85], 0, v[52:53]
	flat_load_dwordx2 v[112:113], v[112:113]
.LBB164_119:                            ;   in Loop: Header=BB164_78 Depth=1
	s_or_b64 exec, exec, s[4:5]
	v_cmp_gt_i32_e32 vcc, s21, v146
	v_mov_b64_e32 v[116:117], 0
	v_mov_b64_e32 v[118:119], 0
	s_and_saveexec_b64 s[4:5], vcc
	s_cbranch_execz .LBB164_121
; %bb.120:                              ;   in Loop: Header=BB164_78 Depth=1
	v_lshl_add_u64 v[118:119], v[80:81], 0, v[52:53]
	flat_load_dwordx2 v[118:119], v[118:119]
.LBB164_121:                            ;   in Loop: Header=BB164_78 Depth=1
	s_or_b64 exec, exec, s[4:5]
	v_cmp_gt_i32_e32 vcc, s21, v147
	s_and_saveexec_b64 s[4:5], vcc
	s_cbranch_execz .LBB164_123
; %bb.122:                              ;   in Loop: Header=BB164_78 Depth=1
	v_lshl_add_u64 v[116:117], v[82:83], 0, v[52:53]
	flat_load_dwordx2 v[116:117], v[116:117]
.LBB164_123:                            ;   in Loop: Header=BB164_78 Depth=1
	s_or_b64 exec, exec, s[4:5]
	s_mov_b64 s[4:5], 0
.LBB164_124:                            ;   in Loop: Header=BB164_78 Depth=1
	s_and_b64 vcc, exec, s[4:5]
	s_cbranch_vccz .LBB164_126
; %bb.125:                              ;   in Loop: Header=BB164_78 Depth=1
	s_waitcnt vmcnt(0) lgkmcnt(0)
	v_lshl_add_u64 v[116:117], v[80:81], 0, v[52:53]
	v_lshl_add_u64 v[112:113], v[84:85], 0, v[52:53]
	flat_load_dwordx2 v[118:119], v[116:117]
	v_lshl_add_u64 v[116:117], v[82:83], 0, v[52:53]
	flat_load_dwordx2 v[114:115], v[120:121]
	s_nop 0
	flat_load_dwordx2 v[112:113], v[112:113]
	s_nop 0
	flat_load_dwordx2 v[116:117], v[116:117]
.LBB164_126:                            ;   in Loop: Header=BB164_78 Depth=1
	v_add_f64 v[44:45], v[44:45], 0
	v_add_f64 v[44:45], v[44:45], v[46:47]
	;; [unrolled: 1-line block ×4, first 2 shown]
	ds_read_b64 v[40:41], v127
	v_add_f64 v[36:37], v[36:37], 0
	v_add_f64 v[36:37], v[36:37], v[38:39]
	;; [unrolled: 1-line block ×4, first 2 shown]
	s_waitcnt vmcnt(0) lgkmcnt(0)
	v_mul_f64 v[42:43], v[114:115], v[40:41]
	v_mul_f64 v[120:121], v[112:113], v[40:41]
	ds_read_b128 v[36:39], v126 offset:384
	ds_read_b128 v[32:35], v126 offset:400
	ds_write2_b64 v128, v[42:43], v[120:121] offset1:67
	v_mul_f64 v[42:43], v[118:119], v[40:41]
	v_mul_f64 v[40:41], v[116:117], v[40:41]
	ds_write2_b64 v128, v[42:43], v[40:41] offset0:134 offset1:201
	s_waitcnt lgkmcnt(0)
	s_barrier
	ds_read2_b64 v[40:43], v129 offset1:1
	v_add_f64 v[20:21], v[20:21], 0
	v_add_f64 v[120:121], v[20:21], v[22:23]
	ds_read2_b64 v[20:23], v129 offset0:2 offset1:3
	v_add_f64 v[16:17], v[120:121], v[16:17]
	v_add_f64 v[16:17], v[16:17], v[18:19]
	s_waitcnt lgkmcnt(1)
	v_add_f64 v[18:19], v[40:41], 0
	v_cmp_gt_i32_e32 vcc, s21, v122
	v_add_f64 v[18:19], v[18:19], v[42:43]
	s_or_b64 s[4:5], s[10:11], vcc
	s_waitcnt lgkmcnt(0)
	v_add_f64 v[18:19], v[18:19], v[20:21]
	s_and_b64 s[10:11], s[0:1], s[4:5]
	v_add_f64 v[18:19], v[18:19], v[22:23]
	s_barrier
	ds_write2_b64 v145, v[16:17], v[46:47] offset1:16
	ds_write2_b64 v145, v[44:45], v[18:19] offset0:32 offset1:48
	s_waitcnt lgkmcnt(0)
	s_barrier
	s_and_saveexec_b64 s[4:5], s[10:11]
	s_cbranch_execz .LBB164_128
; %bb.127:                              ;   in Loop: Header=BB164_78 Depth=1
	ds_read2_b64 v[16:19], v130 offset1:1
	ds_read2_b64 v[20:23], v130 offset0:2 offset1:3
	ds_read2_b64 v[40:43], v130 offset0:4 offset1:5
	;; [unrolled: 1-line block ×4, first 2 shown]
	s_waitcnt lgkmcnt(4)
	v_add_f64 v[16:17], v[16:17], v[18:19]
	s_waitcnt lgkmcnt(3)
	v_add_f64 v[16:17], v[16:17], v[20:21]
	v_add_f64 v[16:17], v[16:17], v[22:23]
	s_waitcnt lgkmcnt(2)
	v_add_f64 v[16:17], v[16:17], v[40:41]
	v_add_f64 v[16:17], v[16:17], v[42:43]
	s_waitcnt lgkmcnt(1)
	v_add_f64 v[20:21], v[16:17], v[44:45]
	ds_read2_b64 v[16:19], v130 offset0:10 offset1:11
	v_add_f64 v[20:21], v[20:21], v[46:47]
	s_waitcnt lgkmcnt(1)
	v_add_f64 v[20:21], v[20:21], v[148:149]
	v_add_f64 v[40:41], v[20:21], v[150:151]
	ds_read2_b64 v[20:23], v130 offset0:12 offset1:13
	s_waitcnt lgkmcnt(1)
	v_add_f64 v[16:17], v[40:41], v[16:17]
	ds_read_b64 v[40:41], v130 offset:112
	ds_read_b64 v[42:43], v131
	v_add_f64 v[16:17], v[16:17], v[18:19]
	v_add_u32_e32 v18, s17, v122
	s_waitcnt lgkmcnt(2)
	v_add_f64 v[16:17], v[16:17], v[20:21]
	v_add_f64 v[16:17], v[16:17], v[22:23]
	s_waitcnt lgkmcnt(1)
	v_add_f64 v[16:17], v[16:17], v[40:41]
	v_ashrrev_i32_e32 v19, 31, v18
	s_waitcnt lgkmcnt(0)
	v_add_f64 v[16:17], v[16:17], v[42:43]
	v_lshl_add_u64 v[18:19], v[18:19], 3, s[6:7]
	global_store_dwordx2 v[18:19], v[16:17], off
.LBB164_128:                            ;   in Loop: Header=BB164_78 Depth=1
	s_or_b64 exec, exec, s[4:5]
	v_fmac_f64_e32 v[50:51], v[90:91], v[4:5]
	v_fmac_f64_e32 v[50:51], v[88:89], v[6:7]
	;; [unrolled: 1-line block ×15, first 2 shown]
	s_add_i32 s4, s2, 1
	s_add_i32 s17, s17, 64
	;; [unrolled: 1-line block ×3, first 2 shown]
	v_fmac_f64_e32 v[50:51], v[116:117], v[34:35]
	v_lshl_add_u64 v[56:57], v[56:57], 0, s[8:9]
	v_lshl_add_u64 v[58:59], v[58:59], 0, s[8:9]
	;; [unrolled: 1-line block ×15, first 2 shown]
	s_cmp_ge_u32 s2, s3
	v_lshl_add_u64 v[86:87], v[86:87], 0, s[8:9]
	s_barrier
	s_cbranch_scc0 .LBB164_74
.LBB164_129:
	s_movk_i32 s0, 0x218
	v_cmp_gt_i32_e32 vcc, s20, v122
	v_mad_u32_u24 v0, v123, s0, v52
	s_or_b64 s[0:1], s[22:23], vcc
	s_and_b64 s[0:1], s[14:15], s[0:1]
	ds_write_b64 v0, v[50:51]
	s_waitcnt lgkmcnt(0)
	s_barrier
	s_and_saveexec_b64 s[2:3], s[0:1]
	s_cbranch_execz .LBB164_4
; %bb.130:
	ds_read2_b64 v[0:3], v52 offset1:67
	ds_read2_b64 v[4:7], v52 offset0:134 offset1:201
	s_waitcnt lgkmcnt(1)
	v_add_f64 v[0:1], v[0:1], v[2:3]
	s_waitcnt lgkmcnt(0)
	v_add_f64 v[0:1], v[0:1], v[4:5]
	v_add_f64 v[0:1], v[0:1], v[6:7]
	v_lshl_add_u64 v[2:3], v[48:49], 3, s[6:7]
	global_store_dwordx2 v[2:3], v[0:1], off
	s_endpgm
	.section	.rodata,"a",@progbits
	.p2align	6, 0x0
	.amdhsa_kernel _ZL26rocblas_hemvn_kernel_upperILb0ELi64ELi4ELi33ELi32ELi16EldPKPKdPdEviT6_lT7_lT5_lS6_lS7_lS5_lT8_i
		.amdhsa_group_segment_fixed_size 9600
		.amdhsa_private_segment_fixed_size 0
		.amdhsa_kernarg_size 376
		.amdhsa_user_sgpr_count 2
		.amdhsa_user_sgpr_dispatch_ptr 0
		.amdhsa_user_sgpr_queue_ptr 0
		.amdhsa_user_sgpr_kernarg_segment_ptr 1
		.amdhsa_user_sgpr_dispatch_id 0
		.amdhsa_user_sgpr_kernarg_preload_length 0
		.amdhsa_user_sgpr_kernarg_preload_offset 0
		.amdhsa_user_sgpr_private_segment_size 0
		.amdhsa_uses_dynamic_stack 0
		.amdhsa_enable_private_segment 0
		.amdhsa_system_sgpr_workgroup_id_x 1
		.amdhsa_system_sgpr_workgroup_id_y 0
		.amdhsa_system_sgpr_workgroup_id_z 1
		.amdhsa_system_sgpr_workgroup_info 0
		.amdhsa_system_vgpr_workitem_id 1
		.amdhsa_next_free_vgpr 152
		.amdhsa_next_free_sgpr 38
		.amdhsa_accum_offset 152
		.amdhsa_reserve_vcc 1
		.amdhsa_float_round_mode_32 0
		.amdhsa_float_round_mode_16_64 0
		.amdhsa_float_denorm_mode_32 3
		.amdhsa_float_denorm_mode_16_64 3
		.amdhsa_dx10_clamp 1
		.amdhsa_ieee_mode 1
		.amdhsa_fp16_overflow 0
		.amdhsa_tg_split 0
		.amdhsa_exception_fp_ieee_invalid_op 0
		.amdhsa_exception_fp_denorm_src 0
		.amdhsa_exception_fp_ieee_div_zero 0
		.amdhsa_exception_fp_ieee_overflow 0
		.amdhsa_exception_fp_ieee_underflow 0
		.amdhsa_exception_fp_ieee_inexact 0
		.amdhsa_exception_int_div_zero 0
	.end_amdhsa_kernel
	.section	.text._ZL26rocblas_hemvn_kernel_upperILb0ELi64ELi4ELi33ELi32ELi16EldPKPKdPdEviT6_lT7_lT5_lS6_lS7_lS5_lT8_i,"axG",@progbits,_ZL26rocblas_hemvn_kernel_upperILb0ELi64ELi4ELi33ELi32ELi16EldPKPKdPdEviT6_lT7_lT5_lS6_lS7_lS5_lT8_i,comdat
.Lfunc_end164:
	.size	_ZL26rocblas_hemvn_kernel_upperILb0ELi64ELi4ELi33ELi32ELi16EldPKPKdPdEviT6_lT7_lT5_lS6_lS7_lS5_lT8_i, .Lfunc_end164-_ZL26rocblas_hemvn_kernel_upperILb0ELi64ELi4ELi33ELi32ELi16EldPKPKdPdEviT6_lT7_lT5_lS6_lS7_lS5_lT8_i
                                        ; -- End function
	.set _ZL26rocblas_hemvn_kernel_upperILb0ELi64ELi4ELi33ELi32ELi16EldPKPKdPdEviT6_lT7_lT5_lS6_lS7_lS5_lT8_i.num_vgpr, 152
	.set _ZL26rocblas_hemvn_kernel_upperILb0ELi64ELi4ELi33ELi32ELi16EldPKPKdPdEviT6_lT7_lT5_lS6_lS7_lS5_lT8_i.num_agpr, 0
	.set _ZL26rocblas_hemvn_kernel_upperILb0ELi64ELi4ELi33ELi32ELi16EldPKPKdPdEviT6_lT7_lT5_lS6_lS7_lS5_lT8_i.numbered_sgpr, 38
	.set _ZL26rocblas_hemvn_kernel_upperILb0ELi64ELi4ELi33ELi32ELi16EldPKPKdPdEviT6_lT7_lT5_lS6_lS7_lS5_lT8_i.num_named_barrier, 0
	.set _ZL26rocblas_hemvn_kernel_upperILb0ELi64ELi4ELi33ELi32ELi16EldPKPKdPdEviT6_lT7_lT5_lS6_lS7_lS5_lT8_i.private_seg_size, 0
	.set _ZL26rocblas_hemvn_kernel_upperILb0ELi64ELi4ELi33ELi32ELi16EldPKPKdPdEviT6_lT7_lT5_lS6_lS7_lS5_lT8_i.uses_vcc, 1
	.set _ZL26rocblas_hemvn_kernel_upperILb0ELi64ELi4ELi33ELi32ELi16EldPKPKdPdEviT6_lT7_lT5_lS6_lS7_lS5_lT8_i.uses_flat_scratch, 0
	.set _ZL26rocblas_hemvn_kernel_upperILb0ELi64ELi4ELi33ELi32ELi16EldPKPKdPdEviT6_lT7_lT5_lS6_lS7_lS5_lT8_i.has_dyn_sized_stack, 0
	.set _ZL26rocblas_hemvn_kernel_upperILb0ELi64ELi4ELi33ELi32ELi16EldPKPKdPdEviT6_lT7_lT5_lS6_lS7_lS5_lT8_i.has_recursion, 0
	.set _ZL26rocblas_hemvn_kernel_upperILb0ELi64ELi4ELi33ELi32ELi16EldPKPKdPdEviT6_lT7_lT5_lS6_lS7_lS5_lT8_i.has_indirect_call, 0
	.section	.AMDGPU.csdata,"",@progbits
; Kernel info:
; codeLenInByte = 7044
; TotalNumSgprs: 44
; NumVgprs: 152
; NumAgprs: 0
; TotalNumVgprs: 152
; ScratchSize: 0
; MemoryBound: 0
; FloatMode: 240
; IeeeMode: 1
; LDSByteSize: 9600 bytes/workgroup (compile time only)
; SGPRBlocks: 5
; VGPRBlocks: 18
; NumSGPRsForWavesPerEU: 44
; NumVGPRsForWavesPerEU: 152
; AccumOffset: 152
; Occupancy: 3
; WaveLimiterHint : 1
; COMPUTE_PGM_RSRC2:SCRATCH_EN: 0
; COMPUTE_PGM_RSRC2:USER_SGPR: 2
; COMPUTE_PGM_RSRC2:TRAP_HANDLER: 0
; COMPUTE_PGM_RSRC2:TGID_X_EN: 1
; COMPUTE_PGM_RSRC2:TGID_Y_EN: 0
; COMPUTE_PGM_RSRC2:TGID_Z_EN: 1
; COMPUTE_PGM_RSRC2:TIDIG_COMP_CNT: 1
; COMPUTE_PGM_RSRC3_GFX90A:ACCUM_OFFSET: 37
; COMPUTE_PGM_RSRC3_GFX90A:TG_SPLIT: 0
	.section	.text._ZL36rocblas_hemvn_kernel_upper_block_sumILi64EldPKPddEviT1_lS3_lT2_lT0_lPT3_i,"axG",@progbits,_ZL36rocblas_hemvn_kernel_upper_block_sumILi64EldPKPddEviT1_lS3_lT2_lT0_lPT3_i,comdat
	.globl	_ZL36rocblas_hemvn_kernel_upper_block_sumILi64EldPKPddEviT1_lS3_lT2_lT0_lPT3_i ; -- Begin function _ZL36rocblas_hemvn_kernel_upper_block_sumILi64EldPKPddEviT1_lS3_lT2_lT0_lPT3_i
	.p2align	8
	.type	_ZL36rocblas_hemvn_kernel_upper_block_sumILi64EldPKPddEviT1_lS3_lT2_lT0_lPT3_i,@function
_ZL36rocblas_hemvn_kernel_upper_block_sumILi64EldPKPddEviT1_lS3_lT2_lT0_lPT3_i: ; @_ZL36rocblas_hemvn_kernel_upper_block_sumILi64EldPKPddEviT1_lS3_lT2_lT0_lPT3_i
; %bb.0:
	s_load_dwordx2 s[10:11], s[0:1], 0x8
	s_load_dwordx2 s[12:13], s[0:1], 0x18
	s_waitcnt lgkmcnt(0)
	v_cmp_eq_f64_e64 s[4:5], s[10:11], 0
	v_cmp_eq_f64_e64 s[6:7], s[12:13], 1.0
	s_and_b64 s[4:5], s[4:5], s[6:7]
	s_and_b64 vcc, exec, s[4:5]
	s_cbranch_vccnz .LBB165_19
; %bb.1:
	s_load_dwordx2 s[8:9], s[0:1], 0x28
	s_load_dword s18, s[0:1], 0x0
	s_load_dwordx4 s[4:7], s[0:1], 0x30
	s_mov_b32 s16, s3
	s_mov_b32 s17, 0
	s_lshl_b64 s[14:15], s[16:17], 3
	s_waitcnt lgkmcnt(0)
	s_add_u32 s8, s8, s14
	s_addc_u32 s9, s9, s15
	s_load_dwordx2 s[8:9], s[8:9], 0x0
	s_lshl_b64 s[4:5], s[4:5], 3
	v_lshl_or_b32 v0, s2, 6, v0
	v_cmp_neq_f64_e64 s[20:21], s[10:11], 0
	s_mov_b64 s[14:15], 0
	s_waitcnt lgkmcnt(0)
	s_add_u32 s8, s8, s4
	s_addc_u32 s9, s9, s5
	s_and_b64 vcc, exec, s[20:21]
	v_cmp_gt_i32_e64 s[4:5], s18, v0
	s_cbranch_vccnz .LBB165_6
; %bb.2:
	s_mov_b64 s[20:21], 0
                                        ; implicit-def: $vgpr2_vgpr3
                                        ; implicit-def: $vgpr4_vgpr5
	s_and_saveexec_b64 s[22:23], s[4:5]
	s_cbranch_execz .LBB165_7
; %bb.3:
	v_ashrrev_i32_e32 v1, 31, v0
	v_cmp_eq_f64_e64 s[4:5], s[12:13], 0
	v_mul_lo_u32 v6, s7, v0
	v_mul_lo_u32 v1, s6, v1
	v_mad_u64_u32 v[4:5], s[14:15], s6, v0, 0
	v_mov_b64_e32 v[2:3], 0
	v_add3_u32 v5, v5, v1, v6
	s_and_b64 vcc, exec, s[4:5]
	s_cbranch_vccnz .LBB165_5
; %bb.4:
	v_lshl_add_u64 v[2:3], v[4:5], 3, s[8:9]
	flat_load_dwordx2 v[2:3], v[2:3]
	s_waitcnt vmcnt(0) lgkmcnt(0)
	v_mul_f64 v[2:3], s[12:13], v[2:3]
.LBB165_5:
	s_mov_b64 s[14:15], exec
	s_or_b64 exec, exec, s[22:23]
	s_and_b64 vcc, exec, s[20:21]
	s_cbranch_vccnz .LBB165_8
	s_branch .LBB165_17
.LBB165_6:
                                        ; implicit-def: $vgpr2_vgpr3
                                        ; implicit-def: $vgpr4_vgpr5
	s_cbranch_execnz .LBB165_8
	s_branch .LBB165_17
.LBB165_7:
	s_or_b64 exec, exec, s[22:23]
	s_and_b64 vcc, exec, s[20:21]
	s_cbranch_vccz .LBB165_17
.LBB165_8:
	v_cmp_gt_i32_e32 vcc, s18, v0
                                        ; implicit-def: $vgpr2_vgpr3
                                        ; implicit-def: $vgpr4_vgpr5
	s_and_saveexec_b64 s[4:5], vcc
	s_cbranch_execz .LBB165_16
; %bb.9:
	v_ashrrev_i32_e32 v1, 31, v0
	s_cmp_lt_i32 s2, 0
	v_mov_b64_e32 v[6:7], 0
	s_cbranch_scc1 .LBB165_12
; %bb.10:
	s_load_dwordx2 s[20:21], s[0:1], 0x48
	s_load_dword s3, s[0:1], 0x58
	s_ashr_i32 s19, s18, 31
	s_mul_hi_u32 s0, s18, s16
	s_mul_i32 s1, s19, s16
	s_add_i32 s0, s0, s1
	s_mul_i32 s16, s18, s16
	s_waitcnt lgkmcnt(0)
	s_mul_i32 s0, s0, s3
	s_mul_hi_u32 s1, s16, s3
	s_add_i32 s1, s1, s0
	s_mul_i32 s0, s16, s3
	s_lshl_b64 s[0:1], s[0:1], 3
	s_add_u32 s0, s20, s0
	s_addc_u32 s1, s21, s1
	v_lshl_add_u64 v[2:3], v[0:1], 3, s[0:1]
	s_add_i32 s2, s2, 1
	s_lshl_b64 s[0:1], s[18:19], 3
	v_mov_b64_e32 v[6:7], 0
.LBB165_11:                             ; =>This Inner Loop Header: Depth=1
	global_load_dwordx2 v[4:5], v[2:3], off
	s_add_i32 s2, s2, -1
	v_lshl_add_u64 v[2:3], v[2:3], 0, s[0:1]
	s_cmp_eq_u32 s2, 0
	s_waitcnt vmcnt(0)
	v_add_f64 v[6:7], v[6:7], v[4:5]
	s_cbranch_scc0 .LBB165_11
.LBB165_12:
	v_cmp_eq_f64_e64 s[2:3], s[12:13], 0
	s_mov_b64 s[0:1], 0
	s_and_b64 vcc, exec, s[2:3]
	v_mul_lo_u32 v8, s7, v0
	v_mul_lo_u32 v1, s6, v1
	s_cbranch_vccz .LBB165_20
; %bb.13:
	v_mad_u64_u32 v[4:5], s[2:3], s6, v0, 0
	v_mul_f64 v[2:3], s[10:11], v[6:7]
	v_add3_u32 v5, v5, v1, v8
	s_andn2_b64 vcc, exec, s[0:1]
	s_cbranch_vccnz .LBB165_15
.LBB165_14:
	v_mad_u64_u32 v[4:5], s[0:1], s6, v0, 0
	v_add3_u32 v5, v5, v1, v8
	v_lshl_add_u64 v[0:1], v[4:5], 3, s[8:9]
	flat_load_dwordx2 v[0:1], v[0:1]
	s_waitcnt vmcnt(0) lgkmcnt(0)
	v_mul_f64 v[2:3], s[12:13], v[0:1]
	v_fmac_f64_e32 v[2:3], s[10:11], v[6:7]
.LBB165_15:
	s_or_b64 s[14:15], s[14:15], exec
.LBB165_16:
	s_or_b64 exec, exec, s[4:5]
.LBB165_17:
	s_and_saveexec_b64 s[0:1], s[14:15]
	s_cbranch_execz .LBB165_19
; %bb.18:
	v_lshl_add_u64 v[0:1], v[4:5], 3, s[8:9]
	flat_store_dwordx2 v[0:1], v[2:3]
.LBB165_19:
	s_endpgm
.LBB165_20:
                                        ; implicit-def: $vgpr2_vgpr3
                                        ; implicit-def: $vgpr4_vgpr5
	s_branch .LBB165_14
	.section	.rodata,"a",@progbits
	.p2align	6, 0x0
	.amdhsa_kernel _ZL36rocblas_hemvn_kernel_upper_block_sumILi64EldPKPddEviT1_lS3_lT2_lT0_lPT3_i
		.amdhsa_group_segment_fixed_size 0
		.amdhsa_private_segment_fixed_size 0
		.amdhsa_kernarg_size 344
		.amdhsa_user_sgpr_count 2
		.amdhsa_user_sgpr_dispatch_ptr 0
		.amdhsa_user_sgpr_queue_ptr 0
		.amdhsa_user_sgpr_kernarg_segment_ptr 1
		.amdhsa_user_sgpr_dispatch_id 0
		.amdhsa_user_sgpr_kernarg_preload_length 0
		.amdhsa_user_sgpr_kernarg_preload_offset 0
		.amdhsa_user_sgpr_private_segment_size 0
		.amdhsa_uses_dynamic_stack 0
		.amdhsa_enable_private_segment 0
		.amdhsa_system_sgpr_workgroup_id_x 1
		.amdhsa_system_sgpr_workgroup_id_y 0
		.amdhsa_system_sgpr_workgroup_id_z 1
		.amdhsa_system_sgpr_workgroup_info 0
		.amdhsa_system_vgpr_workitem_id 0
		.amdhsa_next_free_vgpr 9
		.amdhsa_next_free_sgpr 24
		.amdhsa_accum_offset 12
		.amdhsa_reserve_vcc 1
		.amdhsa_float_round_mode_32 0
		.amdhsa_float_round_mode_16_64 0
		.amdhsa_float_denorm_mode_32 3
		.amdhsa_float_denorm_mode_16_64 3
		.amdhsa_dx10_clamp 1
		.amdhsa_ieee_mode 1
		.amdhsa_fp16_overflow 0
		.amdhsa_tg_split 0
		.amdhsa_exception_fp_ieee_invalid_op 0
		.amdhsa_exception_fp_denorm_src 0
		.amdhsa_exception_fp_ieee_div_zero 0
		.amdhsa_exception_fp_ieee_overflow 0
		.amdhsa_exception_fp_ieee_underflow 0
		.amdhsa_exception_fp_ieee_inexact 0
		.amdhsa_exception_int_div_zero 0
	.end_amdhsa_kernel
	.section	.text._ZL36rocblas_hemvn_kernel_upper_block_sumILi64EldPKPddEviT1_lS3_lT2_lT0_lPT3_i,"axG",@progbits,_ZL36rocblas_hemvn_kernel_upper_block_sumILi64EldPKPddEviT1_lS3_lT2_lT0_lPT3_i,comdat
.Lfunc_end165:
	.size	_ZL36rocblas_hemvn_kernel_upper_block_sumILi64EldPKPddEviT1_lS3_lT2_lT0_lPT3_i, .Lfunc_end165-_ZL36rocblas_hemvn_kernel_upper_block_sumILi64EldPKPddEviT1_lS3_lT2_lT0_lPT3_i
                                        ; -- End function
	.set _ZL36rocblas_hemvn_kernel_upper_block_sumILi64EldPKPddEviT1_lS3_lT2_lT0_lPT3_i.num_vgpr, 9
	.set _ZL36rocblas_hemvn_kernel_upper_block_sumILi64EldPKPddEviT1_lS3_lT2_lT0_lPT3_i.num_agpr, 0
	.set _ZL36rocblas_hemvn_kernel_upper_block_sumILi64EldPKPddEviT1_lS3_lT2_lT0_lPT3_i.numbered_sgpr, 24
	.set _ZL36rocblas_hemvn_kernel_upper_block_sumILi64EldPKPddEviT1_lS3_lT2_lT0_lPT3_i.num_named_barrier, 0
	.set _ZL36rocblas_hemvn_kernel_upper_block_sumILi64EldPKPddEviT1_lS3_lT2_lT0_lPT3_i.private_seg_size, 0
	.set _ZL36rocblas_hemvn_kernel_upper_block_sumILi64EldPKPddEviT1_lS3_lT2_lT0_lPT3_i.uses_vcc, 1
	.set _ZL36rocblas_hemvn_kernel_upper_block_sumILi64EldPKPddEviT1_lS3_lT2_lT0_lPT3_i.uses_flat_scratch, 0
	.set _ZL36rocblas_hemvn_kernel_upper_block_sumILi64EldPKPddEviT1_lS3_lT2_lT0_lPT3_i.has_dyn_sized_stack, 0
	.set _ZL36rocblas_hemvn_kernel_upper_block_sumILi64EldPKPddEviT1_lS3_lT2_lT0_lPT3_i.has_recursion, 0
	.set _ZL36rocblas_hemvn_kernel_upper_block_sumILi64EldPKPddEviT1_lS3_lT2_lT0_lPT3_i.has_indirect_call, 0
	.section	.AMDGPU.csdata,"",@progbits
; Kernel info:
; codeLenInByte = 604
; TotalNumSgprs: 30
; NumVgprs: 9
; NumAgprs: 0
; TotalNumVgprs: 9
; ScratchSize: 0
; MemoryBound: 0
; FloatMode: 240
; IeeeMode: 1
; LDSByteSize: 0 bytes/workgroup (compile time only)
; SGPRBlocks: 3
; VGPRBlocks: 1
; NumSGPRsForWavesPerEU: 30
; NumVGPRsForWavesPerEU: 9
; AccumOffset: 12
; Occupancy: 8
; WaveLimiterHint : 1
; COMPUTE_PGM_RSRC2:SCRATCH_EN: 0
; COMPUTE_PGM_RSRC2:USER_SGPR: 2
; COMPUTE_PGM_RSRC2:TRAP_HANDLER: 0
; COMPUTE_PGM_RSRC2:TGID_X_EN: 1
; COMPUTE_PGM_RSRC2:TGID_Y_EN: 0
; COMPUTE_PGM_RSRC2:TGID_Z_EN: 1
; COMPUTE_PGM_RSRC2:TIDIG_COMP_CNT: 0
; COMPUTE_PGM_RSRC3_GFX90A:ACCUM_OFFSET: 2
; COMPUTE_PGM_RSRC3_GFX90A:TG_SPLIT: 0
	.section	.text._ZL26rocblas_hemvn_kernel_upperILb0ELi64ELi4ELi33ELi32ELi16EidPKPKdPdEviT6_lT7_lT5_lS6_lS7_lS5_lT8_i,"axG",@progbits,_ZL26rocblas_hemvn_kernel_upperILb0ELi64ELi4ELi33ELi32ELi16EidPKPKdPdEviT6_lT7_lT5_lS6_lS7_lS5_lT8_i,comdat
	.globl	_ZL26rocblas_hemvn_kernel_upperILb0ELi64ELi4ELi33ELi32ELi16EidPKPKdPdEviT6_lT7_lT5_lS6_lS7_lS5_lT8_i ; -- Begin function _ZL26rocblas_hemvn_kernel_upperILb0ELi64ELi4ELi33ELi32ELi16EidPKPKdPdEviT6_lT7_lT5_lS6_lS7_lS5_lT8_i
	.p2align	8
	.type	_ZL26rocblas_hemvn_kernel_upperILb0ELi64ELi4ELi33ELi32ELi16EidPKPKdPdEviT6_lT7_lT5_lS6_lS7_lS5_lT8_i,@function
_ZL26rocblas_hemvn_kernel_upperILb0ELi64ELi4ELi33ELi32ELi16EidPKPKdPdEviT6_lT7_lT5_lS6_lS7_lS5_lT8_i: ; @_ZL26rocblas_hemvn_kernel_upperILb0ELi64ELi4ELi33ELi32ELi16EidPKPKdPdEviT6_lT7_lT5_lS6_lS7_lS5_lT8_i
; %bb.0:
	s_load_dwordx2 s[4:5], s[0:1], 0x84
	s_add_u32 s8, s0, 0x78
	s_mov_b32 s24, s3
	s_addc_u32 s9, s1, 0
	s_waitcnt lgkmcnt(0)
	s_and_b32 s3, s5, 0xffff
	s_lshr_b32 s5, s4, 16
	s_and_b32 s4, s4, 0xffff
	s_mul_i32 s4, s5, s4
	s_mul_i32 s4, s4, s3
	s_cmpk_lg_i32 s4, 0x100
	s_cbranch_scc1 .LBB166_4
; %bb.1:
	s_load_dwordx2 s[4:5], s[0:1], 0x8
	s_load_dwordx2 s[10:11], s[0:1], 0x58
	s_waitcnt lgkmcnt(0)
	v_cmp_eq_f64_e64 s[6:7], s[4:5], 0
	v_cmp_eq_f64_e64 s[4:5], s[10:11], 1.0
	s_and_b64 s[4:5], s[6:7], s[4:5]
	s_and_b64 vcc, exec, s[4:5]
	s_cbranch_vccnz .LBB166_4
; %bb.2:
	s_mov_b64 s[4:5], 0
	s_and_b64 vcc, exec, s[6:7]
	s_cbranch_vccz .LBB166_5
; %bb.3:
	s_andn2_b64 vcc, exec, s[4:5]
	s_cbranch_vccz .LBB166_6
.LBB166_4:
	s_endpgm
.LBB166_5:
.LBB166_6:
	s_load_dwordx4 s[4:7], s[0:1], 0x18
	s_load_dwordx4 s[12:15], s[0:1], 0x38
	s_load_dword s33, s[0:1], 0x48
	s_mov_b32 s25, 0
	s_lshl_b64 s[10:11], s[24:25], 3
	s_waitcnt lgkmcnt(0)
	s_add_u32 s16, s4, s10
	s_addc_u32 s17, s5, s11
	s_add_u32 s10, s12, s10
	s_addc_u32 s11, s13, s11
	s_load_dwordx2 s[12:13], s[10:11], 0x0
	s_load_dword s36, s[0:1], 0x0
	s_load_dword s3, s[8:9], 0x0
	s_load_dwordx2 s[4:5], s[16:17], 0x0
	s_lshl_b64 s[8:9], s[14:15], 3
	s_waitcnt lgkmcnt(0)
	s_add_u32 s8, s12, s8
	s_addc_u32 s9, s13, s9
	s_ashr_i32 s37, s36, 31
	s_lshr_b32 s11, s37, 26
	v_and_b32_e32 v50, 0x3ff, v0
	s_lshl_b32 s26, s2, 6
	s_add_i32 s11, s36, s11
	s_andn2_b32 s11, s11, 63
	v_add_u32_e32 v48, s26, v50
	v_bfe_u32 v49, v0, 10, 10
	s_add_i32 s10, s3, -1
	s_sub_i32 s25, s36, s11
	v_mul_lo_u32 v0, s33, v48
	s_cmp_eq_u32 s2, s10
	v_ashrrev_i32_e32 v1, 31, v0
	s_cselect_b32 s18, s25, 0
	v_lshl_add_u64 v[14:15], v[0:1], 3, s[8:9]
	v_cmp_eq_u32_e64 s[14:15], 0, v49
	s_and_saveexec_b64 s[8:9], s[14:15]
	s_cbranch_execz .LBB166_10
; %bb.7:
	s_cmp_eq_u32 s18, 0
	s_cselect_b64 s[10:11], -1, 0
	v_cmp_gt_i32_e32 vcc, s18, v50
	s_or_b64 s[12:13], s[10:11], vcc
	v_mov_b64_e32 v[0:1], 0
	s_and_saveexec_b64 s[10:11], s[12:13]
	s_cbranch_execz .LBB166_9
; %bb.8:
	flat_load_dwordx2 v[0:1], v[14:15]
.LBB166_9:
	s_or_b64 exec, exec, s[10:11]
	v_lshlrev_b32_e32 v2, 3, v50
	s_waitcnt vmcnt(0) lgkmcnt(0)
	ds_write_b64 v2, v[0:1] offset:9088
.LBB166_10:
	s_or_b64 exec, exec, s[8:9]
	s_lshl_b64 s[6:7], s[6:7], 3
	s_load_dword s22, s[0:1], 0x28
	s_add_u32 s6, s4, s6
	s_addc_u32 s7, s5, s7
	s_ashr_i32 s27, s26, 31
	v_lshl_add_u32 v22, v49, 6, v50
	s_lshl_b64 s[4:5], s[26:27], 3
	v_and_b32_e32 v2, 31, v50
	v_lshrrev_b32_e32 v10, 5, v22
	s_add_u32 s4, s6, s4
	s_addc_u32 s5, s7, s5
	s_waitcnt lgkmcnt(0)
	v_mad_u64_u32 v[12:13], s[6:7], s22, v10, v[2:3]
	v_ashrrev_i32_e32 v13, 31, v12
	v_lshl_add_u64 v[0:1], v[12:13], 3, s[4:5]
	s_mul_i32 s4, s22, s26
	s_ashr_i32 s5, s4, 31
	s_cmp_eq_u32 s18, 0
	s_cselect_b64 s[20:21], -1, 0
	s_cmp_lg_u32 s18, 0
	s_cselect_b64 s[30:31], -1, 0
	v_lshl_add_u64 v[6:7], s[4:5], 3, v[0:1]
	s_and_b64 vcc, exec, s[30:31]
	v_cmp_gt_i32_e64 s[4:5], s18, v2
	v_lshlrev_b32_e32 v0, 3, v2
	s_cbranch_vccz .LBB166_20
; %bb.11:
	v_sub_co_u32_e32 v4, vcc, v6, v0
	s_ashr_i32 s19, s18, 31
	s_nop 0
	v_subbrev_co_u32_e32 v5, vcc, 0, v7, vcc
	v_lshl_add_u64 v[4:5], s[18:19], 3, v[4:5]
	v_lshl_add_u64 v[4:5], v[4:5], 0, -8
	v_cndmask_b32_e64 v5, v5, v7, s[4:5]
	v_cndmask_b32_e64 v4, v4, v6, s[4:5]
	v_cmp_gt_i32_e32 vcc, s18, v10
	v_mov_b64_e32 v[8:9], 0
	v_mov_b64_e32 v[16:17], 0
	s_and_saveexec_b64 s[6:7], vcc
	s_cbranch_execz .LBB166_13
; %bb.12:
	flat_load_dwordx2 v[16:17], v[4:5]
.LBB166_13:
	s_or_b64 exec, exec, s[6:7]
	s_movk_i32 s6, 0x108
	v_mad_u32_u24 v3, v10, s6, v0
	s_waitcnt vmcnt(0) lgkmcnt(0)
	ds_write_b64 v3, v[16:17]
	v_add_u32_e32 v3, 8, v10
	v_mul_u32_u24_e32 v1, 0x108, v10
	v_cmp_gt_i32_e32 vcc, s18, v3
	s_and_saveexec_b64 s[6:7], vcc
	s_cbranch_execz .LBB166_15
; %bb.14:
	s_lshl_b32 s8, s22, 3
	s_ashr_i32 s9, s8, 31
	v_lshl_add_u64 v[8:9], s[8:9], 3, v[4:5]
	flat_load_dwordx2 v[8:9], v[8:9]
.LBB166_15:
	s_or_b64 exec, exec, s[6:7]
	v_add_u32_e32 v1, v1, v0
	v_add_u32_e32 v3, 16, v10
	s_waitcnt vmcnt(0) lgkmcnt(0)
	ds_write_b64 v1, v[8:9] offset:2112
	v_cmp_gt_i32_e32 vcc, s18, v3
	v_mov_b64_e32 v[8:9], 0
	v_mov_b64_e32 v[16:17], 0
	s_and_saveexec_b64 s[6:7], vcc
	s_cbranch_execz .LBB166_17
; %bb.16:
	s_lshl_b32 s8, s22, 4
	s_ashr_i32 s9, s8, 31
	v_lshl_add_u64 v[16:17], s[8:9], 3, v[4:5]
	flat_load_dwordx2 v[16:17], v[16:17]
.LBB166_17:
	s_or_b64 exec, exec, s[6:7]
	v_add_u32_e32 v3, 24, v10
	v_cmp_gt_i32_e32 vcc, s18, v3
	s_waitcnt vmcnt(0) lgkmcnt(0)
	ds_write_b64 v1, v[16:17] offset:4224
	s_and_saveexec_b64 s[6:7], vcc
	s_cbranch_execz .LBB166_19
; %bb.18:
	s_mul_i32 s8, s22, 24
	s_ashr_i32 s9, s8, 31
	v_lshl_add_u64 v[8:9], s[8:9], 3, v[4:5]
	flat_load_dwordx2 v[8:9], v[8:9]
.LBB166_19:
	s_or_b64 exec, exec, s[6:7]
	s_waitcnt vmcnt(0) lgkmcnt(0)
	ds_write_b64 v1, v[8:9] offset:6336
	v_mov_b32_e32 v1, 0
	v_lshl_add_u64 v[4:5], v[4:5], 0, v[0:1]
	s_lshl_b64 s[6:7], s[18:19], 3
	v_mov_b32_e32 v1, s7
	v_subrev_co_u32_e32 v4, vcc, s6, v4
	s_nop 1
	v_subb_co_u32_e32 v5, vcc, v5, v1, vcc
	v_lshl_add_u64 v[4:5], v[4:5], 0, 8
	v_cndmask_b32_e64 v5, v5, v7, s[4:5]
	v_cndmask_b32_e64 v4, v4, v6, s[4:5]
	s_branch .LBB166_22
.LBB166_20:
                                        ; implicit-def: $vgpr4_vgpr5
	s_cbranch_execz .LBB166_22
; %bb.21:
	s_lshl_b32 s4, s22, 3
	s_ashr_i32 s5, s4, 31
	s_ashr_i32 s23, s22, 31
	v_lshl_add_u64 v[4:5], s[4:5], 3, v[6:7]
	s_lshl_b64 s[4:5], s[22:23], 6
	v_lshl_add_u64 v[8:9], v[4:5], 0, s[4:5]
	v_lshl_add_u64 v[16:17], v[8:9], 0, s[4:5]
	flat_load_dwordx2 v[18:19], v[6:7]
	flat_load_dwordx2 v[20:21], v[4:5]
	;; [unrolled: 1-line block ×4, first 2 shown]
	v_mul_u32_u24_e32 v1, 0x108, v10
	v_lshl_add_u32 v1, v2, 3, v1
	v_mov_b64_e32 v[4:5], v[6:7]
	s_waitcnt vmcnt(0) lgkmcnt(0)
	ds_write_b64 v1, v[18:19]
	ds_write_b64 v1, v[20:21] offset:2112
	ds_write_b64 v1, v[24:25] offset:4224
	ds_write_b64 v1, v[26:27] offset:6336
.LBB166_22:
	v_lshlrev_b32_e32 v3, 2, v10
	v_lshl_or_b32 v1, v2, 8, v0
	v_cmp_gt_u32_e64 s[6:7], v3, v2
	v_lshl_add_u32 v1, v3, 3, v1
	s_waitcnt lgkmcnt(0)
	s_barrier
	s_and_saveexec_b64 s[4:5], s[6:7]
	s_cbranch_execz .LBB166_24
; %bb.23:
	s_movk_i32 s8, 0x420
	v_mad_u32_u24 v6, v10, s8, v0
	ds_read_b64 v[6:7], v6
	s_waitcnt lgkmcnt(0)
	ds_write_b64 v1, v[6:7]
.LBB166_24:
	s_or_b64 exec, exec, s[4:5]
	v_or_b32_e32 v11, 1, v3
	v_cmp_ge_u32_e64 s[8:9], v3, v2
	s_and_saveexec_b64 s[4:5], s[8:9]
	s_cbranch_execz .LBB166_26
; %bb.25:
	s_movk_i32 s10, 0x108
	v_mad_u32_u24 v6, v11, s10, v0
	ds_read_b64 v[6:7], v6
	s_waitcnt lgkmcnt(0)
	ds_write_b64 v1, v[6:7] offset:8
.LBB166_26:
	s_or_b64 exec, exec, s[4:5]
	v_or_b32_e32 v6, 2, v3
	v_cmp_gt_u32_e64 s[10:11], v6, v2
	s_and_saveexec_b64 s[4:5], s[10:11]
	s_cbranch_execz .LBB166_28
; %bb.27:
	s_movk_i32 s12, 0x108
	v_mad_u32_u24 v6, v6, s12, v0
	ds_read_b64 v[6:7], v6
	s_waitcnt lgkmcnt(0)
	ds_write_b64 v1, v[6:7] offset:16
.LBB166_28:
	s_or_b64 exec, exec, s[4:5]
	v_or_b32_e32 v7, 3, v3
	v_cmp_gt_u32_e64 s[12:13], v7, v2
	v_cmp_le_u32_e32 vcc, v7, v2
                                        ; implicit-def: $vgpr6
	s_and_saveexec_b64 s[4:5], vcc
	s_xor_b64 s[4:5], exec, s[4:5]
; %bb.29:
	v_mul_u32_u24_e32 v6, 0x108, v7
                                        ; implicit-def: $vgpr7
                                        ; implicit-def: $vgpr1
; %bb.30:
	s_andn2_saveexec_b64 s[4:5], s[4:5]
	s_cbranch_execz .LBB166_32
; %bb.31:
	s_movk_i32 s16, 0x108
	v_mad_u32_u24 v6, v7, s16, v0
	ds_read_b64 v[8:9], v6
	v_mul_u32_u24_e32 v6, 0x108, v7
	s_waitcnt lgkmcnt(0)
	ds_write_b64 v1, v[8:9] offset:24
.LBB166_32:
	s_or_b64 exec, exec, s[4:5]
	s_movk_i32 s4, 0x420
	v_mad_u32_u24 v1, v10, s4, v0
	s_movk_i32 s4, 0x108
	s_waitcnt lgkmcnt(0)
	s_barrier
	v_lshlrev_b32_e32 v16, 3, v3
	ds_read_b64 v[20:21], v1
	ds_read_b128 v[24:27], v16 offset:9088
	v_mad_u32_u24 v1, v11, s4, v0
	ds_read2_b64 v[28:31], v1 offset1:33
	v_add_u32_e32 v18, v0, v6
	ds_read_b128 v[6:9], v16 offset:9104
	ds_read_b64 v[32:33], v18
	s_waitcnt lgkmcnt(3)
	v_fma_f64 v[20:21], v[20:21], v[24:25], 0
	v_mul_u32_u24_e32 v1, 33, v2
	s_waitcnt lgkmcnt(2)
	v_fmac_f64_e32 v[20:21], v[28:29], v[26:27]
	s_waitcnt lgkmcnt(1)
	v_fmac_f64_e32 v[20:21], v[30:31], v[6:7]
	v_lshlrev_b32_e32 v23, 3, v1
	v_mov_b64_e32 v[52:53], 0
	s_waitcnt lgkmcnt(0)
	v_fmac_f64_e32 v[20:21], v[32:33], v[8:9]
	v_lshl_add_u32 v24, v10, 3, v23
	v_cmp_gt_u32_e64 s[4:5], 32, v22
	s_barrier
	ds_write_b64 v24, v[20:21]
	s_waitcnt lgkmcnt(0)
	s_barrier
	s_and_saveexec_b64 s[16:17], s[4:5]
	s_cbranch_execz .LBB166_34
; %bb.33:
	ds_read2_b64 v[6:9], v23 offset1:1
	ds_read2_b64 v[26:29], v23 offset0:2 offset1:3
	ds_read2_b64 v[30:33], v23 offset0:4 offset1:5
	s_waitcnt lgkmcnt(2)
	v_add_f64 v[20:21], v[6:7], v[8:9]
	ds_read2_b64 v[6:9], v23 offset0:6 offset1:7
	s_waitcnt lgkmcnt(2)
	v_add_f64 v[20:21], v[20:21], v[26:27]
	v_add_f64 v[20:21], v[20:21], v[28:29]
	s_waitcnt lgkmcnt(1)
	v_add_f64 v[20:21], v[20:21], v[30:31]
	v_add_f64 v[20:21], v[20:21], v[32:33]
	;; [unrolled: 3-line block ×3, first 2 shown]
.LBB166_34:
	s_or_b64 exec, exec, s[16:17]
	s_lshl_b32 s28, s22, 5
	s_ashr_i32 s29, s28, 31
	v_lshl_add_u64 v[6:7], s[28:29], 3, v[4:5]
	s_mov_b64 s[16:17], 0x100
	v_lshl_add_u64 v[4:5], v[6:7], 0, s[16:17]
	s_and_b64 vcc, exec, s[30:31]
	s_barrier
	s_cbranch_vccz .LBB166_44
; %bb.35:
	v_sub_co_u32_e32 v8, vcc, v6, v0
	s_ashr_i32 s19, s18, 31
	s_nop 0
	v_subbrev_co_u32_e32 v9, vcc, 0, v7, vcc
	v_or_b32_e32 v1, 32, v2
	v_lshl_add_u64 v[8:9], s[18:19], 3, v[8:9]
	v_lshl_add_u64 v[8:9], v[8:9], 0, -8
	v_cmp_gt_i32_e32 vcc, s18, v1
	s_sub_i32 s23, s18, 32
	v_cmp_gt_i32_e64 s[16:17], s23, v10
	v_cndmask_b32_e32 v9, v9, v5, vcc
	v_cndmask_b32_e32 v8, v8, v4, vcc
	v_mov_b64_e32 v[20:21], 0
	v_mov_b64_e32 v[26:27], 0
	s_and_saveexec_b64 s[34:35], s[16:17]
	s_cbranch_execz .LBB166_37
; %bb.36:
	flat_load_dwordx2 v[26:27], v[8:9]
.LBB166_37:
	s_or_b64 exec, exec, s[34:35]
	s_movk_i32 s16, 0x108
	v_mad_u32_u24 v17, v10, s16, v0
	s_waitcnt vmcnt(0) lgkmcnt(0)
	ds_write_b64 v17, v[26:27]
	v_add_u32_e32 v17, 8, v10
	v_mul_u32_u24_e32 v1, 0x108, v10
	v_cmp_gt_i32_e64 s[16:17], s23, v17
	s_and_saveexec_b64 s[34:35], s[16:17]
	s_cbranch_execz .LBB166_39
; %bb.38:
	s_lshl_b32 s16, s22, 3
	s_ashr_i32 s17, s16, 31
	v_lshl_add_u64 v[20:21], s[16:17], 3, v[8:9]
	flat_load_dwordx2 v[20:21], v[20:21]
.LBB166_39:
	s_or_b64 exec, exec, s[34:35]
	v_add_u32_e32 v1, v1, v0
	v_add_u32_e32 v17, 16, v10
	s_waitcnt vmcnt(0) lgkmcnt(0)
	ds_write_b64 v1, v[20:21] offset:2112
	v_cmp_gt_i32_e64 s[16:17], s23, v17
	v_mov_b64_e32 v[20:21], 0
	v_mov_b64_e32 v[26:27], 0
	s_and_saveexec_b64 s[34:35], s[16:17]
	s_cbranch_execz .LBB166_41
; %bb.40:
	s_lshl_b32 s16, s22, 4
	s_ashr_i32 s17, s16, 31
	v_lshl_add_u64 v[26:27], s[16:17], 3, v[8:9]
	flat_load_dwordx2 v[26:27], v[26:27]
.LBB166_41:
	s_or_b64 exec, exec, s[34:35]
	v_add_u32_e32 v17, 24, v10
	v_cmp_gt_i32_e64 s[16:17], s23, v17
	s_waitcnt vmcnt(0) lgkmcnt(0)
	ds_write_b64 v1, v[26:27] offset:4224
	s_and_saveexec_b64 s[34:35], s[16:17]
	s_cbranch_execz .LBB166_43
; %bb.42:
	s_mul_i32 s16, s22, 24
	s_ashr_i32 s17, s16, 31
	v_lshl_add_u64 v[20:21], s[16:17], 3, v[8:9]
	flat_load_dwordx2 v[20:21], v[20:21]
.LBB166_43:
	s_or_b64 exec, exec, s[34:35]
	s_waitcnt vmcnt(0) lgkmcnt(0)
	ds_write_b64 v1, v[20:21] offset:6336
	v_mov_b32_e32 v1, 0
	v_lshl_add_u64 v[8:9], v[8:9], 0, v[0:1]
	s_lshl_b64 s[16:17], s[18:19], 3
	v_mov_b32_e32 v1, s17
	v_subrev_co_u32_e64 v8, s[16:17], s16, v8
	s_nop 1
	v_subb_co_u32_e64 v9, s[16:17], v9, v1, s[16:17]
	s_mov_b64 s[16:17], 0x108
	s_nop 0
	v_lshl_add_u64 v[8:9], v[8:9], 0, s[16:17]
	v_cndmask_b32_e32 v9, v9, v5, vcc
	v_cndmask_b32_e32 v8, v8, v4, vcc
	v_mul_u32_u24_e32 v1, 0x420, v10
	s_branch .LBB166_46
.LBB166_44:
                                        ; implicit-def: $vgpr8_vgpr9
	v_mul_u32_u24_e32 v1, 0x420, v10
	s_cbranch_execz .LBB166_46
; %bb.45:
	s_lshl_b32 s16, s22, 3
	s_ashr_i32 s17, s16, 31
	s_ashr_i32 s23, s22, 31
	v_lshl_add_u64 v[8:9], s[16:17], 3, v[6:7]
	s_lshl_b64 s[16:17], s[22:23], 6
	v_lshl_add_u64 v[20:21], v[8:9], 0, s[16:17]
	v_lshl_add_u64 v[26:27], v[20:21], 0, s[16:17]
	flat_load_dwordx2 v[28:29], v[6:7] offset:256
	flat_load_dwordx2 v[30:31], v[8:9] offset:256
	;; [unrolled: 1-line block ×4, first 2 shown]
	s_movk_i32 s16, 0x108
	v_mad_u32_u24 v6, v10, s16, v0
	v_mov_b64_e32 v[8:9], v[4:5]
	s_waitcnt vmcnt(0) lgkmcnt(0)
	ds_write_b64 v6, v[28:29]
	ds_write_b64 v6, v[30:31] offset:2112
	ds_write_b64 v6, v[32:33] offset:4224
	ds_write_b64 v6, v[34:35] offset:6336
.LBB166_46:
	v_mul_u32_u24_e32 v4, 0x108, v11
	v_add_u32_e32 v6, v0, v1
	v_lshl_add_u32 v1, v3, 3, v23
	s_waitcnt lgkmcnt(0)
	s_barrier
	s_and_saveexec_b64 s[16:17], s[6:7]
	s_cbranch_execz .LBB166_50
; %bb.47:
	ds_read_b64 v[20:21], v6
	s_waitcnt lgkmcnt(0)
	ds_write_b64 v1, v[20:21]
	s_or_b64 exec, exec, s[16:17]
	v_add_u32_e32 v7, v0, v4
	s_and_saveexec_b64 s[6:7], s[8:9]
	s_cbranch_execnz .LBB166_51
.LBB166_48:
	s_or_b64 exec, exec, s[6:7]
	s_and_saveexec_b64 s[6:7], s[10:11]
	s_cbranch_execz .LBB166_52
.LBB166_49:
	ds_read_b64 v[4:5], v7 offset:264
	s_waitcnt lgkmcnt(0)
	ds_write_b64 v1, v[4:5] offset:16
	s_or_b64 exec, exec, s[6:7]
	v_add_u32_e32 v19, 0x2380, v16
	s_and_saveexec_b64 s[6:7], s[12:13]
	s_cbranch_execnz .LBB166_53
	s_branch .LBB166_54
.LBB166_50:
	s_or_b64 exec, exec, s[16:17]
	v_add_u32_e32 v7, v0, v4
	s_and_saveexec_b64 s[6:7], s[8:9]
	s_cbranch_execz .LBB166_48
.LBB166_51:
	ds_read_b64 v[4:5], v7
	s_waitcnt lgkmcnt(0)
	ds_write_b64 v1, v[4:5] offset:8
	s_or_b64 exec, exec, s[6:7]
	s_and_saveexec_b64 s[6:7], s[10:11]
	s_cbranch_execnz .LBB166_49
.LBB166_52:
	s_or_b64 exec, exec, s[6:7]
	v_add_u32_e32 v19, 0x2380, v16
	s_and_saveexec_b64 s[6:7], s[12:13]
	s_cbranch_execz .LBB166_54
.LBB166_53:
	ds_read_b64 v[4:5], v18
	s_waitcnt lgkmcnt(0)
	ds_write_b64 v1, v[4:5] offset:24
.LBB166_54:
	s_or_b64 exec, exec, s[6:7]
	s_waitcnt lgkmcnt(0)
	s_barrier
	ds_read_b64 v[4:5], v6
	ds_read_b128 v[26:29], v19 offset:256
	ds_read2_b64 v[30:33], v7 offset1:33
	ds_read_b128 v[34:37], v19 offset:272
	ds_read_b64 v[16:17], v18
	v_cmp_eq_u32_e64 s[6:7], 1, v10
	s_waitcnt lgkmcnt(3)
	v_fma_f64 v[4:5], v[4:5], v[26:27], 0
	s_waitcnt lgkmcnt(2)
	v_fmac_f64_e32 v[4:5], v[30:31], v[28:29]
	s_waitcnt lgkmcnt(1)
	v_fmac_f64_e32 v[4:5], v[32:33], v[34:35]
	;; [unrolled: 2-line block ×3, first 2 shown]
	s_barrier
	ds_write_b64 v24, v[4:5]
	s_waitcnt lgkmcnt(0)
	s_barrier
	s_and_saveexec_b64 s[8:9], s[6:7]
	s_cbranch_execz .LBB166_56
; %bb.55:
	ds_read2_b64 v[26:29], v23 offset1:1
	ds_read2_b64 v[30:33], v23 offset0:2 offset1:3
	ds_read2_b64 v[34:37], v23 offset0:4 offset1:5
	s_waitcnt lgkmcnt(2)
	v_add_f64 v[4:5], v[26:27], v[28:29]
	ds_read2_b64 v[26:29], v23 offset0:6 offset1:7
	s_waitcnt lgkmcnt(2)
	v_add_f64 v[4:5], v[4:5], v[30:31]
	v_add_f64 v[4:5], v[4:5], v[32:33]
	s_waitcnt lgkmcnt(1)
	v_add_f64 v[4:5], v[4:5], v[34:35]
	v_add_f64 v[4:5], v[4:5], v[36:37]
	s_waitcnt lgkmcnt(0)
	v_add_f64 v[4:5], v[4:5], v[26:27]
	v_add_f64 v[52:53], v[4:5], v[28:29]
.LBB166_56:
	s_or_b64 exec, exec, s[8:9]
	s_movk_i32 s8, 0xff00
	s_mov_b32 s9, -1
	v_lshl_add_u64 v[4:5], v[8:9], 0, s[8:9]
	s_and_b64 vcc, exec, s[30:31]
	s_barrier
	s_cbranch_vccz .LBB166_66
; %bb.57:
	v_sub_co_u32_e32 v8, vcc, v4, v0
	s_ashr_i32 s19, s18, 31
	s_nop 0
	v_subbrev_co_u32_e32 v9, vcc, 0, v5, vcc
	v_lshl_add_u64 v[8:9], s[18:19], 3, v[8:9]
	v_lshl_add_u64 v[8:9], v[8:9], 0, -8
	v_cmp_gt_i32_e32 vcc, s18, v2
	s_sub_i32 s12, s18, 32
	v_cmp_gt_i32_e64 s[8:9], s12, v10
	v_cndmask_b32_e32 v3, v9, v5, vcc
	v_cndmask_b32_e32 v2, v8, v4, vcc
	v_mov_b64_e32 v[16:17], 0
	v_mov_b64_e32 v[8:9], 0
	s_and_saveexec_b64 s[10:11], s[8:9]
	s_cbranch_execz .LBB166_59
; %bb.58:
	flat_load_dwordx2 v[8:9], v[2:3]
.LBB166_59:
	s_or_b64 exec, exec, s[10:11]
	s_movk_i32 s8, 0x108
	v_mad_u32_u24 v11, v10, s8, v0
	s_waitcnt vmcnt(0) lgkmcnt(0)
	ds_write_b64 v11, v[8:9]
	v_add_u32_e32 v8, 8, v10
	v_mul_u32_u24_e32 v1, 0x108, v10
	v_cmp_gt_i32_e64 s[8:9], s12, v8
	s_and_saveexec_b64 s[10:11], s[8:9]
	s_cbranch_execz .LBB166_61
; %bb.60:
	s_lshl_b32 s8, s22, 3
	s_ashr_i32 s9, s8, 31
	v_lshl_add_u64 v[16:17], s[8:9], 3, v[2:3]
	flat_load_dwordx2 v[16:17], v[16:17]
.LBB166_61:
	s_or_b64 exec, exec, s[10:11]
	v_add_u32_e32 v1, v1, v0
	v_add_u32_e32 v9, 16, v10
	s_waitcnt vmcnt(0) lgkmcnt(0)
	ds_write_b64 v1, v[16:17] offset:2112
	v_cmp_gt_i32_e64 s[8:9], s12, v9
	v_mov_b64_e32 v[16:17], 0
	v_mov_b64_e32 v[20:21], 0
	s_and_saveexec_b64 s[10:11], s[8:9]
	s_cbranch_execz .LBB166_63
; %bb.62:
	s_lshl_b32 s8, s22, 4
	s_ashr_i32 s9, s8, 31
	v_lshl_add_u64 v[20:21], s[8:9], 3, v[2:3]
	flat_load_dwordx2 v[20:21], v[20:21]
.LBB166_63:
	s_or_b64 exec, exec, s[10:11]
	v_add_u32_e32 v11, 24, v10
	v_cmp_gt_i32_e64 s[8:9], s12, v11
	s_waitcnt vmcnt(0) lgkmcnt(0)
	ds_write_b64 v1, v[20:21] offset:4224
	s_and_saveexec_b64 s[10:11], s[8:9]
	s_cbranch_execz .LBB166_65
; %bb.64:
	s_mul_i32 s8, s22, 24
	s_ashr_i32 s9, s8, 31
	v_lshl_add_u64 v[16:17], s[8:9], 3, v[2:3]
	flat_load_dwordx2 v[16:17], v[16:17]
.LBB166_65:
	s_or_b64 exec, exec, s[10:11]
	s_waitcnt vmcnt(0) lgkmcnt(0)
	ds_write_b64 v1, v[16:17] offset:6336
	v_mov_b32_e32 v1, 0
	v_lshl_add_u64 v[2:3], v[2:3], 0, v[0:1]
	s_lshl_b64 s[8:9], s[18:19], 3
	v_mov_b32_e32 v1, s9
	v_subrev_co_u32_e64 v2, s[8:9], s8, v2
	s_nop 1
	v_subb_co_u32_e64 v3, s[8:9], v3, v1, s[8:9]
	v_lshl_add_u64 v[2:3], v[2:3], 0, 8
	v_cndmask_b32_e32 v17, v3, v5, vcc
	v_cndmask_b32_e32 v16, v2, v4, vcc
	s_branch .LBB166_68
.LBB166_66:
                                        ; implicit-def: $vgpr16_vgpr17
                                        ; implicit-def: $vgpr8
                                        ; implicit-def: $vgpr9
                                        ; implicit-def: $vgpr11
	s_cbranch_execz .LBB166_68
; %bb.67:
	s_lshl_b32 s8, s22, 3
	s_ashr_i32 s9, s8, 31
	s_ashr_i32 s23, s22, 31
	v_lshl_add_u64 v[2:3], s[8:9], 3, v[4:5]
	s_lshl_b64 s[8:9], s[22:23], 6
	v_lshl_add_u64 v[8:9], v[2:3], 0, s[8:9]
	v_lshl_add_u64 v[16:17], v[8:9], 0, s[8:9]
	flat_load_dwordx2 v[20:21], v[4:5]
	flat_load_dwordx2 v[26:27], v[2:3]
	;; [unrolled: 1-line block ×4, first 2 shown]
	s_movk_i32 s8, 0x108
	v_add_u32_e32 v8, 8, v10
	v_add_u32_e32 v9, 16, v10
	;; [unrolled: 1-line block ×3, first 2 shown]
	v_mad_u32_u24 v0, v10, s8, v0
	v_mov_b64_e32 v[16:17], v[4:5]
	s_waitcnt vmcnt(0) lgkmcnt(0)
	ds_write_b64 v0, v[20:21]
	ds_write_b64 v0, v[26:27] offset:2112
	ds_write_b64 v0, v[28:29] offset:4224
	;; [unrolled: 1-line block ×3, first 2 shown]
.LBB166_68:
	v_lshlrev_b32_e32 v0, 3, v10
	v_add_u32_e32 v1, v23, v0
	s_waitcnt lgkmcnt(0)
	s_barrier
	v_lshlrev_b32_e32 v2, 3, v8
	ds_read_b64 v[26:27], v1
	ds_read_b64 v[28:29], v2 offset:9088
	ds_read_b64 v[30:31], v0 offset:9088
	v_add_u32_e32 v0, v23, v2
	v_lshlrev_b32_e32 v1, 3, v9
	v_add_u32_e32 v2, v23, v1
	v_lshlrev_b32_e32 v3, 3, v11
	ds_read_b64 v[32:33], v0
	ds_read_b64 v[34:35], v2
	ds_read_b64 v[36:37], v3 offset:9088
	ds_read_b64 v[38:39], v1 offset:9088
	s_waitcnt lgkmcnt(4)
	v_fma_f64 v[26:27], v[26:27], v[30:31], 0
	s_waitcnt lgkmcnt(3)
	v_fmac_f64_e32 v[26:27], v[32:33], v[28:29]
	v_add_u32_e32 v0, v23, v3
	ds_read_b64 v[40:41], v0
	ds_read_b64 v[20:21], v6
	ds_read_b128 v[8:11], v19 offset:256
	ds_read_b128 v[0:3], v19 offset:272
	ds_read2_b64 v[4:7], v7 offset1:33
	ds_read_b64 v[18:19], v18
	s_waitcnt lgkmcnt(6)
	v_fmac_f64_e32 v[26:27], v[34:35], v[38:39]
	s_waitcnt lgkmcnt(5)
	v_fmac_f64_e32 v[26:27], v[40:41], v[36:37]
	s_waitcnt lgkmcnt(0)
	s_barrier
	ds_write_b64 v24, v[26:27]
	s_waitcnt lgkmcnt(0)
	s_barrier
	s_and_saveexec_b64 s[8:9], s[6:7]
	s_cbranch_execz .LBB166_70
; %bb.69:
	ds_read2_b64 v[26:29], v23 offset1:1
	ds_read2_b64 v[30:33], v23 offset0:2 offset1:3
	ds_read2_b64 v[34:37], v23 offset0:4 offset1:5
	s_waitcnt lgkmcnt(2)
	v_add_f64 v[26:27], v[52:53], v[26:27]
	v_add_f64 v[38:39], v[26:27], v[28:29]
	ds_read2_b64 v[26:29], v23 offset0:6 offset1:7
	s_waitcnt lgkmcnt(2)
	v_add_f64 v[30:31], v[38:39], v[30:31]
	v_add_f64 v[30:31], v[30:31], v[32:33]
	s_waitcnt lgkmcnt(1)
	v_add_f64 v[30:31], v[30:31], v[34:35]
	v_add_f64 v[30:31], v[30:31], v[36:37]
	;; [unrolled: 3-line block ×3, first 2 shown]
.LBB166_70:
	s_or_b64 exec, exec, s[8:9]
	v_fma_f64 v[8:9], v[20:21], v[8:9], 0
	v_fmac_f64_e32 v[8:9], v[4:5], v[10:11]
	v_fmac_f64_e32 v[8:9], v[6:7], v[0:1]
	;; [unrolled: 1-line block ×3, first 2 shown]
	s_barrier
	ds_write_b64 v24, v[8:9]
	s_waitcnt lgkmcnt(0)
	s_barrier
	s_and_saveexec_b64 s[6:7], s[4:5]
	s_cbranch_execz .LBB166_72
; %bb.71:
	ds_read2_b64 v[0:3], v23 offset1:1
	ds_read2_b64 v[4:7], v23 offset0:2 offset1:3
	ds_read2_b64 v[8:11], v23 offset0:4 offset1:5
	s_waitcnt lgkmcnt(2)
	v_add_f64 v[0:1], v[52:53], v[0:1]
	v_add_f64 v[18:19], v[0:1], v[2:3]
	ds_read2_b64 v[0:3], v23 offset0:6 offset1:7
	s_waitcnt lgkmcnt(2)
	v_add_f64 v[4:5], v[18:19], v[4:5]
	v_add_f64 v[4:5], v[4:5], v[6:7]
	s_waitcnt lgkmcnt(1)
	v_add_f64 v[4:5], v[4:5], v[8:9]
	v_add_f64 v[4:5], v[4:5], v[10:11]
	;; [unrolled: 3-line block ×3, first 2 shown]
.LBB166_72:
	s_or_b64 exec, exec, s[6:7]
	s_load_dwordx2 s[0:1], s[0:1], 0x68
	s_mul_hi_u32 s4, s36, s24
	s_mul_i32 s37, s37, s24
	s_add_i32 s4, s4, s37
	s_mul_i32 s6, s36, s24
	s_mul_i32 s4, s4, s3
	s_mul_hi_u32 s5, s6, s3
	s_add_i32 s5, s5, s4
	s_mul_i32 s4, s6, s3
	s_lshl_b64 s[4:5], s[4:5], 3
	s_waitcnt lgkmcnt(0)
	s_add_u32 s4, s0, s4
	s_addc_u32 s5, s1, s5
	s_mul_hi_i32 s1, s36, s2
	s_mul_i32 s0, s36, s2
	s_lshl_b64 s[0:1], s[0:1], 3
	s_add_u32 s6, s4, s0
	s_addc_u32 s7, s5, s1
	s_add_i32 s8, s2, 1
	s_cmp_ge_u32 s8, s3
	v_lshlrev_b32_e32 v51, 3, v50
	s_barrier
	s_cbranch_scc1 .LBB166_129
; %bb.73:
	s_mul_i32 s0, s33, s26
	s_ashr_i32 s1, s0, 31
	s_lshl_b64 s[0:1], s[0:1], 3
	v_lshrrev_b32_e32 v2, 4, v22
	v_mov_b32_e32 v4, 0x2180
	v_lshlrev_b32_e32 v144, 2, v49
	v_mov_b32_e32 v0, s1
	v_subrev_co_u32_e32 v54, vcc, s0, v14
	v_lshl_add_u32 v145, v49, 5, v4
	v_lshlrev_b32_e32 v4, 5, v2
	v_mul_i32_i24_e32 v6, 0xffffffe8, v2
	v_and_b32_e32 v2, 48, v50
	v_subb_co_u32_e32 v55, vcc, v15, v0, vcc
	v_and_b32_e32 v3, 15, v50
	v_mad_u64_u32 v[0:1], s[0:1], s22, v144, v[50:51]
	s_movk_i32 s10, 0x218
	v_lshlrev_b32_e32 v2, 3, v2
	v_ashrrev_i32_e32 v1, 31, v0
	v_mad_u32_u24 v147, v3, s10, v2
	v_or_b32_e32 v2, 0x78, v51
	s_lshl_b32 s24, s33, 6
	v_mad_u32_u24 v146, v3, s10, v4
	s_lshl_b32 s4, s22, 4
	v_mad_u32_u24 v148, v3, s10, v2
	s_ashr_i32 s23, s22, 31
	s_lshl_b32 s26, s22, 1
	s_mul_i32 s30, s22, 3
	s_mul_i32 s33, s33, s8
	v_lshlrev_b64 v[2:3], 3, v[0:1]
	s_lshl_b64 s[12:13], s[28:29], 3
	s_add_i32 s19, s3, -2
	s_ashr_i32 s5, s4, 31
	s_ashr_i32 s27, s26, 31
	;; [unrolled: 1-line block ×3, first 2 shown]
	s_lshl_b64 s[16:17], s[22:23], 3
	s_lshl_b32 s8, s33, 6
	v_lshlrev_b64 v[4:5], 3, v[12:13]
	s_lshl_b64 s[34:35], s[22:23], 4
	v_mad_i64_i32 v[62:63], s[38:39], v12, -8, v[2:3]
	v_lshl_add_u64 v[2:3], s[28:29], 0, v[0:1]
	v_sub_co_u32_e32 v58, vcc, 0, v4
	s_add_u32 s36, s34, s12
	v_lshlrev_b64 v[2:3], 3, v[2:3]
	v_subb_co_u32_e32 v59, vcc, 0, v5, vcc
	s_addc_u32 s37, s35, s13
	s_lshl_b64 s[10:11], s[4:5], 5
	v_mad_i64_i32 v[4:5], s[38:39], s22, 24, v[2:3]
	s_add_u32 s38, s16, s12
	s_addc_u32 s39, s17, s13
	s_lshl_b64 s[26:27], s[26:27], 3
	s_add_u32 s40, s12, s26
	s_addc_u32 s41, s13, s27
	s_lshl_b64 s[30:31], s[30:31], 3
	v_lshl_add_u64 v[68:69], v[16:17], 0, s[40:41]
	s_add_u32 s40, s12, s30
	s_addc_u32 s41, s13, s31
	v_lshl_add_u64 v[70:71], v[16:17], 0, s[40:41]
	s_lshl_b64 s[40:41], s[4:5], 3
	s_add_u32 s42, s36, s40
	s_addc_u32 s43, s37, s41
	s_add_u32 s28, s28, s4
	s_addc_u32 s29, s29, s5
	v_lshl_add_u64 v[0:1], s[28:29], 0, v[0:1]
	v_lshlrev_b64 v[0:1], 3, v[0:1]
	v_mad_i64_i32 v[0:1], s[28:29], s22, 24, v[0:1]
	s_add_u32 s28, s38, s40
	s_addc_u32 s29, s39, s41
	v_lshl_add_u64 v[76:77], v[16:17], 0, s[28:29]
	s_add_u32 s28, s12, s40
	s_addc_u32 s29, s13, s41
	v_lshl_add_u64 v[66:67], v[16:17], 0, s[38:39]
	;; [unrolled: 3-line block ×4, first 2 shown]
	s_lshl_b64 s[28:29], s[4:5], 4
	v_lshl_add_u64 v[60:61], v[16:17], 0, s[36:37]
	s_add_u32 s36, s36, s28
	s_mul_i32 s44, s22, 24
	s_addc_u32 s37, s37, s29
	s_mul_hi_i32 s33, s22, 24
	v_lshl_add_u64 v[84:85], v[16:17], 0, s[36:37]
	s_add_u32 s36, s44, s28
	s_addc_u32 s37, s33, s29
	v_lshl_add_u64 v[56:57], v[16:17], 0, s[12:13]
	s_add_u32 s12, s28, s12
	s_addc_u32 s13, s29, s13
	s_add_u32 s28, s12, s16
	s_addc_u32 s29, s13, s17
	v_lshl_add_u64 v[74:75], v[16:17], 0, v[0:1]
	v_lshl_add_u64 v[0:1], s[36:37], 0, v[2:3]
	s_add_u32 s36, s12, s26
	s_addc_u32 s37, s13, s27
	v_lshl_add_u64 v[80:81], v[16:17], 0, s[38:39]
	s_add_u32 s38, s12, s30
	s_addc_u32 s39, s13, s31
	s_mul_i32 s33, s22, 0x180
	s_mul_hi_i32 s40, s4, 24
	s_add_u32 s34, s33, s34
	s_addc_u32 s35, s40, s35
	v_lshl_add_u64 v[86:87], v[16:17], 0, v[0:1]
	v_lshl_add_u64 v[0:1], s[34:35], 0, v[2:3]
	s_add_u32 s22, s22, s4
	v_lshl_add_u64 v[88:89], v[16:17], 0, v[0:1]
	s_addc_u32 s5, s23, s5
	v_mad_u64_u32 v[0:1], s[22:23], s22, 24, v[2:3]
	v_lshl_add_u64 v[64:65], v[16:17], 0, v[4:5]
	v_mov_b32_e32 v4, v1
	v_mad_u64_u32 v[4:5], s[22:23], s5, 24, v[4:5]
	v_mov_b32_e32 v1, v4
	v_lshl_add_u64 v[90:91], v[16:17], 0, v[0:1]
	v_mad_i64_i32 v[0:1], s[4:5], s4, 24, v[2:3]
	v_lshl_add_u64 v[2:3], v[0:1], 0, s[16:17]
	s_movk_i32 s9, 0x860
	v_lshl_add_u64 v[92:93], v[16:17], 0, v[2:3]
	v_lshl_add_u64 v[94:95], v[16:17], 0, v[0:1]
	;; [unrolled: 1-line block ×4, first 2 shown]
	v_cmp_gt_u32_e64 s[0:1], 64, v22
	v_lshl_add_u64 v[72:73], v[16:17], 0, s[42:43]
	v_lshl_add_u64 v[96:97], v[16:17], 0, v[2:3]
	v_lshl_add_u64 v[98:99], v[16:17], 0, v[0:1]
	v_lshl_add_u64 v[100:101], v[16:17], 0, s[28:29]
	v_lshl_add_u64 v[102:103], v[16:17], 0, s[12:13]
	v_lshl_add_u64 v[104:105], v[16:17], 0, s[36:37]
	v_lshl_add_u64 v[106:107], v[16:17], 0, s[38:39]
	v_add_u32_e32 v149, v146, v6
	v_add_u32_e32 v150, 0x2380, v51
	v_mad_u32_u24 v151, v49, s9, v51
	v_or_b32_e32 v152, 3, v144
	v_add_u32_e32 v153, 16, v144
	v_add_u32_e32 v154, 17, v144
	v_add_u32_e32 v155, 18, v144
	v_add_u32_e32 v156, 19, v144
	v_add_u32_e32 v157, 32, v144
	v_add_u32_e32 v158, 33, v144
	v_add_u32_e32 v159, 34, v144
	v_add_u32_e32 v160, 35, v144
	v_add_u32_e32 v161, 48, v144
	v_add_u32_e32 v162, 49, v144
	v_add_u32_e32 v163, 50, v144
	v_add_u32_e32 v164, 51, v144
	v_add_u32_e32 v108, 64, v48
	s_cmp_eq_u32 s19, s2
	s_cselect_b32 s22, s25, 0
	s_and_saveexec_b64 s[4:5], s[14:15]
	s_cbranch_execz .LBB166_78
	s_branch .LBB166_75
.LBB166_74:                             ;   in Loop: Header=BB166_78 Depth=1
	s_mov_b32 s2, s4
	s_cmp_eq_u32 s19, s2
	s_cselect_b32 s22, s25, 0
	s_and_saveexec_b64 s[4:5], s[14:15]
	s_cbranch_execz .LBB166_78
.LBB166_75:
	s_cmp_eq_u32 s22, 0
	s_cselect_b64 s[12:13], -1, 0
	v_cmp_gt_i32_e32 vcc, s22, v50
	s_or_b64 s[16:17], s[12:13], vcc
	v_mov_b64_e32 v[0:1], 0
	s_and_saveexec_b64 s[12:13], s[16:17]
	s_cbranch_execz .LBB166_77
; %bb.76:
	s_ashr_i32 s9, s8, 31
	v_lshl_add_u64 v[0:1], s[8:9], 3, v[54:55]
	flat_load_dwordx2 v[0:1], v[0:1]
.LBB166_77:
	s_or_b64 exec, exec, s[12:13]
	v_add_u32_e32 v2, 0x2180, v51
	s_waitcnt vmcnt(0) lgkmcnt(0)
	ds_write_b64 v2, v[0:1]
.LBB166_78:                             ; =>This Inner Loop Header: Depth=1
	s_or_b64 exec, exec, s[4:5]
	s_cmp_eq_u32 s22, 0
	s_cselect_b64 s[12:13], -1, 0
	s_cmp_lg_u32 s22, 0
	s_cselect_b64 s[16:17], -1, 0
	v_lshl_add_u64 v[0:1], v[56:57], 0, v[62:63]
	s_mov_b64 s[4:5], -1
	s_and_b64 vcc, exec, s[16:17]
	s_waitcnt lgkmcnt(0)
	s_barrier
                                        ; implicit-def: $vgpr114_vgpr115
                                        ; implicit-def: $vgpr116_vgpr117
                                        ; implicit-def: $vgpr110_vgpr111
                                        ; implicit-def: $vgpr112_vgpr113
	s_cbranch_vccz .LBB166_88
; %bb.79:                               ;   in Loop: Header=BB166_78 Depth=1
	v_cmp_gt_i32_e32 vcc, s22, v144
	v_mov_b64_e32 v[110:111], 0
	v_mov_b64_e32 v[112:113], 0
	s_and_saveexec_b64 s[4:5], vcc
	s_cbranch_execz .LBB166_81
; %bb.80:                               ;   in Loop: Header=BB166_78 Depth=1
	flat_load_dwordx2 v[112:113], v[0:1]
.LBB166_81:                             ;   in Loop: Header=BB166_78 Depth=1
	s_or_b64 exec, exec, s[4:5]
	v_or_b32_e32 v2, 1, v144
	v_cmp_gt_i32_e32 vcc, s22, v2
	s_and_saveexec_b64 s[4:5], vcc
	s_cbranch_execz .LBB166_83
; %bb.82:                               ;   in Loop: Header=BB166_78 Depth=1
	v_lshl_add_u64 v[2:3], v[66:67], 0, v[62:63]
	flat_load_dwordx2 v[110:111], v[2:3]
.LBB166_83:                             ;   in Loop: Header=BB166_78 Depth=1
	s_or_b64 exec, exec, s[4:5]
	v_or_b32_e32 v2, 2, v144
	v_cmp_gt_i32_e32 vcc, s22, v2
	v_mov_b64_e32 v[114:115], 0
	v_mov_b64_e32 v[116:117], 0
	s_and_saveexec_b64 s[4:5], vcc
	s_cbranch_execz .LBB166_85
; %bb.84:                               ;   in Loop: Header=BB166_78 Depth=1
	v_lshl_add_u64 v[2:3], v[68:69], 0, v[62:63]
	flat_load_dwordx2 v[116:117], v[2:3]
.LBB166_85:                             ;   in Loop: Header=BB166_78 Depth=1
	s_or_b64 exec, exec, s[4:5]
	v_cmp_gt_i32_e32 vcc, s22, v152
	s_and_saveexec_b64 s[4:5], vcc
	s_cbranch_execz .LBB166_87
; %bb.86:                               ;   in Loop: Header=BB166_78 Depth=1
	v_lshl_add_u64 v[2:3], v[70:71], 0, v[62:63]
	flat_load_dwordx2 v[114:115], v[2:3]
.LBB166_87:                             ;   in Loop: Header=BB166_78 Depth=1
	s_or_b64 exec, exec, s[4:5]
	s_mov_b64 s[4:5], 0
.LBB166_88:                             ;   in Loop: Header=BB166_78 Depth=1
	s_and_b64 vcc, exec, s[4:5]
	s_cbranch_vccz .LBB166_90
; %bb.89:                               ;   in Loop: Header=BB166_78 Depth=1
	s_waitcnt vmcnt(0) lgkmcnt(0)
	flat_load_dwordx2 v[112:113], v[0:1]
	v_lshl_add_u64 v[0:1], v[66:67], 0, v[62:63]
	flat_load_dwordx2 v[110:111], v[0:1]
	v_lshl_add_u64 v[0:1], v[60:61], 0, v[62:63]
	;; [unrolled: 2-line block ×3, first 2 shown]
	flat_load_dwordx2 v[114:115], v[0:1]
.LBB166_90:                             ;   in Loop: Header=BB166_78 Depth=1
	ds_read_b64 v[8:9], v150
	ds_read_b128 v[4:7], v145
	ds_read_b128 v[0:3], v145 offset:16
	s_andn2_b64 vcc, exec, s[16:17]
                                        ; implicit-def: $vgpr122_vgpr123
                                        ; implicit-def: $vgpr124_vgpr125
                                        ; implicit-def: $vgpr118_vgpr119
                                        ; implicit-def: $vgpr120_vgpr121
	s_waitcnt vmcnt(0) lgkmcnt(0)
	v_mul_f64 v[10:11], v[112:113], v[8:9]
	v_mul_f64 v[12:13], v[110:111], v[8:9]
	;; [unrolled: 1-line block ×4, first 2 shown]
	ds_write2_b64 v151, v[10:11], v[12:13] offset1:67
	ds_write2_b64 v151, v[14:15], v[8:9] offset0:134 offset1:201
	s_waitcnt lgkmcnt(0)
	s_barrier
	ds_read2_b64 v[20:23], v146 offset1:1
	ds_read2_b64 v[16:19], v146 offset0:2 offset1:3
	v_cndmask_b32_e64 v10, 0, 1, s[16:17]
	v_lshl_add_u64 v[8:9], v[78:79], 0, v[62:63]
	v_cmp_ne_u32_e64 s[4:5], 1, v10
	s_mov_b64 s[16:17], -1
	s_waitcnt lgkmcnt(0)
	s_barrier
	s_cbranch_vccnz .LBB166_100
; %bb.91:                               ;   in Loop: Header=BB166_78 Depth=1
	v_cmp_gt_i32_e32 vcc, s22, v153
	v_mov_b64_e32 v[118:119], 0
	v_mov_b64_e32 v[120:121], 0
	s_and_saveexec_b64 s[16:17], vcc
	s_cbranch_execz .LBB166_93
; %bb.92:                               ;   in Loop: Header=BB166_78 Depth=1
	flat_load_dwordx2 v[120:121], v[8:9]
.LBB166_93:                             ;   in Loop: Header=BB166_78 Depth=1
	s_or_b64 exec, exec, s[16:17]
	v_cmp_gt_i32_e32 vcc, s22, v154
	s_and_saveexec_b64 s[16:17], vcc
	s_cbranch_execz .LBB166_95
; %bb.94:                               ;   in Loop: Header=BB166_78 Depth=1
	v_lshl_add_u64 v[10:11], v[76:77], 0, v[62:63]
	flat_load_dwordx2 v[118:119], v[10:11]
.LBB166_95:                             ;   in Loop: Header=BB166_78 Depth=1
	s_or_b64 exec, exec, s[16:17]
	v_cmp_gt_i32_e32 vcc, s22, v155
	v_mov_b64_e32 v[122:123], 0
	v_mov_b64_e32 v[124:125], 0
	s_and_saveexec_b64 s[16:17], vcc
	s_cbranch_execz .LBB166_97
; %bb.96:                               ;   in Loop: Header=BB166_78 Depth=1
	v_lshl_add_u64 v[10:11], v[80:81], 0, v[62:63]
	flat_load_dwordx2 v[124:125], v[10:11]
.LBB166_97:                             ;   in Loop: Header=BB166_78 Depth=1
	s_or_b64 exec, exec, s[16:17]
	v_cmp_gt_i32_e32 vcc, s22, v156
	s_and_saveexec_b64 s[16:17], vcc
	s_cbranch_execz .LBB166_99
; %bb.98:                               ;   in Loop: Header=BB166_78 Depth=1
	v_lshl_add_u64 v[10:11], v[82:83], 0, v[62:63]
	flat_load_dwordx2 v[122:123], v[10:11]
.LBB166_99:                             ;   in Loop: Header=BB166_78 Depth=1
	s_or_b64 exec, exec, s[16:17]
	s_mov_b64 s[16:17], 0
.LBB166_100:                            ;   in Loop: Header=BB166_78 Depth=1
	s_and_b64 vcc, exec, s[16:17]
	s_cbranch_vccz .LBB166_102
; %bb.101:                              ;   in Loop: Header=BB166_78 Depth=1
	s_waitcnt vmcnt(0) lgkmcnt(0)
	flat_load_dwordx2 v[120:121], v[8:9]
	v_lshl_add_u64 v[8:9], v[76:77], 0, v[62:63]
	flat_load_dwordx2 v[118:119], v[8:9]
	v_lshl_add_u64 v[8:9], v[72:73], 0, v[62:63]
	;; [unrolled: 2-line block ×3, first 2 shown]
	flat_load_dwordx2 v[122:123], v[8:9]
.LBB166_102:                            ;   in Loop: Header=BB166_78 Depth=1
	ds_read_b64 v[24:25], v150
	ds_read_b128 v[12:15], v145 offset:128
	ds_read_b128 v[8:11], v145 offset:144
	s_and_b64 vcc, exec, s[4:5]
	s_mov_b64 s[16:17], -1
	s_waitcnt vmcnt(0) lgkmcnt(0)
	v_mul_f64 v[26:27], v[120:121], v[24:25]
	v_mul_f64 v[28:29], v[118:119], v[24:25]
	;; [unrolled: 1-line block ×4, first 2 shown]
	ds_write2_b64 v151, v[26:27], v[28:29] offset1:67
	ds_write2_b64 v151, v[30:31], v[24:25] offset0:134 offset1:201
	s_waitcnt lgkmcnt(0)
	s_barrier
	ds_read2_b64 v[36:39], v146 offset1:1
	ds_read2_b64 v[32:35], v146 offset0:2 offset1:3
	v_lshl_add_u64 v[24:25], v[102:103], 0, v[62:63]
	s_waitcnt lgkmcnt(0)
	s_barrier
                                        ; implicit-def: $vgpr130_vgpr131
                                        ; implicit-def: $vgpr132_vgpr133
                                        ; implicit-def: $vgpr126_vgpr127
                                        ; implicit-def: $vgpr128_vgpr129
	s_cbranch_vccnz .LBB166_112
; %bb.103:                              ;   in Loop: Header=BB166_78 Depth=1
	v_cmp_gt_i32_e32 vcc, s22, v157
	v_mov_b64_e32 v[126:127], 0
	v_mov_b64_e32 v[128:129], 0
	s_and_saveexec_b64 s[16:17], vcc
	s_cbranch_execz .LBB166_105
; %bb.104:                              ;   in Loop: Header=BB166_78 Depth=1
	flat_load_dwordx2 v[128:129], v[24:25]
.LBB166_105:                            ;   in Loop: Header=BB166_78 Depth=1
	s_or_b64 exec, exec, s[16:17]
	v_cmp_gt_i32_e32 vcc, s22, v158
	s_and_saveexec_b64 s[16:17], vcc
	s_cbranch_execz .LBB166_107
; %bb.106:                              ;   in Loop: Header=BB166_78 Depth=1
	v_lshl_add_u64 v[26:27], v[100:101], 0, v[62:63]
	flat_load_dwordx2 v[126:127], v[26:27]
.LBB166_107:                            ;   in Loop: Header=BB166_78 Depth=1
	s_or_b64 exec, exec, s[16:17]
	v_cmp_gt_i32_e32 vcc, s22, v159
	v_mov_b64_e32 v[130:131], 0
	v_mov_b64_e32 v[132:133], 0
	s_and_saveexec_b64 s[16:17], vcc
	s_cbranch_execz .LBB166_109
; %bb.108:                              ;   in Loop: Header=BB166_78 Depth=1
	v_lshl_add_u64 v[26:27], v[104:105], 0, v[62:63]
	flat_load_dwordx2 v[132:133], v[26:27]
.LBB166_109:                            ;   in Loop: Header=BB166_78 Depth=1
	s_or_b64 exec, exec, s[16:17]
	v_cmp_gt_i32_e32 vcc, s22, v160
	s_and_saveexec_b64 s[16:17], vcc
	s_cbranch_execz .LBB166_111
; %bb.110:                              ;   in Loop: Header=BB166_78 Depth=1
	v_lshl_add_u64 v[26:27], v[106:107], 0, v[62:63]
	flat_load_dwordx2 v[130:131], v[26:27]
.LBB166_111:                            ;   in Loop: Header=BB166_78 Depth=1
	s_or_b64 exec, exec, s[16:17]
	s_mov_b64 s[16:17], 0
.LBB166_112:                            ;   in Loop: Header=BB166_78 Depth=1
	s_and_b64 vcc, exec, s[16:17]
	s_cbranch_vccz .LBB166_114
; %bb.113:                              ;   in Loop: Header=BB166_78 Depth=1
	s_waitcnt vmcnt(0) lgkmcnt(0)
	flat_load_dwordx2 v[128:129], v[24:25]
	v_lshl_add_u64 v[24:25], v[100:101], 0, v[62:63]
	flat_load_dwordx2 v[126:127], v[24:25]
	v_lshl_add_u64 v[24:25], v[84:85], 0, v[62:63]
	flat_load_dwordx2 v[132:133], v[24:25]
	v_lshl_add_u64 v[24:25], v[86:87], 0, v[58:59]
	flat_load_dwordx2 v[130:131], v[24:25]
.LBB166_114:                            ;   in Loop: Header=BB166_78 Depth=1
	ds_read_b64 v[40:41], v150
	ds_read_b128 v[28:31], v145 offset:256
	ds_read_b128 v[24:27], v145 offset:272
	v_lshl_add_u64 v[142:143], v[94:95], 0, v[58:59]
	s_and_b64 vcc, exec, s[4:5]
	s_waitcnt vmcnt(0) lgkmcnt(0)
	v_mul_f64 v[42:43], v[128:129], v[40:41]
	v_mul_f64 v[44:45], v[126:127], v[40:41]
	;; [unrolled: 1-line block ×4, first 2 shown]
	ds_write2_b64 v151, v[42:43], v[44:45] offset1:67
	ds_write2_b64 v151, v[46:47], v[40:41] offset0:134 offset1:201
	s_waitcnt lgkmcnt(0)
	s_barrier
	ds_read2_b64 v[44:47], v146 offset1:1
	ds_read2_b64 v[40:43], v146 offset0:2 offset1:3
	s_mov_b64 s[4:5], -1
	s_waitcnt lgkmcnt(0)
	s_barrier
                                        ; implicit-def: $vgpr138_vgpr139
                                        ; implicit-def: $vgpr140_vgpr141
                                        ; implicit-def: $vgpr134_vgpr135
                                        ; implicit-def: $vgpr136_vgpr137
	s_cbranch_vccnz .LBB166_124
; %bb.115:                              ;   in Loop: Header=BB166_78 Depth=1
	v_cmp_gt_i32_e32 vcc, s22, v161
	v_mov_b64_e32 v[134:135], 0
	v_mov_b64_e32 v[136:137], 0
	s_and_saveexec_b64 s[4:5], vcc
	s_cbranch_execz .LBB166_117
; %bb.116:                              ;   in Loop: Header=BB166_78 Depth=1
	flat_load_dwordx2 v[136:137], v[142:143]
.LBB166_117:                            ;   in Loop: Header=BB166_78 Depth=1
	s_or_b64 exec, exec, s[4:5]
	v_cmp_gt_i32_e32 vcc, s22, v162
	s_and_saveexec_b64 s[4:5], vcc
	s_cbranch_execz .LBB166_119
; %bb.118:                              ;   in Loop: Header=BB166_78 Depth=1
	v_lshl_add_u64 v[134:135], v[92:93], 0, v[58:59]
	flat_load_dwordx2 v[134:135], v[134:135]
.LBB166_119:                            ;   in Loop: Header=BB166_78 Depth=1
	s_or_b64 exec, exec, s[4:5]
	v_cmp_gt_i32_e32 vcc, s22, v163
	v_mov_b64_e32 v[138:139], 0
	v_mov_b64_e32 v[140:141], 0
	s_and_saveexec_b64 s[4:5], vcc
	s_cbranch_execz .LBB166_121
; %bb.120:                              ;   in Loop: Header=BB166_78 Depth=1
	v_lshl_add_u64 v[140:141], v[96:97], 0, v[58:59]
	flat_load_dwordx2 v[140:141], v[140:141]
.LBB166_121:                            ;   in Loop: Header=BB166_78 Depth=1
	s_or_b64 exec, exec, s[4:5]
	v_cmp_gt_i32_e32 vcc, s22, v164
	s_and_saveexec_b64 s[4:5], vcc
	s_cbranch_execz .LBB166_123
; %bb.122:                              ;   in Loop: Header=BB166_78 Depth=1
	v_lshl_add_u64 v[138:139], v[98:99], 0, v[58:59]
	flat_load_dwordx2 v[138:139], v[138:139]
.LBB166_123:                            ;   in Loop: Header=BB166_78 Depth=1
	s_or_b64 exec, exec, s[4:5]
	s_mov_b64 s[4:5], 0
.LBB166_124:                            ;   in Loop: Header=BB166_78 Depth=1
	s_and_b64 vcc, exec, s[4:5]
	s_cbranch_vccz .LBB166_126
; %bb.125:                              ;   in Loop: Header=BB166_78 Depth=1
	s_waitcnt vmcnt(0) lgkmcnt(0)
	v_lshl_add_u64 v[138:139], v[88:89], 0, v[58:59]
	v_lshl_add_u64 v[134:135], v[92:93], 0, v[58:59]
	flat_load_dwordx2 v[140:141], v[138:139]
	v_lshl_add_u64 v[138:139], v[90:91], 0, v[58:59]
	flat_load_dwordx2 v[136:137], v[142:143]
	s_nop 0
	flat_load_dwordx2 v[134:135], v[134:135]
	s_nop 0
	flat_load_dwordx2 v[138:139], v[138:139]
.LBB166_126:                            ;   in Loop: Header=BB166_78 Depth=1
	v_add_f64 v[44:45], v[44:45], 0
	v_add_f64 v[44:45], v[44:45], v[46:47]
	;; [unrolled: 1-line block ×4, first 2 shown]
	ds_read_b64 v[40:41], v150
	v_add_f64 v[36:37], v[36:37], 0
	v_add_f64 v[36:37], v[36:37], v[38:39]
	;; [unrolled: 1-line block ×4, first 2 shown]
	s_waitcnt vmcnt(0) lgkmcnt(0)
	v_mul_f64 v[42:43], v[136:137], v[40:41]
	v_mul_f64 v[142:143], v[134:135], v[40:41]
	ds_read_b128 v[36:39], v145 offset:384
	ds_read_b128 v[32:35], v145 offset:400
	ds_write2_b64 v151, v[42:43], v[142:143] offset1:67
	v_mul_f64 v[42:43], v[140:141], v[40:41]
	v_mul_f64 v[40:41], v[138:139], v[40:41]
	ds_write2_b64 v151, v[42:43], v[40:41] offset0:134 offset1:201
	s_waitcnt lgkmcnt(0)
	s_barrier
	ds_read2_b64 v[40:43], v146 offset1:1
	v_add_f64 v[20:21], v[20:21], 0
	v_add_f64 v[142:143], v[20:21], v[22:23]
	ds_read2_b64 v[20:23], v146 offset0:2 offset1:3
	v_add_f64 v[16:17], v[142:143], v[16:17]
	v_add_f64 v[16:17], v[16:17], v[18:19]
	s_waitcnt lgkmcnt(1)
	v_add_f64 v[18:19], v[40:41], 0
	v_cmp_gt_i32_e32 vcc, s22, v50
	v_add_f64 v[18:19], v[18:19], v[42:43]
	s_or_b64 s[4:5], s[12:13], vcc
	s_waitcnt lgkmcnt(0)
	v_add_f64 v[18:19], v[18:19], v[20:21]
	s_and_b64 s[12:13], s[0:1], s[4:5]
	v_add_f64 v[18:19], v[18:19], v[22:23]
	s_barrier
	ds_write2_b64 v149, v[16:17], v[46:47] offset1:16
	ds_write2_b64 v149, v[44:45], v[18:19] offset0:32 offset1:48
	s_waitcnt lgkmcnt(0)
	s_barrier
	s_and_saveexec_b64 s[4:5], s[12:13]
	s_cbranch_execz .LBB166_128
; %bb.127:                              ;   in Loop: Header=BB166_78 Depth=1
	ds_read2_b64 v[16:19], v147 offset1:1
	ds_read2_b64 v[20:23], v147 offset0:2 offset1:3
	ds_read2_b64 v[40:43], v147 offset0:4 offset1:5
	;; [unrolled: 1-line block ×4, first 2 shown]
	s_waitcnt lgkmcnt(4)
	v_add_f64 v[16:17], v[16:17], v[18:19]
	s_waitcnt lgkmcnt(3)
	v_add_f64 v[16:17], v[16:17], v[20:21]
	v_add_f64 v[16:17], v[16:17], v[22:23]
	s_waitcnt lgkmcnt(2)
	v_add_f64 v[16:17], v[16:17], v[40:41]
	;; [unrolled: 3-line block ×3, first 2 shown]
	ds_read2_b64 v[16:19], v147 offset0:10 offset1:11
	v_add_f64 v[20:21], v[20:21], v[46:47]
	s_waitcnt lgkmcnt(1)
	v_add_f64 v[20:21], v[20:21], v[166:167]
	v_add_f64 v[40:41], v[20:21], v[168:169]
	ds_read2_b64 v[20:23], v147 offset0:12 offset1:13
	s_waitcnt lgkmcnt(1)
	v_add_f64 v[16:17], v[40:41], v[16:17]
	ds_read_b64 v[40:41], v147 offset:112
	ds_read_b64 v[42:43], v148
	v_add_f64 v[16:17], v[16:17], v[18:19]
	v_ashrrev_i32_e32 v109, 31, v108
	s_waitcnt lgkmcnt(2)
	v_add_f64 v[16:17], v[16:17], v[20:21]
	v_add_f64 v[16:17], v[16:17], v[22:23]
	s_waitcnt lgkmcnt(1)
	v_add_f64 v[16:17], v[16:17], v[40:41]
	s_waitcnt lgkmcnt(0)
	v_add_f64 v[16:17], v[16:17], v[42:43]
	v_lshl_add_u64 v[18:19], v[108:109], 3, s[6:7]
	global_store_dwordx2 v[18:19], v[16:17], off
.LBB166_128:                            ;   in Loop: Header=BB166_78 Depth=1
	s_or_b64 exec, exec, s[4:5]
	v_fmac_f64_e32 v[52:53], v[112:113], v[4:5]
	v_fmac_f64_e32 v[52:53], v[110:111], v[6:7]
	;; [unrolled: 1-line block ×15, first 2 shown]
	s_add_i32 s4, s2, 1
	s_add_i32 s8, s8, s24
	;; [unrolled: 1-line block ×3, first 2 shown]
	v_fmac_f64_e32 v[52:53], v[138:139], v[34:35]
	v_add_u32_e32 v108, 64, v108
	v_lshl_add_u64 v[60:61], v[60:61], 0, s[10:11]
	v_lshl_add_u64 v[64:65], v[64:65], 0, s[10:11]
	;; [unrolled: 1-line block ×23, first 2 shown]
	s_cmp_ge_u32 s2, s3
	v_lshl_add_u64 v[98:99], v[98:99], 0, s[10:11]
	s_barrier
	s_cbranch_scc0 .LBB166_74
.LBB166_129:
	s_movk_i32 s0, 0x218
	v_cmp_gt_i32_e32 vcc, s18, v50
	v_mad_u32_u24 v0, v49, s0, v51
	s_or_b64 s[0:1], s[20:21], vcc
	s_and_b64 s[0:1], s[14:15], s[0:1]
	ds_write_b64 v0, v[52:53]
	s_waitcnt lgkmcnt(0)
	s_barrier
	s_and_saveexec_b64 s[2:3], s[0:1]
	s_cbranch_execz .LBB166_4
; %bb.130:
	ds_read2_b64 v[0:3], v51 offset1:67
	ds_read2_b64 v[4:7], v51 offset0:134 offset1:201
	v_ashrrev_i32_e32 v49, 31, v48
	s_waitcnt lgkmcnt(1)
	v_add_f64 v[0:1], v[0:1], v[2:3]
	s_waitcnt lgkmcnt(0)
	v_add_f64 v[0:1], v[0:1], v[4:5]
	v_add_f64 v[0:1], v[0:1], v[6:7]
	v_lshl_add_u64 v[2:3], v[48:49], 3, s[6:7]
	global_store_dwordx2 v[2:3], v[0:1], off
	s_endpgm
	.section	.rodata,"a",@progbits
	.p2align	6, 0x0
	.amdhsa_kernel _ZL26rocblas_hemvn_kernel_upperILb0ELi64ELi4ELi33ELi32ELi16EidPKPKdPdEviT6_lT7_lT5_lS6_lS7_lS5_lT8_i
		.amdhsa_group_segment_fixed_size 9600
		.amdhsa_private_segment_fixed_size 0
		.amdhsa_kernarg_size 376
		.amdhsa_user_sgpr_count 2
		.amdhsa_user_sgpr_dispatch_ptr 0
		.amdhsa_user_sgpr_queue_ptr 0
		.amdhsa_user_sgpr_kernarg_segment_ptr 1
		.amdhsa_user_sgpr_dispatch_id 0
		.amdhsa_user_sgpr_kernarg_preload_length 0
		.amdhsa_user_sgpr_kernarg_preload_offset 0
		.amdhsa_user_sgpr_private_segment_size 0
		.amdhsa_uses_dynamic_stack 0
		.amdhsa_enable_private_segment 0
		.amdhsa_system_sgpr_workgroup_id_x 1
		.amdhsa_system_sgpr_workgroup_id_y 0
		.amdhsa_system_sgpr_workgroup_id_z 1
		.amdhsa_system_sgpr_workgroup_info 0
		.amdhsa_system_vgpr_workitem_id 1
		.amdhsa_next_free_vgpr 170
		.amdhsa_next_free_sgpr 45
		.amdhsa_accum_offset 172
		.amdhsa_reserve_vcc 1
		.amdhsa_float_round_mode_32 0
		.amdhsa_float_round_mode_16_64 0
		.amdhsa_float_denorm_mode_32 3
		.amdhsa_float_denorm_mode_16_64 3
		.amdhsa_dx10_clamp 1
		.amdhsa_ieee_mode 1
		.amdhsa_fp16_overflow 0
		.amdhsa_tg_split 0
		.amdhsa_exception_fp_ieee_invalid_op 0
		.amdhsa_exception_fp_denorm_src 0
		.amdhsa_exception_fp_ieee_div_zero 0
		.amdhsa_exception_fp_ieee_overflow 0
		.amdhsa_exception_fp_ieee_underflow 0
		.amdhsa_exception_fp_ieee_inexact 0
		.amdhsa_exception_int_div_zero 0
	.end_amdhsa_kernel
	.section	.text._ZL26rocblas_hemvn_kernel_upperILb0ELi64ELi4ELi33ELi32ELi16EidPKPKdPdEviT6_lT7_lT5_lS6_lS7_lS5_lT8_i,"axG",@progbits,_ZL26rocblas_hemvn_kernel_upperILb0ELi64ELi4ELi33ELi32ELi16EidPKPKdPdEviT6_lT7_lT5_lS6_lS7_lS5_lT8_i,comdat
.Lfunc_end166:
	.size	_ZL26rocblas_hemvn_kernel_upperILb0ELi64ELi4ELi33ELi32ELi16EidPKPKdPdEviT6_lT7_lT5_lS6_lS7_lS5_lT8_i, .Lfunc_end166-_ZL26rocblas_hemvn_kernel_upperILb0ELi64ELi4ELi33ELi32ELi16EidPKPKdPdEviT6_lT7_lT5_lS6_lS7_lS5_lT8_i
                                        ; -- End function
	.set _ZL26rocblas_hemvn_kernel_upperILb0ELi64ELi4ELi33ELi32ELi16EidPKPKdPdEviT6_lT7_lT5_lS6_lS7_lS5_lT8_i.num_vgpr, 170
	.set _ZL26rocblas_hemvn_kernel_upperILb0ELi64ELi4ELi33ELi32ELi16EidPKPKdPdEviT6_lT7_lT5_lS6_lS7_lS5_lT8_i.num_agpr, 0
	.set _ZL26rocblas_hemvn_kernel_upperILb0ELi64ELi4ELi33ELi32ELi16EidPKPKdPdEviT6_lT7_lT5_lS6_lS7_lS5_lT8_i.numbered_sgpr, 45
	.set _ZL26rocblas_hemvn_kernel_upperILb0ELi64ELi4ELi33ELi32ELi16EidPKPKdPdEviT6_lT7_lT5_lS6_lS7_lS5_lT8_i.num_named_barrier, 0
	.set _ZL26rocblas_hemvn_kernel_upperILb0ELi64ELi4ELi33ELi32ELi16EidPKPKdPdEviT6_lT7_lT5_lS6_lS7_lS5_lT8_i.private_seg_size, 0
	.set _ZL26rocblas_hemvn_kernel_upperILb0ELi64ELi4ELi33ELi32ELi16EidPKPKdPdEviT6_lT7_lT5_lS6_lS7_lS5_lT8_i.uses_vcc, 1
	.set _ZL26rocblas_hemvn_kernel_upperILb0ELi64ELi4ELi33ELi32ELi16EidPKPKdPdEviT6_lT7_lT5_lS6_lS7_lS5_lT8_i.uses_flat_scratch, 0
	.set _ZL26rocblas_hemvn_kernel_upperILb0ELi64ELi4ELi33ELi32ELi16EidPKPKdPdEviT6_lT7_lT5_lS6_lS7_lS5_lT8_i.has_dyn_sized_stack, 0
	.set _ZL26rocblas_hemvn_kernel_upperILb0ELi64ELi4ELi33ELi32ELi16EidPKPKdPdEviT6_lT7_lT5_lS6_lS7_lS5_lT8_i.has_recursion, 0
	.set _ZL26rocblas_hemvn_kernel_upperILb0ELi64ELi4ELi33ELi32ELi16EidPKPKdPdEviT6_lT7_lT5_lS6_lS7_lS5_lT8_i.has_indirect_call, 0
	.section	.AMDGPU.csdata,"",@progbits
; Kernel info:
; codeLenInByte = 6840
; TotalNumSgprs: 51
; NumVgprs: 170
; NumAgprs: 0
; TotalNumVgprs: 170
; ScratchSize: 0
; MemoryBound: 0
; FloatMode: 240
; IeeeMode: 1
; LDSByteSize: 9600 bytes/workgroup (compile time only)
; SGPRBlocks: 6
; VGPRBlocks: 21
; NumSGPRsForWavesPerEU: 51
; NumVGPRsForWavesPerEU: 170
; AccumOffset: 172
; Occupancy: 2
; WaveLimiterHint : 1
; COMPUTE_PGM_RSRC2:SCRATCH_EN: 0
; COMPUTE_PGM_RSRC2:USER_SGPR: 2
; COMPUTE_PGM_RSRC2:TRAP_HANDLER: 0
; COMPUTE_PGM_RSRC2:TGID_X_EN: 1
; COMPUTE_PGM_RSRC2:TGID_Y_EN: 0
; COMPUTE_PGM_RSRC2:TGID_Z_EN: 1
; COMPUTE_PGM_RSRC2:TIDIG_COMP_CNT: 1
; COMPUTE_PGM_RSRC3_GFX90A:ACCUM_OFFSET: 42
; COMPUTE_PGM_RSRC3_GFX90A:TG_SPLIT: 0
	.section	.text._ZL36rocblas_hemvn_kernel_upper_block_sumILi64EidPKPddEviT1_lS3_lT2_lT0_lPT3_i,"axG",@progbits,_ZL36rocblas_hemvn_kernel_upper_block_sumILi64EidPKPddEviT1_lS3_lT2_lT0_lPT3_i,comdat
	.globl	_ZL36rocblas_hemvn_kernel_upper_block_sumILi64EidPKPddEviT1_lS3_lT2_lT0_lPT3_i ; -- Begin function _ZL36rocblas_hemvn_kernel_upper_block_sumILi64EidPKPddEviT1_lS3_lT2_lT0_lPT3_i
	.p2align	8
	.type	_ZL36rocblas_hemvn_kernel_upper_block_sumILi64EidPKPddEviT1_lS3_lT2_lT0_lPT3_i,@function
_ZL36rocblas_hemvn_kernel_upper_block_sumILi64EidPKPddEviT1_lS3_lT2_lT0_lPT3_i: ; @_ZL36rocblas_hemvn_kernel_upper_block_sumILi64EidPKPddEviT1_lS3_lT2_lT0_lPT3_i
; %bb.0:
	s_load_dwordx2 s[8:9], s[0:1], 0x8
	s_load_dwordx2 s[10:11], s[0:1], 0x18
	s_waitcnt lgkmcnt(0)
	v_cmp_eq_f64_e64 s[4:5], s[8:9], 0
	v_cmp_eq_f64_e64 s[6:7], s[10:11], 1.0
	s_and_b64 s[4:5], s[4:5], s[6:7]
	s_and_b64 vcc, exec, s[4:5]
	s_cbranch_vccnz .LBB167_19
; %bb.1:
	s_mov_b32 s14, s3
	s_load_dwordx4 s[4:7], s[0:1], 0x28
	s_load_dword s3, s[0:1], 0x38
	s_load_dword s16, s[0:1], 0x0
	s_mov_b32 s15, 0
	s_lshl_b64 s[12:13], s[14:15], 3
	s_waitcnt lgkmcnt(0)
	s_add_u32 s4, s4, s12
	s_addc_u32 s5, s5, s13
	s_load_dwordx2 s[4:5], s[4:5], 0x0
	s_lshl_b64 s[6:7], s[6:7], 3
	v_lshl_or_b32 v0, s2, 6, v0
	v_cmp_neq_f64_e64 s[18:19], s[8:9], 0
	s_mov_b64 s[12:13], 0
	s_waitcnt lgkmcnt(0)
	s_add_u32 s6, s4, s6
	s_addc_u32 s7, s5, s7
	s_and_b64 vcc, exec, s[18:19]
	v_cmp_gt_i32_e64 s[4:5], s16, v0
	s_cbranch_vccnz .LBB167_6
; %bb.2:
	s_mov_b64 s[18:19], 0
                                        ; implicit-def: $vgpr4_vgpr5
                                        ; implicit-def: $vgpr2_vgpr3
	s_and_saveexec_b64 s[20:21], s[4:5]
	s_cbranch_execz .LBB167_7
; %bb.3:
	v_cmp_eq_f64_e64 s[4:5], s[10:11], 0
	v_mul_lo_u32 v2, s3, v0
	v_mov_b64_e32 v[4:5], 0
	v_ashrrev_i32_e32 v3, 31, v2
	s_and_b64 vcc, exec, s[4:5]
	s_cbranch_vccnz .LBB167_5
; %bb.4:
	v_lshl_add_u64 v[4:5], v[2:3], 3, s[6:7]
	flat_load_dwordx2 v[4:5], v[4:5]
	s_waitcnt vmcnt(0) lgkmcnt(0)
	v_mul_f64 v[4:5], s[10:11], v[4:5]
.LBB167_5:
	s_mov_b64 s[12:13], exec
	s_or_b64 exec, exec, s[20:21]
	s_and_b64 vcc, exec, s[18:19]
	s_cbranch_vccnz .LBB167_8
	s_branch .LBB167_17
.LBB167_6:
                                        ; implicit-def: $vgpr4_vgpr5
                                        ; implicit-def: $vgpr2_vgpr3
	s_cbranch_execnz .LBB167_8
	s_branch .LBB167_17
.LBB167_7:
	s_or_b64 exec, exec, s[20:21]
	s_and_b64 vcc, exec, s[18:19]
	s_cbranch_vccz .LBB167_17
.LBB167_8:
	v_cmp_gt_i32_e32 vcc, s16, v0
                                        ; implicit-def: $vgpr4_vgpr5
                                        ; implicit-def: $vgpr2_vgpr3
	s_and_saveexec_b64 s[4:5], vcc
	s_cbranch_execz .LBB167_16
; %bb.9:
	s_cmp_lt_i32 s2, 0
	v_mov_b64_e32 v[6:7], 0
	s_cbranch_scc1 .LBB167_12
; %bb.10:
	s_load_dwordx2 s[18:19], s[0:1], 0x48
	s_load_dword s15, s[0:1], 0x58
	s_ashr_i32 s17, s16, 31
	s_mul_hi_u32 s0, s16, s14
	s_mul_i32 s1, s17, s14
	s_add_i32 s0, s0, s1
	s_mul_i32 s14, s16, s14
	s_waitcnt lgkmcnt(0)
	s_mul_i32 s0, s0, s15
	s_mul_hi_u32 s1, s14, s15
	s_add_i32 s1, s1, s0
	s_mul_i32 s0, s14, s15
	s_lshl_b64 s[0:1], s[0:1], 3
	s_add_u32 s0, s18, s0
	s_addc_u32 s1, s19, s1
	v_mov_b32_e32 v1, 0
	v_lshl_add_u64 v[2:3], v[0:1], 3, s[0:1]
	s_add_i32 s2, s2, 1
	s_lshl_b64 s[0:1], s[16:17], 3
	v_mov_b64_e32 v[6:7], 0
.LBB167_11:                             ; =>This Inner Loop Header: Depth=1
	global_load_dwordx2 v[4:5], v[2:3], off
	s_add_i32 s2, s2, -1
	v_lshl_add_u64 v[2:3], v[2:3], 0, s[0:1]
	s_cmp_eq_u32 s2, 0
	s_waitcnt vmcnt(0)
	v_add_f64 v[6:7], v[6:7], v[4:5]
	s_cbranch_scc0 .LBB167_11
.LBB167_12:
	v_cmp_eq_f64_e64 s[14:15], s[10:11], 0
	v_mul_lo_u32 v2, s3, v0
	s_mov_b64 s[0:1], 0
	s_and_b64 vcc, exec, s[14:15]
	v_ashrrev_i32_e32 v3, 31, v2
	s_cbranch_vccz .LBB167_20
; %bb.13:
	v_mul_f64 v[4:5], s[8:9], v[6:7]
	s_andn2_b64 vcc, exec, s[0:1]
	s_cbranch_vccnz .LBB167_15
.LBB167_14:
	v_lshl_add_u64 v[0:1], v[2:3], 3, s[6:7]
	flat_load_dwordx2 v[0:1], v[0:1]
	s_waitcnt vmcnt(0) lgkmcnt(0)
	v_mul_f64 v[4:5], s[10:11], v[0:1]
	v_fmac_f64_e32 v[4:5], s[8:9], v[6:7]
.LBB167_15:
	s_or_b64 s[12:13], s[12:13], exec
.LBB167_16:
	s_or_b64 exec, exec, s[4:5]
.LBB167_17:
	s_and_saveexec_b64 s[0:1], s[12:13]
	s_cbranch_execz .LBB167_19
; %bb.18:
	v_lshl_add_u64 v[0:1], v[2:3], 3, s[6:7]
	flat_store_dwordx2 v[0:1], v[4:5]
.LBB167_19:
	s_endpgm
.LBB167_20:
                                        ; implicit-def: $vgpr4_vgpr5
	s_branch .LBB167_14
	.section	.rodata,"a",@progbits
	.p2align	6, 0x0
	.amdhsa_kernel _ZL36rocblas_hemvn_kernel_upper_block_sumILi64EidPKPddEviT1_lS3_lT2_lT0_lPT3_i
		.amdhsa_group_segment_fixed_size 0
		.amdhsa_private_segment_fixed_size 0
		.amdhsa_kernarg_size 344
		.amdhsa_user_sgpr_count 2
		.amdhsa_user_sgpr_dispatch_ptr 0
		.amdhsa_user_sgpr_queue_ptr 0
		.amdhsa_user_sgpr_kernarg_segment_ptr 1
		.amdhsa_user_sgpr_dispatch_id 0
		.amdhsa_user_sgpr_kernarg_preload_length 0
		.amdhsa_user_sgpr_kernarg_preload_offset 0
		.amdhsa_user_sgpr_private_segment_size 0
		.amdhsa_uses_dynamic_stack 0
		.amdhsa_enable_private_segment 0
		.amdhsa_system_sgpr_workgroup_id_x 1
		.amdhsa_system_sgpr_workgroup_id_y 0
		.amdhsa_system_sgpr_workgroup_id_z 1
		.amdhsa_system_sgpr_workgroup_info 0
		.amdhsa_system_vgpr_workitem_id 0
		.amdhsa_next_free_vgpr 8
		.amdhsa_next_free_sgpr 22
		.amdhsa_accum_offset 8
		.amdhsa_reserve_vcc 1
		.amdhsa_float_round_mode_32 0
		.amdhsa_float_round_mode_16_64 0
		.amdhsa_float_denorm_mode_32 3
		.amdhsa_float_denorm_mode_16_64 3
		.amdhsa_dx10_clamp 1
		.amdhsa_ieee_mode 1
		.amdhsa_fp16_overflow 0
		.amdhsa_tg_split 0
		.amdhsa_exception_fp_ieee_invalid_op 0
		.amdhsa_exception_fp_denorm_src 0
		.amdhsa_exception_fp_ieee_div_zero 0
		.amdhsa_exception_fp_ieee_overflow 0
		.amdhsa_exception_fp_ieee_underflow 0
		.amdhsa_exception_fp_ieee_inexact 0
		.amdhsa_exception_int_div_zero 0
	.end_amdhsa_kernel
	.section	.text._ZL36rocblas_hemvn_kernel_upper_block_sumILi64EidPKPddEviT1_lS3_lT2_lT0_lPT3_i,"axG",@progbits,_ZL36rocblas_hemvn_kernel_upper_block_sumILi64EidPKPddEviT1_lS3_lT2_lT0_lPT3_i,comdat
.Lfunc_end167:
	.size	_ZL36rocblas_hemvn_kernel_upper_block_sumILi64EidPKPddEviT1_lS3_lT2_lT0_lPT3_i, .Lfunc_end167-_ZL36rocblas_hemvn_kernel_upper_block_sumILi64EidPKPddEviT1_lS3_lT2_lT0_lPT3_i
                                        ; -- End function
	.set _ZL36rocblas_hemvn_kernel_upper_block_sumILi64EidPKPddEviT1_lS3_lT2_lT0_lPT3_i.num_vgpr, 8
	.set _ZL36rocblas_hemvn_kernel_upper_block_sumILi64EidPKPddEviT1_lS3_lT2_lT0_lPT3_i.num_agpr, 0
	.set _ZL36rocblas_hemvn_kernel_upper_block_sumILi64EidPKPddEviT1_lS3_lT2_lT0_lPT3_i.numbered_sgpr, 22
	.set _ZL36rocblas_hemvn_kernel_upper_block_sumILi64EidPKPddEviT1_lS3_lT2_lT0_lPT3_i.num_named_barrier, 0
	.set _ZL36rocblas_hemvn_kernel_upper_block_sumILi64EidPKPddEviT1_lS3_lT2_lT0_lPT3_i.private_seg_size, 0
	.set _ZL36rocblas_hemvn_kernel_upper_block_sumILi64EidPKPddEviT1_lS3_lT2_lT0_lPT3_i.uses_vcc, 1
	.set _ZL36rocblas_hemvn_kernel_upper_block_sumILi64EidPKPddEviT1_lS3_lT2_lT0_lPT3_i.uses_flat_scratch, 0
	.set _ZL36rocblas_hemvn_kernel_upper_block_sumILi64EidPKPddEviT1_lS3_lT2_lT0_lPT3_i.has_dyn_sized_stack, 0
	.set _ZL36rocblas_hemvn_kernel_upper_block_sumILi64EidPKPddEviT1_lS3_lT2_lT0_lPT3_i.has_recursion, 0
	.set _ZL36rocblas_hemvn_kernel_upper_block_sumILi64EidPKPddEviT1_lS3_lT2_lT0_lPT3_i.has_indirect_call, 0
	.section	.AMDGPU.csdata,"",@progbits
; Kernel info:
; codeLenInByte = 544
; TotalNumSgprs: 28
; NumVgprs: 8
; NumAgprs: 0
; TotalNumVgprs: 8
; ScratchSize: 0
; MemoryBound: 0
; FloatMode: 240
; IeeeMode: 1
; LDSByteSize: 0 bytes/workgroup (compile time only)
; SGPRBlocks: 3
; VGPRBlocks: 0
; NumSGPRsForWavesPerEU: 28
; NumVGPRsForWavesPerEU: 8
; AccumOffset: 8
; Occupancy: 8
; WaveLimiterHint : 1
; COMPUTE_PGM_RSRC2:SCRATCH_EN: 0
; COMPUTE_PGM_RSRC2:USER_SGPR: 2
; COMPUTE_PGM_RSRC2:TRAP_HANDLER: 0
; COMPUTE_PGM_RSRC2:TGID_X_EN: 1
; COMPUTE_PGM_RSRC2:TGID_Y_EN: 0
; COMPUTE_PGM_RSRC2:TGID_Z_EN: 1
; COMPUTE_PGM_RSRC2:TIDIG_COMP_CNT: 0
; COMPUTE_PGM_RSRC3_GFX90A:ACCUM_OFFSET: 1
; COMPUTE_PGM_RSRC3_GFX90A:TG_SPLIT: 0
	.section	.text._ZL50rocblas_symv_kernel_lower_double_buffered_diagonalILi32ELi4E24rocblas_internal_val_ptrIdEPKPKdPKPdEvbiT1_lT2_lllSA_lllS9_lT3_llli,"axG",@progbits,_ZL50rocblas_symv_kernel_lower_double_buffered_diagonalILi32ELi4E24rocblas_internal_val_ptrIdEPKPKdPKPdEvbiT1_lT2_lllSA_lllS9_lT3_llli,comdat
	.globl	_ZL50rocblas_symv_kernel_lower_double_buffered_diagonalILi32ELi4E24rocblas_internal_val_ptrIdEPKPKdPKPdEvbiT1_lT2_lllSA_lllS9_lT3_llli ; -- Begin function _ZL50rocblas_symv_kernel_lower_double_buffered_diagonalILi32ELi4E24rocblas_internal_val_ptrIdEPKPKdPKPdEvbiT1_lT2_lllSA_lllS9_lT3_llli
	.p2align	8
	.type	_ZL50rocblas_symv_kernel_lower_double_buffered_diagonalILi32ELi4E24rocblas_internal_val_ptrIdEPKPKdPKPdEvbiT1_lT2_lllSA_lllS9_lT3_llli,@function
_ZL50rocblas_symv_kernel_lower_double_buffered_diagonalILi32ELi4E24rocblas_internal_val_ptrIdEPKPKdPKPdEvbiT1_lT2_lllSA_lllS9_lT3_llli: ; @_ZL50rocblas_symv_kernel_lower_double_buffered_diagonalILi32ELi4E24rocblas_internal_val_ptrIdEPKPKdPKPdEvbiT1_lT2_lllSA_lllS9_lT3_llli
; %bb.0:
	s_mov_b32 s18, s3
	s_load_dword s3, s[0:1], 0x0
	s_load_dwordx8 s[4:11], s[0:1], 0x8
	s_load_dwordx2 s[16:17], s[0:1], 0x28
	s_load_dwordx4 s[12:15], s[0:1], 0x58
	s_waitcnt lgkmcnt(0)
	s_bitcmp1_b32 s3, 0
	s_cselect_b64 s[22:23], -1, 0
	s_xor_b64 s[20:21], s[22:23], -1
	s_and_b64 vcc, exec, s[22:23]
	v_mov_b64_e32 v[2:3], s[4:5]
	s_cbranch_vccnz .LBB168_2
; %bb.1:
	s_mul_i32 s3, s7, s18
	s_mul_hi_u32 s7, s6, s18
	s_add_i32 s7, s7, s3
	s_mul_i32 s6, s6, s18
	s_lshl_b64 s[6:7], s[6:7], 3
	s_add_u32 s4, s4, s6
	s_addc_u32 s5, s5, s7
	v_mov_b64_e32 v[2:3], s[4:5]
	flat_load_dwordx2 v[2:3], v[2:3]
.LBB168_2:
	s_andn2_b64 vcc, exec, s[20:21]
	v_mov_b64_e32 v[4:5], s[12:13]
	s_cbranch_vccnz .LBB168_4
; %bb.3:
	s_mul_i32 s3, s15, s18
	s_mul_hi_u32 s4, s14, s18
	s_add_i32 s5, s4, s3
	s_mul_i32 s4, s14, s18
	s_lshl_b64 s[4:5], s[4:5], 3
	s_add_u32 s4, s12, s4
	s_addc_u32 s5, s13, s5
	v_mov_b64_e32 v[4:5], s[4:5]
	flat_load_dwordx2 v[4:5], v[4:5]
.LBB168_4:
	s_waitcnt vmcnt(0) lgkmcnt(0)
	v_cmp_neq_f64_e32 vcc, 0, v[2:3]
	v_cmp_neq_f64_e64 s[4:5], 1.0, v[4:5]
	s_or_b64 s[4:5], vcc, s[4:5]
	s_and_saveexec_b64 s[6:7], s[4:5]
	s_cbranch_execz .LBB168_39
; %bb.5:
	s_mov_b32 s19, 0
	v_cmp_neq_f64_e64 s[4:5], 0, v[2:3]
	v_cmp_eq_f64_e32 vcc, 0, v[2:3]
	v_mov_b64_e32 v[6:7], s[18:19]
	s_and_saveexec_b64 s[6:7], vcc
	s_xor_b64 s[6:7], exec, s[6:7]
; %bb.6:
	v_mov_b64_e32 v[6:7], s[18:19]
; %bb.7:
	s_or_saveexec_b64 s[12:13], s[6:7]
	s_load_dwordx2 s[6:7], s[0:1], 0x68
	v_mov_b64_e32 v[10:11], 0
	v_mov_b64_e32 v[8:9], 0
	s_xor_b64 exec, exec, s[12:13]
	s_cbranch_execz .LBB168_9
; %bb.8:
	s_lshl_b64 s[14:15], s[18:19], 3
	s_add_u32 s8, s8, s14
	s_addc_u32 s9, s9, s15
	s_load_dwordx2 s[8:9], s[8:9], 0x0
	s_lshl_b64 s[10:11], s[10:11], 3
	s_waitcnt lgkmcnt(0)
	s_add_u32 s8, s8, s10
	s_addc_u32 s9, s9, s11
	v_mov_b64_e32 v[8:9], s[8:9]
.LBB168_9:
	s_or_b64 exec, exec, s[12:13]
	s_load_dwordx4 s[8:11], s[0:1], 0x38
	s_load_dwordx2 s[12:13], s[0:1], 0x48
	s_and_saveexec_b64 s[14:15], s[4:5]
	s_cbranch_execz .LBB168_11
; %bb.10:
	s_waitcnt lgkmcnt(0)
	v_mov_b32_e32 v10, s8
	v_mov_b32_e32 v11, s9
	v_lshl_add_u64 v[10:11], v[6:7], 3, v[10:11]
	global_load_dwordx2 v[10:11], v[10:11], off
	s_waitcnt vmcnt(0)
	v_lshl_add_u64 v[10:11], s[10:11], 3, v[10:11]
.LBB168_11:
	s_or_b64 exec, exec, s[14:15]
	s_waitcnt lgkmcnt(0)
	v_lshl_add_u64 v[6:7], v[6:7], 3, s[6:7]
	global_load_dwordx2 v[6:7], v[6:7], off
	s_load_dwordx4 s[4:7], s[0:1], 0x70
	s_lshl_b32 s8, s2, 5
	s_ashr_i32 s9, s8, 31
	v_and_b32_e32 v12, 0x3ff, v0
	v_bfe_u32 v13, v0, 10, 10
	s_waitcnt lgkmcnt(0)
	s_mul_i32 s0, s6, s9
	s_mul_hi_u32 s1, s6, s8
	s_mul_i32 s2, s7, s8
	s_add_i32 s0, s1, s0
	s_add_i32 s1, s0, s2
	s_mul_i32 s0, s6, s8
	s_waitcnt vmcnt(0)
	v_lshl_add_u64 v[0:1], s[4:5], 3, v[6:7]
	v_lshl_add_u64 v[0:1], s[0:1], 3, v[0:1]
	s_and_saveexec_b64 s[0:1], vcc
	s_xor_b64 s[0:1], exec, s[0:1]
	s_cbranch_execz .LBB168_15
; %bb.12:
	v_cmp_eq_u32_e32 vcc, 0, v13
	s_and_saveexec_b64 s[2:3], vcc
	s_cbranch_execz .LBB168_14
; %bb.13:
	v_mad_u64_u32 v[2:3], s[4:5], s6, v12, 0
	v_mov_b32_e32 v6, v3
	v_mad_u64_u32 v[6:7], s[4:5], s7, v12, v[6:7]
	v_mov_b32_e32 v3, v6
	v_lshl_add_u64 v[0:1], v[2:3], 3, v[0:1]
	flat_load_dwordx2 v[2:3], v[0:1]
	s_waitcnt vmcnt(0) lgkmcnt(0)
	v_mul_f64 v[2:3], v[4:5], v[2:3]
	flat_store_dwordx2 v[0:1], v[2:3]
.LBB168_14:
	s_or_b64 exec, exec, s[2:3]
                                        ; implicit-def: $vgpr13
                                        ; implicit-def: $vgpr12
                                        ; implicit-def: $vgpr2_vgpr3
                                        ; implicit-def: $vgpr4_vgpr5
                                        ; implicit-def: $vgpr0_vgpr1
                                        ; implicit-def: $vgpr8_vgpr9
                                        ; implicit-def: $vgpr10_vgpr11
.LBB168_15:
	s_andn2_saveexec_b64 s[0:1], s[0:1]
	s_cbranch_execz .LBB168_39
; %bb.16:
	v_cmp_eq_u32_e32 vcc, 0, v13
	v_mov_b64_e32 v[6:7], 0
	s_and_saveexec_b64 s[2:3], vcc
	s_cbranch_execz .LBB168_20
; %bb.17:
	v_mov_b64_e32 v[6:7], 0
	v_cmp_neq_f64_e64 s[0:1], 0, v[4:5]
	s_and_saveexec_b64 s[4:5], s[0:1]
	s_cbranch_execz .LBB168_19
; %bb.18:
	v_mad_u64_u32 v[6:7], s[0:1], s6, v12, 0
	v_mov_b32_e32 v14, v7
	v_mad_u64_u32 v[14:15], s[0:1], s7, v12, v[14:15]
	v_mov_b32_e32 v7, v14
	v_lshl_add_u64 v[6:7], v[6:7], 3, v[0:1]
	flat_load_dwordx2 v[6:7], v[6:7]
	s_waitcnt vmcnt(0) lgkmcnt(0)
	v_mul_f64 v[6:7], v[4:5], v[6:7]
.LBB168_19:
	s_or_b64 exec, exec, s[4:5]
	s_mul_i32 s0, s12, s9
	s_mul_hi_u32 s1, s12, s8
	s_add_i32 s0, s1, s0
	s_mul_i32 s1, s13, s8
	s_add_i32 s1, s0, s1
	s_mul_i32 s0, s12, s8
	v_lshl_add_u64 v[10:11], s[0:1], 3, v[10:11]
	v_mad_u64_u32 v[14:15], s[0:1], s12, v12, 0
	v_mov_b32_e32 v16, v15
	v_mad_u64_u32 v[16:17], s[0:1], s13, v12, v[16:17]
	v_mov_b32_e32 v15, v16
	v_lshl_add_u64 v[10:11], v[14:15], 3, v[10:11]
	flat_load_dwordx2 v[10:11], v[10:11]
	v_lshlrev_b32_e32 v14, 3, v12
	s_waitcnt vmcnt(0) lgkmcnt(0)
	ds_write_b64 v14, v[10:11] offset:10240
.LBB168_20:
	s_or_b64 exec, exec, s[2:3]
	s_add_u32 s0, s16, 1
	s_addc_u32 s1, s17, 0
	s_mul_i32 s2, s0, s9
	s_mul_hi_u32 s3, s0, s8
	s_add_i32 s2, s3, s2
	s_mul_i32 s1, s1, s8
	s_add_i32 s1, s2, s1
	s_mul_i32 s0, s0, s8
	v_lshl_add_u64 v[8:9], s[0:1], 3, v[8:9]
	v_mad_u64_u32 v[10:11], s[0:1], s16, v13, 0
	v_mov_b32_e32 v14, v11
	v_mad_u64_u32 v[14:15], s[0:1], s17, v13, v[14:15]
	v_mov_b32_e32 v11, v14
	v_lshl_add_u64 v[10:11], v[10:11], 3, v[8:9]
	v_lshlrev_b32_e32 v8, 3, v12
	v_mov_b32_e32 v9, 0
	v_lshl_add_u64 v[14:15], v[10:11], 0, v[8:9]
	s_lshl_b64 s[2:3], s[16:17], 5
	v_lshl_add_u64 v[16:17], v[14:15], 0, s[2:3]
	v_lshl_add_u64 v[18:19], v[16:17], 0, s[2:3]
	v_lshl_add_u64 v[10:11], v[18:19], 0, s[2:3]
	flat_load_dwordx2 v[20:21], v[14:15]
	flat_load_dwordx2 v[22:23], v[16:17]
	;; [unrolled: 1-line block ×4, first 2 shown]
	v_lshlrev_b32_e32 v14, 8, v13
	v_add_u32_e32 v9, v8, v14
	v_add_u32_e32 v15, 0x400, v14
	;; [unrolled: 1-line block ×7, first 2 shown]
	v_cmp_lt_u32_e64 s[0:1], 15, v12
	s_waitcnt vmcnt(0) lgkmcnt(0)
	ds_write_b64 v9, v[20:21]
	ds_write_b64 v15, v[22:23]
	;; [unrolled: 1-line block ×4, first 2 shown]
	s_and_saveexec_b64 s[4:5], s[0:1]
	s_cbranch_execz .LBB168_22
; %bb.21:
	s_lshl_b64 s[0:1], s[16:17], 2
	v_lshl_add_u64 v[10:11], v[10:11], 0, s[2:3]
	v_lshl_add_u64 v[18:19], s[0:1], 3, v[10:11]
	;; [unrolled: 1-line block ×4, first 2 shown]
	flat_load_dwordx2 v[24:25], v[10:11]
	flat_load_dwordx2 v[26:27], v[18:19]
	;; [unrolled: 1-line block ×4, first 2 shown]
	s_waitcnt vmcnt(0) lgkmcnt(0)
	ds_write2st64_b64 v9, v[24:25], v[26:27] offset0:8 offset1:10
	ds_write2st64_b64 v9, v[28:29], v[30:31] offset0:12 offset1:14
.LBB168_22:
	s_or_b64 exec, exec, s[4:5]
	v_cmp_ge_u32_e64 s[0:1], v12, v13
	v_lshlrev_b32_e32 v17, 8, v12
	s_waitcnt lgkmcnt(0)
	s_barrier
	s_and_saveexec_b64 s[2:3], s[0:1]
	s_xor_b64 s[0:1], exec, s[2:3]
; %bb.23:
	v_lshlrev_b32_e32 v17, 8, v12
; %bb.24:
	s_or_saveexec_b64 s[0:1], s[0:1]
	v_lshlrev_b32_e32 v10, 5, v13
	v_lshlrev_b32_e32 v11, 3, v13
	s_xor_b64 exec, exec, s[0:1]
	s_cbranch_execz .LBB168_26
; %bb.25:
	v_mul_u32_u24_e32 v18, 0xf8, v12
	v_add3_u32 v18, v8, v18, v11
	ds_read_b64 v[18:19], v18
	v_lshl_add_u32 v20, v10, 3, v8
	s_waitcnt lgkmcnt(0)
	ds_write_b64 v20, v[18:19]
.LBB168_26:
	s_or_b64 exec, exec, s[0:1]
	v_sub_u32_e32 v18, v12, v13
	v_sub_u32_e32 v19, 0, v18
	v_max_i32_e32 v18, v18, v19
	v_cmp_gt_u32_e64 s[0:1], 4, v18
	v_lshl_add_u32 v17, v13, 3, v17
	s_and_saveexec_b64 s[2:3], s[0:1]
	s_cbranch_execnz .LBB168_40
; %bb.27:
	s_or_b64 exec, exec, s[2:3]
	v_cmp_gt_u32_e64 s[0:1], 8, v18
	s_and_saveexec_b64 s[2:3], s[0:1]
	s_cbranch_execnz .LBB168_41
.LBB168_28:
	s_or_b64 exec, exec, s[2:3]
	v_cmp_gt_u32_e64 s[0:1], 12, v18
	s_and_saveexec_b64 s[2:3], s[0:1]
	s_cbranch_execnz .LBB168_42
.LBB168_29:
	s_or_b64 exec, exec, s[2:3]
	v_cmp_gt_u32_e64 s[0:1], 16, v18
	s_and_saveexec_b64 s[2:3], s[0:1]
	s_cbranch_execnz .LBB168_43
.LBB168_30:
	s_or_b64 exec, exec, s[2:3]
	v_cmp_gt_u32_e64 s[0:1], 20, v18
	s_and_saveexec_b64 s[2:3], s[0:1]
	s_cbranch_execnz .LBB168_44
.LBB168_31:
	s_or_b64 exec, exec, s[2:3]
	v_cmp_gt_u32_e64 s[0:1], 24, v18
	s_and_saveexec_b64 s[2:3], s[0:1]
	s_cbranch_execz .LBB168_33
.LBB168_32:
	ds_read_b64 v[20:21], v17 offset:192
	s_waitcnt lgkmcnt(0)
	ds_write_b64 v9, v[20:21] offset:6144
.LBB168_33:
	s_or_b64 exec, exec, s[2:3]
	v_cmp_lt_u32_e64 s[0:1], 27, v18
	v_add_u32_e32 v18, 28, v13
                                        ; implicit-def: $vgpr19
	s_and_saveexec_b64 s[2:3], s[0:1]
	s_xor_b64 s[0:1], exec, s[2:3]
; %bb.34:
	v_add_u32_e32 v18, 28, v13
	v_lshlrev_b32_e32 v19, 8, v18
                                        ; implicit-def: $vgpr17
; %bb.35:
	s_andn2_saveexec_b64 s[0:1], s[0:1]
	s_cbranch_execz .LBB168_37
; %bb.36:
	ds_read_b64 v[20:21], v17 offset:224
	v_lshlrev_b32_e32 v19, 8, v18
	v_add_u32_e32 v17, v8, v19
	s_waitcnt lgkmcnt(0)
	ds_write_b64 v17, v[20:21]
.LBB168_37:
	s_or_b64 exec, exec, s[0:1]
	v_add_u32_e32 v34, 0x2800, v11
	s_waitcnt lgkmcnt(0)
	s_barrier
	ds_read2_b64 v[20:23], v34 offset1:4
	ds_read2_b64 v[24:27], v34 offset0:8 offset1:12
	ds_read_b64 v[28:29], v9
	ds_read_b64 v[30:31], v15
	;; [unrolled: 1-line block ×4, first 2 shown]
	v_lshl_add_u32 v9, v13, 8, v8
	s_waitcnt lgkmcnt(3)
	v_fma_f64 v[28:29], v[28:29], v[20:21], 0
	s_waitcnt lgkmcnt(2)
	v_fmac_f64_e32 v[28:29], v[30:31], v[22:23]
	s_waitcnt lgkmcnt(1)
	v_fmac_f64_e32 v[28:29], v[16:17], v[24:25]
	ds_read2st64_b64 v[14:17], v9 offset0:8 offset1:10
	ds_read2_b64 v[20:23], v34 offset0:16 offset1:20
	v_lshlrev_b32_e32 v34, 3, v18
	v_add_u32_e32 v13, v8, v19
	ds_read_b64 v[18:19], v9 offset:6144
	ds_read_b64 v[24:25], v11 offset:10432
	ds_read_b64 v[30:31], v13
	ds_read_b64 v[34:35], v34 offset:10240
	s_waitcnt lgkmcnt(6)
	v_fmac_f64_e32 v[28:29], v[32:33], v[26:27]
	s_waitcnt lgkmcnt(4)
	v_fmac_f64_e32 v[28:29], v[14:15], v[20:21]
	v_fmac_f64_e32 v[28:29], v[16:17], v[22:23]
	s_waitcnt lgkmcnt(2)
	v_fmac_f64_e32 v[28:29], v[18:19], v[24:25]
	s_waitcnt lgkmcnt(0)
	v_fmac_f64_e32 v[28:29], v[30:31], v[34:35]
	v_add_lshl_u32 v9, v10, v12, 3
	ds_write_b64 v9, v[28:29] offset:8192
	s_waitcnt lgkmcnt(0)
	s_barrier
	s_and_saveexec_b64 s[0:1], vcc
	s_cbranch_execz .LBB168_39
; %bb.38:
	v_add_u32_e32 v13, 0x2000, v8
	ds_read2_b64 v[8:11], v13 offset1:32
	ds_read2_b64 v[14:17], v13 offset0:64 offset1:96
	v_cmp_neq_f64_e32 vcc, 0, v[4:5]
	v_mad_u64_u32 v[4:5], s[0:1], s6, v12, 0
	s_waitcnt lgkmcnt(1)
	v_add_f64 v[8:9], v[8:9], 0
	v_add_f64 v[8:9], v[8:9], v[10:11]
	s_waitcnt lgkmcnt(0)
	v_add_f64 v[8:9], v[8:9], v[14:15]
	v_add_f64 v[8:9], v[8:9], v[16:17]
	v_mul_f64 v[10:11], v[2:3], v[8:9]
	v_fmac_f64_e32 v[6:7], v[2:3], v[8:9]
	v_cndmask_b32_e32 v2, v10, v6, vcc
	v_mov_b32_e32 v6, v5
	v_cndmask_b32_e32 v3, v11, v7, vcc
	v_mad_u64_u32 v[6:7], s[0:1], s7, v12, v[6:7]
	v_mov_b32_e32 v5, v6
	v_lshl_add_u64 v[0:1], v[4:5], 3, v[0:1]
	flat_store_dwordx2 v[0:1], v[2:3]
.LBB168_39:
	s_endpgm
.LBB168_40:
	ds_read_b64 v[20:21], v17 offset:32
	s_waitcnt lgkmcnt(0)
	ds_write_b64 v15, v[20:21]
	s_or_b64 exec, exec, s[2:3]
	v_cmp_gt_u32_e64 s[0:1], 8, v18
	s_and_saveexec_b64 s[2:3], s[0:1]
	s_cbranch_execz .LBB168_28
.LBB168_41:
	ds_read_b64 v[20:21], v17 offset:64
	s_waitcnt lgkmcnt(0)
	ds_write_b64 v16, v[20:21]
	s_or_b64 exec, exec, s[2:3]
	v_cmp_gt_u32_e64 s[0:1], 12, v18
	s_and_saveexec_b64 s[2:3], s[0:1]
	s_cbranch_execz .LBB168_29
.LBB168_42:
	ds_read_b64 v[20:21], v17 offset:96
	s_waitcnt lgkmcnt(0)
	ds_write_b64 v14, v[20:21]
	s_or_b64 exec, exec, s[2:3]
	v_cmp_gt_u32_e64 s[0:1], 16, v18
	s_and_saveexec_b64 s[2:3], s[0:1]
	s_cbranch_execz .LBB168_30
.LBB168_43:
	ds_read_b64 v[20:21], v17 offset:128
	s_waitcnt lgkmcnt(0)
	ds_write_b64 v9, v[20:21] offset:4096
	s_or_b64 exec, exec, s[2:3]
	v_cmp_gt_u32_e64 s[0:1], 20, v18
	s_and_saveexec_b64 s[2:3], s[0:1]
	s_cbranch_execz .LBB168_31
.LBB168_44:
	ds_read_b64 v[20:21], v17 offset:160
	s_waitcnt lgkmcnt(0)
	ds_write_b64 v9, v[20:21] offset:5120
	s_or_b64 exec, exec, s[2:3]
	v_cmp_gt_u32_e64 s[0:1], 24, v18
	s_and_saveexec_b64 s[2:3], s[0:1]
	s_cbranch_execnz .LBB168_32
	s_branch .LBB168_33
	.section	.rodata,"a",@progbits
	.p2align	6, 0x0
	.amdhsa_kernel _ZL50rocblas_symv_kernel_lower_double_buffered_diagonalILi32ELi4E24rocblas_internal_val_ptrIdEPKPKdPKPdEvbiT1_lT2_lllSA_lllS9_lT3_llli
		.amdhsa_group_segment_fixed_size 10496
		.amdhsa_private_segment_fixed_size 0
		.amdhsa_kernarg_size 140
		.amdhsa_user_sgpr_count 2
		.amdhsa_user_sgpr_dispatch_ptr 0
		.amdhsa_user_sgpr_queue_ptr 0
		.amdhsa_user_sgpr_kernarg_segment_ptr 1
		.amdhsa_user_sgpr_dispatch_id 0
		.amdhsa_user_sgpr_kernarg_preload_length 0
		.amdhsa_user_sgpr_kernarg_preload_offset 0
		.amdhsa_user_sgpr_private_segment_size 0
		.amdhsa_uses_dynamic_stack 0
		.amdhsa_enable_private_segment 0
		.amdhsa_system_sgpr_workgroup_id_x 1
		.amdhsa_system_sgpr_workgroup_id_y 0
		.amdhsa_system_sgpr_workgroup_id_z 1
		.amdhsa_system_sgpr_workgroup_info 0
		.amdhsa_system_vgpr_workitem_id 1
		.amdhsa_next_free_vgpr 36
		.amdhsa_next_free_sgpr 24
		.amdhsa_accum_offset 36
		.amdhsa_reserve_vcc 1
		.amdhsa_float_round_mode_32 0
		.amdhsa_float_round_mode_16_64 0
		.amdhsa_float_denorm_mode_32 3
		.amdhsa_float_denorm_mode_16_64 3
		.amdhsa_dx10_clamp 1
		.amdhsa_ieee_mode 1
		.amdhsa_fp16_overflow 0
		.amdhsa_tg_split 0
		.amdhsa_exception_fp_ieee_invalid_op 0
		.amdhsa_exception_fp_denorm_src 0
		.amdhsa_exception_fp_ieee_div_zero 0
		.amdhsa_exception_fp_ieee_overflow 0
		.amdhsa_exception_fp_ieee_underflow 0
		.amdhsa_exception_fp_ieee_inexact 0
		.amdhsa_exception_int_div_zero 0
	.end_amdhsa_kernel
	.section	.text._ZL50rocblas_symv_kernel_lower_double_buffered_diagonalILi32ELi4E24rocblas_internal_val_ptrIdEPKPKdPKPdEvbiT1_lT2_lllSA_lllS9_lT3_llli,"axG",@progbits,_ZL50rocblas_symv_kernel_lower_double_buffered_diagonalILi32ELi4E24rocblas_internal_val_ptrIdEPKPKdPKPdEvbiT1_lT2_lllSA_lllS9_lT3_llli,comdat
.Lfunc_end168:
	.size	_ZL50rocblas_symv_kernel_lower_double_buffered_diagonalILi32ELi4E24rocblas_internal_val_ptrIdEPKPKdPKPdEvbiT1_lT2_lllSA_lllS9_lT3_llli, .Lfunc_end168-_ZL50rocblas_symv_kernel_lower_double_buffered_diagonalILi32ELi4E24rocblas_internal_val_ptrIdEPKPKdPKPdEvbiT1_lT2_lllSA_lllS9_lT3_llli
                                        ; -- End function
	.set _ZL50rocblas_symv_kernel_lower_double_buffered_diagonalILi32ELi4E24rocblas_internal_val_ptrIdEPKPKdPKPdEvbiT1_lT2_lllSA_lllS9_lT3_llli.num_vgpr, 36
	.set _ZL50rocblas_symv_kernel_lower_double_buffered_diagonalILi32ELi4E24rocblas_internal_val_ptrIdEPKPKdPKPdEvbiT1_lT2_lllSA_lllS9_lT3_llli.num_agpr, 0
	.set _ZL50rocblas_symv_kernel_lower_double_buffered_diagonalILi32ELi4E24rocblas_internal_val_ptrIdEPKPKdPKPdEvbiT1_lT2_lllSA_lllS9_lT3_llli.numbered_sgpr, 24
	.set _ZL50rocblas_symv_kernel_lower_double_buffered_diagonalILi32ELi4E24rocblas_internal_val_ptrIdEPKPKdPKPdEvbiT1_lT2_lllSA_lllS9_lT3_llli.num_named_barrier, 0
	.set _ZL50rocblas_symv_kernel_lower_double_buffered_diagonalILi32ELi4E24rocblas_internal_val_ptrIdEPKPKdPKPdEvbiT1_lT2_lllSA_lllS9_lT3_llli.private_seg_size, 0
	.set _ZL50rocblas_symv_kernel_lower_double_buffered_diagonalILi32ELi4E24rocblas_internal_val_ptrIdEPKPKdPKPdEvbiT1_lT2_lllSA_lllS9_lT3_llli.uses_vcc, 1
	.set _ZL50rocblas_symv_kernel_lower_double_buffered_diagonalILi32ELi4E24rocblas_internal_val_ptrIdEPKPKdPKPdEvbiT1_lT2_lllSA_lllS9_lT3_llli.uses_flat_scratch, 0
	.set _ZL50rocblas_symv_kernel_lower_double_buffered_diagonalILi32ELi4E24rocblas_internal_val_ptrIdEPKPKdPKPdEvbiT1_lT2_lllSA_lllS9_lT3_llli.has_dyn_sized_stack, 0
	.set _ZL50rocblas_symv_kernel_lower_double_buffered_diagonalILi32ELi4E24rocblas_internal_val_ptrIdEPKPKdPKPdEvbiT1_lT2_lllSA_lllS9_lT3_llli.has_recursion, 0
	.set _ZL50rocblas_symv_kernel_lower_double_buffered_diagonalILi32ELi4E24rocblas_internal_val_ptrIdEPKPKdPKPdEvbiT1_lT2_lllSA_lllS9_lT3_llli.has_indirect_call, 0
	.section	.AMDGPU.csdata,"",@progbits
; Kernel info:
; codeLenInByte = 1960
; TotalNumSgprs: 30
; NumVgprs: 36
; NumAgprs: 0
; TotalNumVgprs: 36
; ScratchSize: 0
; MemoryBound: 0
; FloatMode: 240
; IeeeMode: 1
; LDSByteSize: 10496 bytes/workgroup (compile time only)
; SGPRBlocks: 3
; VGPRBlocks: 4
; NumSGPRsForWavesPerEU: 30
; NumVGPRsForWavesPerEU: 36
; AccumOffset: 36
; Occupancy: 8
; WaveLimiterHint : 1
; COMPUTE_PGM_RSRC2:SCRATCH_EN: 0
; COMPUTE_PGM_RSRC2:USER_SGPR: 2
; COMPUTE_PGM_RSRC2:TRAP_HANDLER: 0
; COMPUTE_PGM_RSRC2:TGID_X_EN: 1
; COMPUTE_PGM_RSRC2:TGID_Y_EN: 0
; COMPUTE_PGM_RSRC2:TGID_Z_EN: 1
; COMPUTE_PGM_RSRC2:TIDIG_COMP_CNT: 1
; COMPUTE_PGM_RSRC3_GFX90A:ACCUM_OFFSET: 8
; COMPUTE_PGM_RSRC3_GFX90A:TG_SPLIT: 0
	.section	.text._ZL54rocblas_symv_kernel_lower_double_buffered_non_diagonalILi32ELi4ELi4E24rocblas_internal_val_ptrIdEPKPKdPKPdEvbiT2_lT3_lllSA_lllT4_llli,"axG",@progbits,_ZL54rocblas_symv_kernel_lower_double_buffered_non_diagonalILi32ELi4ELi4E24rocblas_internal_val_ptrIdEPKPKdPKPdEvbiT2_lT3_lllSA_lllT4_llli,comdat
	.globl	_ZL54rocblas_symv_kernel_lower_double_buffered_non_diagonalILi32ELi4ELi4E24rocblas_internal_val_ptrIdEPKPKdPKPdEvbiT2_lT3_lllSA_lllT4_llli ; -- Begin function _ZL54rocblas_symv_kernel_lower_double_buffered_non_diagonalILi32ELi4ELi4E24rocblas_internal_val_ptrIdEPKPKdPKPdEvbiT2_lT3_lllSA_lllT4_llli
	.p2align	8
	.type	_ZL54rocblas_symv_kernel_lower_double_buffered_non_diagonalILi32ELi4ELi4E24rocblas_internal_val_ptrIdEPKPKdPKPdEvbiT2_lT3_lllSA_lllT4_llli,@function
_ZL54rocblas_symv_kernel_lower_double_buffered_non_diagonalILi32ELi4ELi4E24rocblas_internal_val_ptrIdEPKPKdPKPdEvbiT2_lT3_lllSA_lllT4_llli: ; @_ZL54rocblas_symv_kernel_lower_double_buffered_non_diagonalILi32ELi4ELi4E24rocblas_internal_val_ptrIdEPKPKdPKPdEvbiT2_lT3_lllSA_lllT4_llli
; %bb.0:
	s_load_dword s5, s[0:1], 0x0
	s_load_dwordx8 s[8:15], s[0:1], 0x8
	s_load_dwordx2 s[16:17], s[0:1], 0x28
	s_waitcnt lgkmcnt(0)
	s_bitcmp1_b32 s5, 0
	s_cselect_b64 s[6:7], -1, 0
	s_and_b64 vcc, exec, s[6:7]
	v_mov_b64_e32 v[2:3], s[8:9]
	s_cbranch_vccnz .LBB169_2
; %bb.1:
	s_mul_i32 s5, s11, s4
	s_mul_hi_u32 s6, s10, s4
	s_add_i32 s7, s6, s5
	s_mul_i32 s6, s10, s4
	s_lshl_b64 s[6:7], s[6:7], 3
	s_add_u32 s6, s8, s6
	s_addc_u32 s7, s9, s7
	v_mov_b64_e32 v[2:3], s[6:7]
	flat_load_dwordx2 v[2:3], v[2:3]
.LBB169_2:
	s_waitcnt vmcnt(0) lgkmcnt(0)
	v_cmp_neq_f64_e32 vcc, 0, v[2:3]
	s_and_saveexec_b64 s[6:7], vcc
	s_cbranch_execz .LBB169_24
; %bb.3:
	s_load_dwordx2 s[6:7], s[0:1], 0x80
	s_waitcnt lgkmcnt(0)
	v_cvt_f32_u32_e32 v1, s7
	s_add_i32 s5, s6, -1
	s_cmp_eq_u32 s2, s5
	v_rcp_iflag_f32_e32 v1, v1
	s_nop 0
	v_mul_f32_e32 v1, 0x4f7ffffe, v1
	v_cvt_u32_f32_e32 v1, v1
	s_nop 0
	v_readfirstlane_b32 s8, v1
	s_cbranch_scc1 .LBB169_24
; %bb.4:
	s_sub_i32 s9, 0, s7
	s_mul_i32 s9, s9, s8
	s_not_b32 s5, s2
	s_mul_hi_u32 s9, s8, s9
	s_add_i32 s6, s6, s5
	s_add_i32 s8, s8, s9
	s_mov_b32 s5, 0
	s_mul_hi_u32 s24, s6, s8
	s_load_dwordx4 s[28:31], s[0:1], 0x38
	s_load_dwordx2 s[8:9], s[0:1], 0x48
	s_lshl_b64 s[4:5], s[4:5], 3
	s_add_u32 s12, s12, s4
	s_addc_u32 s13, s13, s5
	s_load_dwordx2 s[10:11], s[0:1], 0x58
	s_waitcnt lgkmcnt(0)
	s_add_u32 s18, s28, s4
	s_addc_u32 s19, s29, s5
	s_load_dwordx2 s[18:19], s[18:19], 0x0
	v_and_b32_e32 v58, 0x3ff, v0
	s_add_u32 s22, s10, s4
	s_addc_u32 s23, s11, s5
	s_lshl_b64 s[4:5], s[30:31], 3
	s_waitcnt lgkmcnt(0)
	s_add_u32 s10, s18, s4
	s_addc_u32 s11, s19, s5
	s_lshl_b32 s18, s2, 5
	s_ashr_i32 s19, s18, 31
	s_mul_i32 s2, s8, s19
	s_mul_hi_u32 s4, s8, s18
	s_add_i32 s2, s4, s2
	s_mul_i32 s4, s9, s18
	s_add_i32 s5, s2, s4
	s_mul_i32 s4, s8, s18
	s_lshl_b64 s[4:5], s[4:5], 3
	v_bfe_u32 v0, v0, 10, 10
	s_add_u32 s20, s10, s4
	s_addc_u32 s21, s11, s5
	v_cmp_eq_u32_e32 vcc, 0, v0
	s_and_saveexec_b64 s[4:5], vcc
	s_cbranch_execz .LBB169_6
; %bb.5:
	v_mad_u64_u32 v[4:5], s[26:27], s8, v58, 0
	v_mov_b32_e32 v6, v5
	v_mad_u64_u32 v[6:7], s[26:27], s9, v58, v[6:7]
	v_mov_b32_e32 v5, v6
	v_lshl_add_u64 v[4:5], v[4:5], 3, s[20:21]
	flat_load_dwordx2 v[4:5], v[4:5]
	v_lshlrev_b32_e32 v1, 3, v58
	s_waitcnt vmcnt(0) lgkmcnt(0)
	ds_write_b64 v1, v[4:5] offset:6144
.LBB169_6:
	s_or_b64 exec, exec, s[4:5]
	s_mul_i32 s2, s24, s7
	s_sub_i32 s2, s6, s2
	s_add_i32 s4, s24, 1
	s_sub_i32 s5, s2, s7
	s_cmp_ge_u32 s2, s7
	s_cselect_b32 s4, s4, s24
	s_cselect_b32 s2, s5, s2
	s_add_i32 s5, s4, 1
	s_cmp_ge_u32 s2, s7
	s_cselect_b32 s2, s5, s4
	s_add_i32 s4, s7, -1
	s_cmp_lg_u32 s3, s4
	s_mov_b32 s26, s2
	s_cbranch_scc1 .LBB169_8
; %bb.7:
	s_mul_i32 s4, s2, s7
	s_sub_i32 s4, s6, s4
	s_add_i32 s26, s4, s2
.LBB169_8:
	s_cmp_eq_u32 s26, 0
	s_cbranch_scc1 .LBB169_24
; %bb.9:
	s_load_dwordx4 s[4:7], s[0:1], 0x60
	s_load_dwordx2 s[24:25], s[22:23], 0x0
	v_lshl_add_u32 v1, v0, 5, v58
	v_and_b32_e32 v0, 15, v58
	v_lshrrev_b32_e32 v59, 4, v1
	s_waitcnt lgkmcnt(0)
	s_lshl_b64 s[0:1], s[4:5], 3
	s_mul_i32 s4, s6, s19
	s_mul_hi_u32 s5, s6, s18
	s_add_u32 s22, s24, s0
	s_addc_u32 s23, s25, s1
	s_add_i32 s0, s5, s4
	s_mul_i32 s1, s7, s18
	s_add_i32 s1, s0, s1
	s_mul_i32 s0, s6, s18
	s_lshl_b64 s[0:1], s[0:1], 3
	s_add_u32 s0, s22, s0
	s_addc_u32 s1, s23, s1
	s_cmp_lt_i32 s26, 1
	s_barrier
	s_cbranch_scc1 .LBB169_16
; %bb.10:
	s_load_dwordx2 s[4:5], s[12:13], 0x0
	s_mul_i32 s12, s3, s2
	s_lshl_b32 s28, s12, 5
	s_lshl_b64 s[2:3], s[14:15], 3
	s_ashr_i32 s29, s28, 31
	s_waitcnt lgkmcnt(0)
	s_add_u32 s4, s4, s2
	s_addc_u32 s5, s5, s3
	s_add_u32 s2, s16, 1
	s_addc_u32 s3, s17, 0
	s_mul_i32 s12, s2, s19
	s_mul_hi_u32 s13, s2, s18
	s_add_i32 s12, s13, s12
	s_mul_i32 s3, s3, s18
	s_add_i32 s3, s12, s3
	s_mul_i32 s2, s2, s18
	s_lshl_b64 s[2:3], s[2:3], 3
	s_add_u32 s2, s4, s2
	s_addc_u32 s3, s5, s3
	s_lshl_b64 s[24:25], s[28:29], 3
	s_add_u32 s4, s2, s24
	v_lshlrev_b32_e32 v5, 2, v59
	v_mov_b32_e32 v1, 0
	s_addc_u32 s5, s3, s25
	v_mad_u64_u32 v[14:15], s[2:3], s16, v5, v[0:1]
	v_mov_b32_e32 v4, v15
	v_mad_u64_u32 v[4:5], s[2:3], s17, v5, v[4:5]
	v_mov_b32_e32 v15, v4
	v_lshl_add_u64 v[4:5], v[14:15], 3, s[4:5]
	s_lshl_b64 s[12:13], s[16:17], 3
	v_lshl_add_u64 v[16:17], v[4:5], 0, s[12:13]
	v_lshl_add_u64 v[18:19], v[16:17], 0, s[12:13]
	;; [unrolled: 1-line block ×3, first 2 shown]
	flat_load_dwordx2 v[12:13], v[4:5] offset:256
	flat_load_dwordx2 v[10:11], v[16:17] offset:256
	flat_load_dwordx2 v[8:9], v[18:19] offset:256
	flat_load_dwordx2 v[6:7], v[20:21] offset:256
	s_mul_i32 s2, s6, s29
	s_mul_hi_u32 s3, s6, s28
	s_add_i32 s2, s3, s2
	s_mul_i32 s3, s7, s28
	s_add_i32 s3, s2, s3
	s_mul_i32 s2, s6, s28
	s_lshl_b64 s[14:15], s[8:9], 8
	s_lshl_b64 s[2:3], s[2:3], 3
	s_add_u32 s22, s0, s2
	s_addc_u32 s23, s1, s3
	s_mul_i32 s2, s8, s29
	s_mul_hi_u32 s3, s8, s28
	s_add_i32 s2, s3, s2
	s_mul_i32 s3, s9, s28
	s_add_i32 s3, s2, s3
	s_mul_i32 s2, s8, s28
	s_lshl_b64 s[2:3], s[2:3], 3
	s_add_u32 s27, s20, s2
	v_mov_b32_e32 v4, 0x1000
	v_mov_b32_e32 v5, 0x1800
	s_addc_u32 s28, s21, s3
	v_lshl_or_b32 v61, v0, 3, v4
	v_lshl_add_u32 v63, v59, 5, v5
	v_lshl_add_u32 v60, v58, 3, v4
	v_mad_u64_u32 v[4:5], s[20:21], s6, v58, 0
	v_mov_b32_e32 v16, v5
	s_lshl_b64 s[2:3], s[6:7], 8
	v_mad_u64_u32 v[16:17], s[20:21], s7, v58, v[16:17]
	v_lshlrev_b32_e32 v62, 8, v59
	v_mov_b32_e32 v5, v16
	s_cmp_eq_u32 s26, 1
	s_cbranch_scc1 .LBB169_17
; %bb.11:
	s_lshl_b64 s[18:19], s[18:19], 3
	s_add_u32 s18, s24, s18
	s_addc_u32 s19, s25, s19
	s_mul_i32 s20, s8, s19
	s_mul_hi_u32 s21, s8, s18
	s_add_i32 s20, s21, s20
	s_mul_i32 s21, s9, s18
	v_lshlrev_b32_e32 v16, 3, v0
	v_mov_b32_e32 v17, v1
	s_add_i32 s20, s20, s21
	s_mul_i32 s21, s8, s18
	v_lshl_add_u64 v[18:19], s[18:19], 0, v[16:17]
	s_mov_b64 s[18:19], 0x180
	v_lshl_add_u64 v[20:21], v[18:19], 0, s[18:19]
	v_mad_u64_u32 v[26:27], s[18:19], s8, v20, 0
	s_mov_b64 s[18:19], 0x100
	v_mul_lo_u32 v1, s9, v20
	v_mul_lo_u32 v21, s8, v21
	v_lshl_add_u64 v[18:19], v[18:19], 0, s[18:19]
	v_add3_u32 v27, v27, v21, v1
	v_mul_lo_u32 v1, s9, v18
	v_mul_lo_u32 v19, s8, v19
	v_mad_u64_u32 v[28:29], s[18:19], s8, v18, 0
	v_add3_u32 v29, v29, v19, v1
	v_mad_u64_u32 v[18:19], s[18:19], s16, v59, 0
	v_mov_b32_e32 v20, v19
	v_mad_u64_u32 v[20:21], s[18:19], s17, v59, v[20:21]
	v_mov_b32_e32 v19, v20
	v_lshlrev_b64 v[18:19], 5, v[18:19]
	v_lshlrev_b32_e32 v1, 5, v59
	v_lshl_add_u64 v[30:31], v[18:19], 0, v[16:17]
	v_or_b32_e32 v19, 16, v1
	v_mad_u64_u32 v[32:33], s[18:19], s16, v19, v[16:17]
	v_mov_b32_e32 v18, v33
	v_mad_u64_u32 v[18:19], s[18:19], s17, v19, v[18:19]
	v_or_b32_e32 v19, 24, v1
	v_or_b32_e32 v1, 8, v1
	v_mad_u64_u32 v[34:35], s[18:19], s16, v19, v[16:17]
	v_mad_u64_u32 v[36:37], s[18:19], s16, v1, v[16:17]
	v_mov_b32_e32 v33, v18
	v_mov_b32_e32 v18, v35
	;; [unrolled: 1-line block ×3, first 2 shown]
	v_mad_u64_u32 v[18:19], s[18:19], s17, v19, v[18:19]
	v_mad_u64_u32 v[16:17], s[18:19], s17, v1, v[16:17]
	s_add_i32 s24, s26, -1
	v_mov_b32_e32 v35, v18
	v_mov_b32_e32 v37, v16
	v_mov_b64_e32 v[18:19], 0
	v_mov_b64_e32 v[24:25], s[22:23]
	;; [unrolled: 1-line block ×5, first 2 shown]
.LBB169_12:                             ; =>This Inner Loop Header: Depth=1
	v_lshl_add_u64 v[68:69], s[4:5], 0, v[30:31]
	v_lshl_add_u64 v[70:71], s[4:5], 0, v[36:37]
	flat_load_dwordx2 v[52:53], v[68:69] offset:384
	flat_load_dwordx2 v[50:51], v[70:71] offset:384
	v_lshl_add_u64 v[72:73], s[4:5], 0, v[32:33]
	v_lshl_add_u64 v[64:65], s[10:11], 0, v[28:29]
	;; [unrolled: 1-line block ×4, first 2 shown]
	flat_load_dwordx2 v[54:55], v[72:73] offset:384
	flat_load_dwordx2 v[38:39], v[74:75] offset:384
	flat_load_dwordx2 v[56:57], v[64:65]
	flat_load_dwordx2 v[40:41], v[66:67]
	flat_load_dwordx2 v[42:43], v[70:71] offset:512
	flat_load_dwordx2 v[44:45], v[68:69] offset:512
	;; [unrolled: 1-line block ×4, first 2 shown]
	ds_read_b128 v[64:67], v63
	ds_read_b128 v[68:71], v63 offset:16
	v_add_u32_e32 v1, v61, v62
	s_waitcnt lgkmcnt(0)
	s_barrier
	s_waitcnt vmcnt(0)
	v_fma_f64 v[72:73], v[12:13], v[64:65], 0
	v_fmac_f64_e32 v[72:73], v[10:11], v[66:67]
	v_fmac_f64_e32 v[72:73], v[8:9], v[68:69]
	v_fmac_f64_e32 v[72:73], v[6:7], v[70:71]
	v_fma_f64 v[64:65], v[52:53], v[64:65], 0
	v_fmac_f64_e32 v[64:65], v[50:51], v[66:67]
	v_fmac_f64_e32 v[64:65], v[54:55], v[68:69]
	;; [unrolled: 1-line block ×3, first 2 shown]
	ds_write2_b64 v1, v[72:73], v[64:65] offset1:16
	s_waitcnt lgkmcnt(0)
	s_barrier
	s_and_saveexec_b64 s[18:19], vcc
	s_cbranch_execz .LBB169_14
; %bb.13:                               ;   in Loop: Header=BB169_12 Depth=1
	ds_read2_b64 v[64:67], v60 offset1:32
	ds_read2_b64 v[68:71], v60 offset0:64 offset1:96
	ds_read2_b64 v[72:75], v60 offset0:128 offset1:160
	ds_read2_b64 v[76:79], v60 offset0:192 offset1:224
	v_lshl_add_u64 v[24:25], v[24:25], 0, s[2:3]
	s_waitcnt lgkmcnt(3)
	v_add_f64 v[64:65], v[64:65], 0
	v_add_f64 v[64:65], v[64:65], v[66:67]
	s_waitcnt lgkmcnt(2)
	v_add_f64 v[64:65], v[64:65], v[68:69]
	v_add_f64 v[64:65], v[64:65], v[70:71]
	;; [unrolled: 3-line block ×4, first 2 shown]
	v_lshl_add_u64 v[66:67], v[4:5], 3, v[24:25]
	v_mul_f64 v[64:65], v[2:3], v[64:65]
	flat_atomic_add_f64 v[66:67], v[64:65]
.LBB169_14:                             ;   in Loop: Header=BB169_12 Depth=1
	s_or_b64 exec, exec, s[18:19]
	s_add_u32 s10, s10, s14
	s_addc_u32 s11, s11, s15
	s_add_i32 s24, s24, -1
	s_add_u32 s4, s4, 0x100
	s_addc_u32 s5, s5, 0
	s_add_u32 s27, s10, s21
	v_fmac_f64_e32 v[18:19], v[56:57], v[12:13]
	v_fmac_f64_e32 v[22:23], v[56:57], v[10:11]
	;; [unrolled: 1-line block ×4, first 2 shown]
	s_addc_u32 s28, s11, s20
	v_fmac_f64_e32 v[18:19], v[40:41], v[52:53]
	v_fmac_f64_e32 v[22:23], v[40:41], v[50:51]
	;; [unrolled: 1-line block ×3, first 2 shown]
	s_cmp_eq_u32 s24, 0
	v_fmac_f64_e32 v[16:17], v[40:41], v[38:39]
	s_cbranch_scc1 .LBB169_18
; %bb.15:                               ;   in Loop: Header=BB169_12 Depth=1
	v_mov_b64_e32 v[12:13], v[44:45]
	v_mov_b64_e32 v[10:11], v[42:43]
	;; [unrolled: 1-line block ×4, first 2 shown]
	s_branch .LBB169_12
.LBB169_16:
	v_mov_b64_e32 v[16:17], 0
	v_mov_b64_e32 v[20:21], 0
	;; [unrolled: 1-line block ×4, first 2 shown]
	s_branch .LBB169_22
.LBB169_17:
	v_mov_b64_e32 v[24:25], s[22:23]
	v_mov_b64_e32 v[16:17], 0
	;; [unrolled: 1-line block ×5, first 2 shown]
	s_branch .LBB169_19
.LBB169_18:
	v_mov_b64_e32 v[6:7], v[46:47]
	v_mov_b64_e32 v[8:9], v[48:49]
	;; [unrolled: 1-line block ×4, first 2 shown]
.LBB169_19:
	v_mad_u64_u32 v[26:27], s[10:11], s8, v0, 0
	v_mov_b32_e32 v28, v27
	v_mad_u64_u32 v[28:29], s[10:11], s9, v0, v[28:29]
	s_add_u32 s10, s27, s14
	v_lshl_add_u64 v[34:35], v[14:15], 3, s[4:5]
	v_mov_b32_e32 v27, v28
	s_addc_u32 s11, s28, s15
	v_lshl_add_u64 v[36:37], s[16:17], 3, v[34:35]
	v_or_b32_e32 v1, 16, v0
	v_lshl_add_u64 v[32:33], v[26:27], 3, s[10:11]
	v_lshl_add_u64 v[38:39], v[36:37], 0, s[12:13]
	;; [unrolled: 1-line block ×3, first 2 shown]
	flat_load_dwordx2 v[30:31], v[34:35] offset:384
	flat_load_dwordx2 v[28:29], v[36:37] offset:384
	;; [unrolled: 1-line block ×4, first 2 shown]
	flat_load_dwordx2 v[42:43], v[32:33]
	v_mad_u64_u32 v[32:33], s[4:5], s8, v1, 0
	v_mov_b32_e32 v34, v33
	v_mad_u64_u32 v[34:35], s[4:5], s9, v1, v[34:35]
	v_mov_b32_e32 v33, v34
	v_lshl_add_u64 v[32:33], v[32:33], 3, s[10:11]
	flat_load_dwordx2 v[32:33], v[32:33]
	ds_read_b128 v[34:37], v63
	ds_read_b128 v[38:41], v63 offset:16
	v_add_u32_e32 v1, v61, v62
	s_waitcnt lgkmcnt(0)
	s_barrier
	s_waitcnt vmcnt(0)
	v_fma_f64 v[44:45], v[12:13], v[34:35], 0
	v_fmac_f64_e32 v[44:45], v[10:11], v[36:37]
	v_fmac_f64_e32 v[44:45], v[8:9], v[38:39]
	;; [unrolled: 1-line block ×3, first 2 shown]
	v_fma_f64 v[34:35], v[30:31], v[34:35], 0
	v_fmac_f64_e32 v[34:35], v[28:29], v[36:37]
	v_fmac_f64_e32 v[34:35], v[26:27], v[38:39]
	v_fmac_f64_e32 v[34:35], v[14:15], v[40:41]
	v_fmac_f64_e32 v[18:19], v[42:43], v[12:13]
	v_fmac_f64_e32 v[22:23], v[42:43], v[10:11]
	v_fmac_f64_e32 v[20:21], v[42:43], v[8:9]
	v_fmac_f64_e32 v[16:17], v[42:43], v[6:7]
	ds_write2_b64 v1, v[44:45], v[34:35] offset1:16
	s_waitcnt lgkmcnt(0)
	s_barrier
	s_and_saveexec_b64 s[4:5], vcc
	s_cbranch_execz .LBB169_21
; %bb.20:
	ds_read2_b64 v[6:9], v60 offset1:32
	ds_read2_b64 v[10:13], v60 offset0:64 offset1:96
	ds_read2_b64 v[34:37], v60 offset0:128 offset1:160
	;; [unrolled: 1-line block ×3, first 2 shown]
	v_lshl_add_u64 v[24:25], v[24:25], 0, s[2:3]
	s_waitcnt lgkmcnt(3)
	v_add_f64 v[6:7], v[6:7], 0
	v_add_f64 v[6:7], v[6:7], v[8:9]
	s_waitcnt lgkmcnt(2)
	v_add_f64 v[6:7], v[6:7], v[10:11]
	v_add_f64 v[6:7], v[6:7], v[12:13]
	;; [unrolled: 3-line block ×4, first 2 shown]
	v_lshl_add_u64 v[4:5], v[4:5], 3, v[24:25]
	v_mul_f64 v[6:7], v[2:3], v[6:7]
	flat_atomic_add_f64 v[4:5], v[6:7]
.LBB169_21:
	s_or_b64 exec, exec, s[4:5]
	v_fmac_f64_e32 v[18:19], v[32:33], v[30:31]
	v_fmac_f64_e32 v[22:23], v[32:33], v[28:29]
	;; [unrolled: 1-line block ×4, first 2 shown]
.LBB169_22:
	v_lshlrev_b32_e32 v1, 9, v59
	v_lshl_or_b32 v1, v0, 3, v1
	ds_write2_b64 v1, v[18:19], v[22:23] offset1:16
	ds_write2_b64 v1, v[20:21], v[16:17] offset0:32 offset1:48
	s_waitcnt lgkmcnt(0)
	s_barrier
	s_and_b64 exec, exec, vcc
	s_cbranch_execz .LBB169_24
; %bb.23:
	v_add_u32_e32 v4, 1, v58
	v_lshlrev_b32_e32 v16, 7, v58
	v_and_b32_e32 v4, 15, v4
	v_lshl_or_b32 v6, v4, 3, v16
	v_add_u32_e32 v4, 2, v58
	v_and_b32_e32 v4, 15, v4
	v_lshl_or_b32 v1, v0, 3, v16
	v_lshl_or_b32 v8, v4, 3, v16
	ds_read_b64 v[4:5], v1
	ds_read_b64 v[6:7], v6
	;; [unrolled: 1-line block ×3, first 2 shown]
	v_add_u32_e32 v1, 3, v58
	v_and_b32_e32 v1, 15, v1
	s_waitcnt lgkmcnt(0)
	v_add_f64 v[4:5], v[4:5], 0
	v_add_f64 v[4:5], v[4:5], v[6:7]
	v_add_u32_e32 v6, 5, v58
	v_and_b32_e32 v6, 15, v6
	v_lshl_or_b32 v1, v1, 3, v16
	v_add_f64 v[4:5], v[4:5], v[8:9]
	v_lshl_or_b32 v8, v6, 3, v16
	v_add_u32_e32 v6, 6, v58
	ds_read_b64 v[10:11], v1
	v_and_b32_e32 v6, 15, v6
	v_add_u32_e32 v1, 4, v58
	v_lshl_or_b32 v12, v6, 3, v16
	v_add_u32_e32 v6, 7, v58
	v_and_b32_e32 v1, 15, v1
	v_and_b32_e32 v6, 15, v6
	v_lshl_or_b32 v1, v1, 3, v16
	v_lshl_or_b32 v14, v6, 3, v16
	ds_read_b64 v[6:7], v1
	ds_read_b64 v[8:9], v8
	ds_read_b64 v[12:13], v12
	ds_read_b64 v[14:15], v14
	v_add_u32_e32 v1, 9, v58
	s_waitcnt lgkmcnt(0)
	v_add_f64 v[4:5], v[4:5], v[10:11]
	v_and_b32_e32 v1, 15, v1
	v_add_f64 v[4:5], v[4:5], v[6:7]
	v_lshl_or_b32 v6, v1, 3, v16
	v_add_u32_e32 v1, 10, v58
	v_xor_b32_e32 v0, 8, v0
	v_and_b32_e32 v1, 15, v1
	v_add_f64 v[4:5], v[4:5], v[8:9]
	v_lshl_or_b32 v0, v0, 3, v16
	v_lshl_or_b32 v8, v1, 3, v16
	ds_read_b64 v[0:1], v0
	ds_read_b64 v[6:7], v6
	;; [unrolled: 1-line block ×3, first 2 shown]
	v_add_f64 v[4:5], v[4:5], v[12:13]
	v_add_f64 v[4:5], v[4:5], v[14:15]
	v_add_u32_e32 v10, 11, v58
	s_waitcnt lgkmcnt(0)
	v_add_f64 v[0:1], v[4:5], v[0:1]
	v_add_u32_e32 v5, 13, v58
	v_and_b32_e32 v10, 15, v10
	v_and_b32_e32 v5, 15, v5
	v_lshl_or_b32 v10, v10, 3, v16
	v_add_f64 v[0:1], v[0:1], v[6:7]
	v_lshl_or_b32 v6, v5, 3, v16
	v_add_u32_e32 v5, 14, v58
	ds_read_b64 v[10:11], v10
	v_and_b32_e32 v5, 15, v5
	v_add_f64 v[0:1], v[0:1], v[8:9]
	v_add_u32_e32 v4, 12, v58
	v_lshl_or_b32 v8, v5, 3, v16
	v_add_u32_e32 v5, -1, v58
	v_and_b32_e32 v4, 15, v4
	v_and_b32_e32 v5, 15, v5
	v_lshl_or_b32 v4, v4, 3, v16
	v_lshl_or_b32 v12, v5, 3, v16
	ds_read_b64 v[4:5], v4
	ds_read_b64 v[6:7], v6
	ds_read_b64 v[8:9], v8
	ds_read_b64 v[12:13], v12
	s_waitcnt lgkmcnt(0)
	v_add_f64 v[0:1], v[0:1], v[10:11]
	v_add_f64 v[0:1], v[0:1], v[4:5]
	v_mad_u64_u32 v[4:5], s[2:3], s6, v58, 0
	v_add_f64 v[0:1], v[0:1], v[6:7]
	v_mov_b32_e32 v6, v5
	v_add_f64 v[0:1], v[0:1], v[8:9]
	v_mad_u64_u32 v[6:7], s[2:3], s7, v58, v[6:7]
	v_add_f64 v[0:1], v[0:1], v[12:13]
	v_mov_b32_e32 v5, v6
	v_lshl_add_u64 v[4:5], v[4:5], 3, s[0:1]
	v_mul_f64 v[0:1], v[2:3], v[0:1]
	flat_atomic_add_f64 v[4:5], v[0:1]
.LBB169_24:
	s_endpgm
	.section	.rodata,"a",@progbits
	.p2align	6, 0x0
	.amdhsa_kernel _ZL54rocblas_symv_kernel_lower_double_buffered_non_diagonalILi32ELi4ELi4E24rocblas_internal_val_ptrIdEPKPKdPKPdEvbiT2_lT3_lllSA_lllT4_llli
		.amdhsa_group_segment_fixed_size 6400
		.amdhsa_private_segment_fixed_size 0
		.amdhsa_kernarg_size 384
		.amdhsa_user_sgpr_count 2
		.amdhsa_user_sgpr_dispatch_ptr 0
		.amdhsa_user_sgpr_queue_ptr 0
		.amdhsa_user_sgpr_kernarg_segment_ptr 1
		.amdhsa_user_sgpr_dispatch_id 0
		.amdhsa_user_sgpr_kernarg_preload_length 0
		.amdhsa_user_sgpr_kernarg_preload_offset 0
		.amdhsa_user_sgpr_private_segment_size 0
		.amdhsa_uses_dynamic_stack 0
		.amdhsa_enable_private_segment 0
		.amdhsa_system_sgpr_workgroup_id_x 1
		.amdhsa_system_sgpr_workgroup_id_y 1
		.amdhsa_system_sgpr_workgroup_id_z 1
		.amdhsa_system_sgpr_workgroup_info 0
		.amdhsa_system_vgpr_workitem_id 1
		.amdhsa_next_free_vgpr 80
		.amdhsa_next_free_sgpr 32
		.amdhsa_accum_offset 80
		.amdhsa_reserve_vcc 1
		.amdhsa_float_round_mode_32 0
		.amdhsa_float_round_mode_16_64 0
		.amdhsa_float_denorm_mode_32 3
		.amdhsa_float_denorm_mode_16_64 3
		.amdhsa_dx10_clamp 1
		.amdhsa_ieee_mode 1
		.amdhsa_fp16_overflow 0
		.amdhsa_tg_split 0
		.amdhsa_exception_fp_ieee_invalid_op 0
		.amdhsa_exception_fp_denorm_src 0
		.amdhsa_exception_fp_ieee_div_zero 0
		.amdhsa_exception_fp_ieee_overflow 0
		.amdhsa_exception_fp_ieee_underflow 0
		.amdhsa_exception_fp_ieee_inexact 0
		.amdhsa_exception_int_div_zero 0
	.end_amdhsa_kernel
	.section	.text._ZL54rocblas_symv_kernel_lower_double_buffered_non_diagonalILi32ELi4ELi4E24rocblas_internal_val_ptrIdEPKPKdPKPdEvbiT2_lT3_lllSA_lllT4_llli,"axG",@progbits,_ZL54rocblas_symv_kernel_lower_double_buffered_non_diagonalILi32ELi4ELi4E24rocblas_internal_val_ptrIdEPKPKdPKPdEvbiT2_lT3_lllSA_lllT4_llli,comdat
.Lfunc_end169:
	.size	_ZL54rocblas_symv_kernel_lower_double_buffered_non_diagonalILi32ELi4ELi4E24rocblas_internal_val_ptrIdEPKPKdPKPdEvbiT2_lT3_lllSA_lllT4_llli, .Lfunc_end169-_ZL54rocblas_symv_kernel_lower_double_buffered_non_diagonalILi32ELi4ELi4E24rocblas_internal_val_ptrIdEPKPKdPKPdEvbiT2_lT3_lllSA_lllT4_llli
                                        ; -- End function
	.set _ZL54rocblas_symv_kernel_lower_double_buffered_non_diagonalILi32ELi4ELi4E24rocblas_internal_val_ptrIdEPKPKdPKPdEvbiT2_lT3_lllSA_lllT4_llli.num_vgpr, 80
	.set _ZL54rocblas_symv_kernel_lower_double_buffered_non_diagonalILi32ELi4ELi4E24rocblas_internal_val_ptrIdEPKPKdPKPdEvbiT2_lT3_lllSA_lllT4_llli.num_agpr, 0
	.set _ZL54rocblas_symv_kernel_lower_double_buffered_non_diagonalILi32ELi4ELi4E24rocblas_internal_val_ptrIdEPKPKdPKPdEvbiT2_lT3_lllSA_lllT4_llli.numbered_sgpr, 32
	.set _ZL54rocblas_symv_kernel_lower_double_buffered_non_diagonalILi32ELi4ELi4E24rocblas_internal_val_ptrIdEPKPKdPKPdEvbiT2_lT3_lllSA_lllT4_llli.num_named_barrier, 0
	.set _ZL54rocblas_symv_kernel_lower_double_buffered_non_diagonalILi32ELi4ELi4E24rocblas_internal_val_ptrIdEPKPKdPKPdEvbiT2_lT3_lllSA_lllT4_llli.private_seg_size, 0
	.set _ZL54rocblas_symv_kernel_lower_double_buffered_non_diagonalILi32ELi4ELi4E24rocblas_internal_val_ptrIdEPKPKdPKPdEvbiT2_lT3_lllSA_lllT4_llli.uses_vcc, 1
	.set _ZL54rocblas_symv_kernel_lower_double_buffered_non_diagonalILi32ELi4ELi4E24rocblas_internal_val_ptrIdEPKPKdPKPdEvbiT2_lT3_lllSA_lllT4_llli.uses_flat_scratch, 0
	.set _ZL54rocblas_symv_kernel_lower_double_buffered_non_diagonalILi32ELi4ELi4E24rocblas_internal_val_ptrIdEPKPKdPKPdEvbiT2_lT3_lllSA_lllT4_llli.has_dyn_sized_stack, 0
	.set _ZL54rocblas_symv_kernel_lower_double_buffered_non_diagonalILi32ELi4ELi4E24rocblas_internal_val_ptrIdEPKPKdPKPdEvbiT2_lT3_lllSA_lllT4_llli.has_recursion, 0
	.set _ZL54rocblas_symv_kernel_lower_double_buffered_non_diagonalILi32ELi4ELi4E24rocblas_internal_val_ptrIdEPKPKdPKPdEvbiT2_lT3_lllSA_lllT4_llli.has_indirect_call, 0
	.section	.AMDGPU.csdata,"",@progbits
; Kernel info:
; codeLenInByte = 2796
; TotalNumSgprs: 38
; NumVgprs: 80
; NumAgprs: 0
; TotalNumVgprs: 80
; ScratchSize: 0
; MemoryBound: 0
; FloatMode: 240
; IeeeMode: 1
; LDSByteSize: 6400 bytes/workgroup (compile time only)
; SGPRBlocks: 4
; VGPRBlocks: 9
; NumSGPRsForWavesPerEU: 38
; NumVGPRsForWavesPerEU: 80
; AccumOffset: 80
; Occupancy: 6
; WaveLimiterHint : 1
; COMPUTE_PGM_RSRC2:SCRATCH_EN: 0
; COMPUTE_PGM_RSRC2:USER_SGPR: 2
; COMPUTE_PGM_RSRC2:TRAP_HANDLER: 0
; COMPUTE_PGM_RSRC2:TGID_X_EN: 1
; COMPUTE_PGM_RSRC2:TGID_Y_EN: 1
; COMPUTE_PGM_RSRC2:TGID_Z_EN: 1
; COMPUTE_PGM_RSRC2:TIDIG_COMP_CNT: 1
; COMPUTE_PGM_RSRC3_GFX90A:ACCUM_OFFSET: 19
; COMPUTE_PGM_RSRC3_GFX90A:TG_SPLIT: 0
	.section	.text._ZL58rocblas_symv_kernel_lower_double_buffered_diagonal_genericILi32ELi4E24rocblas_internal_val_ptrIdEPKPKdPKPdEvbiT1_lT2_lllSA_lllS9_lT3_lllii,"axG",@progbits,_ZL58rocblas_symv_kernel_lower_double_buffered_diagonal_genericILi32ELi4E24rocblas_internal_val_ptrIdEPKPKdPKPdEvbiT1_lT2_lllSA_lllS9_lT3_lllii,comdat
	.globl	_ZL58rocblas_symv_kernel_lower_double_buffered_diagonal_genericILi32ELi4E24rocblas_internal_val_ptrIdEPKPKdPKPdEvbiT1_lT2_lllSA_lllS9_lT3_lllii ; -- Begin function _ZL58rocblas_symv_kernel_lower_double_buffered_diagonal_genericILi32ELi4E24rocblas_internal_val_ptrIdEPKPKdPKPdEvbiT1_lT2_lllSA_lllS9_lT3_lllii
	.p2align	8
	.type	_ZL58rocblas_symv_kernel_lower_double_buffered_diagonal_genericILi32ELi4E24rocblas_internal_val_ptrIdEPKPKdPKPdEvbiT1_lT2_lllSA_lllS9_lT3_lllii,@function
_ZL58rocblas_symv_kernel_lower_double_buffered_diagonal_genericILi32ELi4E24rocblas_internal_val_ptrIdEPKPKdPKPdEvbiT1_lT2_lllSA_lllS9_lT3_lllii: ; @_ZL58rocblas_symv_kernel_lower_double_buffered_diagonal_genericILi32ELi4E24rocblas_internal_val_ptrIdEPKPKdPKPdEvbiT1_lT2_lllSA_lllS9_lT3_lllii
; %bb.0:
	s_mov_b32 s18, s3
	s_load_dword s3, s[0:1], 0x0
	s_load_dwordx8 s[4:11], s[0:1], 0x8
	s_load_dwordx2 s[16:17], s[0:1], 0x28
	s_load_dwordx4 s[12:15], s[0:1], 0x58
	s_waitcnt lgkmcnt(0)
	s_bitcmp1_b32 s3, 0
	s_cselect_b64 s[22:23], -1, 0
	s_xor_b64 s[20:21], s[22:23], -1
	s_and_b64 vcc, exec, s[22:23]
	v_mov_b64_e32 v[4:5], s[4:5]
	s_cbranch_vccnz .LBB170_2
; %bb.1:
	s_mul_i32 s3, s7, s18
	s_mul_hi_u32 s7, s6, s18
	s_add_i32 s7, s7, s3
	s_mul_i32 s6, s6, s18
	s_lshl_b64 s[6:7], s[6:7], 3
	s_add_u32 s4, s4, s6
	s_addc_u32 s5, s5, s7
	v_mov_b64_e32 v[2:3], s[4:5]
	flat_load_dwordx2 v[4:5], v[2:3]
.LBB170_2:
	s_andn2_b64 vcc, exec, s[20:21]
	v_mov_b64_e32 v[2:3], s[12:13]
	s_cbranch_vccnz .LBB170_4
; %bb.3:
	s_mul_i32 s3, s15, s18
	s_mul_hi_u32 s4, s14, s18
	s_add_i32 s5, s4, s3
	s_mul_i32 s4, s14, s18
	s_lshl_b64 s[4:5], s[4:5], 3
	s_add_u32 s4, s12, s4
	s_addc_u32 s5, s13, s5
	v_mov_b64_e32 v[2:3], s[4:5]
	flat_load_dwordx2 v[2:3], v[2:3]
.LBB170_4:
	s_waitcnt vmcnt(0) lgkmcnt(0)
	v_cmp_neq_f64_e32 vcc, 0, v[4:5]
	v_cmp_neq_f64_e64 s[4:5], 1.0, v[2:3]
	s_or_b64 s[4:5], vcc, s[4:5]
	s_and_saveexec_b64 s[6:7], s[4:5]
	s_cbranch_execz .LBB170_66
; %bb.5:
	s_mov_b32 s19, 0
	v_cmp_neq_f64_e64 s[4:5], 0, v[4:5]
	v_cmp_eq_f64_e32 vcc, 0, v[4:5]
	v_mov_b64_e32 v[10:11], s[18:19]
	s_and_saveexec_b64 s[6:7], vcc
	s_xor_b64 s[6:7], exec, s[6:7]
; %bb.6:
	v_mov_b64_e32 v[10:11], s[18:19]
; %bb.7:
	s_or_saveexec_b64 s[12:13], s[6:7]
	s_load_dwordx2 s[6:7], s[0:1], 0x68
	v_mov_b64_e32 v[6:7], 0
	v_mov_b64_e32 v[8:9], 0
	s_xor_b64 exec, exec, s[12:13]
	s_cbranch_execz .LBB170_9
; %bb.8:
	s_lshl_b64 s[14:15], s[18:19], 3
	s_add_u32 s8, s8, s14
	s_addc_u32 s9, s9, s15
	s_load_dwordx2 s[8:9], s[8:9], 0x0
	s_lshl_b64 s[10:11], s[10:11], 3
	s_waitcnt lgkmcnt(0)
	s_add_u32 s8, s8, s10
	s_addc_u32 s9, s9, s11
	v_mov_b64_e32 v[8:9], s[8:9]
.LBB170_9:
	s_or_b64 exec, exec, s[12:13]
	s_load_dwordx4 s[8:11], s[0:1], 0x38
	s_load_dwordx2 s[12:13], s[0:1], 0x48
	s_and_saveexec_b64 s[14:15], s[4:5]
	s_cbranch_execz .LBB170_11
; %bb.10:
	s_waitcnt lgkmcnt(0)
	v_mov_b32_e32 v6, s8
	v_mov_b32_e32 v7, s9
	v_lshl_add_u64 v[6:7], v[10:11], 3, v[6:7]
	global_load_dwordx2 v[6:7], v[6:7], off
	s_waitcnt vmcnt(0)
	v_lshl_add_u64 v[6:7], s[10:11], 3, v[6:7]
.LBB170_11:
	s_or_b64 exec, exec, s[14:15]
	s_waitcnt lgkmcnt(0)
	v_lshl_add_u64 v[10:11], v[10:11], 3, s[6:7]
	global_load_dwordx2 v[10:11], v[10:11], off
	s_load_dwordx4 s[4:7], s[0:1], 0x70
	s_load_dword s18, s[0:1], 0x88
	s_lshl_b32 s19, s2, 5
	s_ashr_i32 s20, s19, 31
	v_and_b32_e32 v16, 0x3ff, v0
	s_waitcnt lgkmcnt(0)
	s_mul_i32 s3, s6, s20
	s_mul_hi_u32 s8, s6, s19
	s_mul_i32 s9, s7, s19
	s_add_i32 s3, s8, s3
	v_bfe_u32 v17, v0, 10, 10
	s_add_i32 s9, s3, s9
	s_mul_i32 s8, s6, s19
	s_waitcnt vmcnt(0)
	v_lshl_add_u64 v[0:1], s[4:5], 3, v[10:11]
	v_lshl_add_u64 v[0:1], s[8:9], 3, v[0:1]
	s_and_saveexec_b64 s[4:5], vcc
	s_xor_b64 s[4:5], exec, s[4:5]
	s_cbranch_execz .LBB170_18
; %bb.12:
	v_cmp_eq_u32_e32 vcc, 0, v17
	s_and_saveexec_b64 s[8:9], vcc
	s_cbranch_execz .LBB170_17
; %bb.13:
	v_cmp_gt_i32_e64 s[10:11], s18, v16
	v_cmp_le_i32_e32 vcc, s18, v16
	s_and_saveexec_b64 s[14:15], vcc
	s_cbranch_execz .LBB170_15
; %bb.14:
	s_load_dword s3, s[0:1], 0x90
	s_waitcnt lgkmcnt(0)
	s_add_i32 s3, s3, -1
	s_cmp_lt_u32 s2, s3
	s_cselect_b64 s[22:23], -1, 0
	s_andn2_b64 s[10:11], s[10:11], exec
	s_and_b64 s[22:23], s[22:23], exec
	s_or_b64 s[10:11], s[10:11], s[22:23]
.LBB170_15:
	s_or_b64 exec, exec, s[14:15]
	s_and_b64 exec, exec, s[10:11]
	s_cbranch_execz .LBB170_17
; %bb.16:
	v_mad_u64_u32 v[4:5], s[10:11], s6, v16, 0
	v_mov_b32_e32 v6, v5
	v_mad_u64_u32 v[6:7], s[10:11], s7, v16, v[6:7]
	v_mov_b32_e32 v5, v6
	v_lshl_add_u64 v[0:1], v[4:5], 3, v[0:1]
	flat_load_dwordx2 v[4:5], v[0:1]
	s_waitcnt vmcnt(0) lgkmcnt(0)
	v_mul_f64 v[2:3], v[2:3], v[4:5]
	flat_store_dwordx2 v[0:1], v[2:3]
.LBB170_17:
	s_or_b64 exec, exec, s[8:9]
                                        ; implicit-def: $vgpr17
                                        ; implicit-def: $vgpr4_vgpr5
                                        ; implicit-def: $vgpr2_vgpr3
                                        ; implicit-def: $vgpr16
                                        ; implicit-def: $vgpr0_vgpr1
                                        ; implicit-def: $vgpr8_vgpr9
                                        ; implicit-def: $vgpr6_vgpr7
.LBB170_18:
	s_andn2_saveexec_b64 s[4:5], s[4:5]
	s_cbranch_execz .LBB170_66
; %bb.19:
	s_mul_i32 s3, s12, s20
	s_mul_hi_u32 s4, s12, s19
	s_add_i32 s3, s4, s3
	s_load_dword s4, s[0:1], 0x90
	s_mul_i32 s0, s13, s19
	s_add_i32 s1, s3, s0
	s_mul_i32 s0, s12, s19
	v_lshl_add_u64 v[10:11], s[0:1], 3, v[6:7]
	s_waitcnt lgkmcnt(0)
	s_add_i32 s4, s4, -1
	s_cmp_lg_u32 s2, s4
	s_cselect_b64 s[2:3], -1, 0
	v_cmp_eq_u32_e64 s[0:1], 0, v17
	s_and_b64 vcc, exec, s[2:3]
	s_cbranch_vccz .LBB170_25
; %bb.20:
	v_mov_b64_e32 v[6:7], 0
	s_and_saveexec_b64 s[4:5], s[0:1]
	s_cbranch_execz .LBB170_24
; %bb.21:
	v_mad_u64_u32 v[6:7], s[8:9], s12, v16, 0
	v_mov_b32_e32 v12, v7
	v_mad_u64_u32 v[12:13], s[8:9], s13, v16, v[12:13]
	v_mov_b32_e32 v7, v12
	v_lshl_add_u64 v[6:7], v[6:7], 3, v[10:11]
	flat_load_dwordx2 v[12:13], v[6:7]
	v_lshlrev_b32_e32 v14, 3, v16
	v_mov_b64_e32 v[6:7], 0
	v_cmp_neq_f64_e32 vcc, 0, v[2:3]
	s_waitcnt vmcnt(0) lgkmcnt(0)
	ds_write_b64 v14, v[12:13] offset:10240
	s_and_saveexec_b64 s[8:9], vcc
	s_cbranch_execz .LBB170_23
; %bb.22:
	v_mad_u64_u32 v[6:7], s[10:11], s6, v16, 0
	v_mov_b32_e32 v12, v7
	v_mad_u64_u32 v[12:13], s[10:11], s7, v16, v[12:13]
	v_mov_b32_e32 v7, v12
	v_lshl_add_u64 v[6:7], v[6:7], 3, v[0:1]
	flat_load_dwordx2 v[6:7], v[6:7]
	s_waitcnt vmcnt(0) lgkmcnt(0)
	v_mul_f64 v[6:7], v[2:3], v[6:7]
.LBB170_23:
	s_or_b64 exec, exec, s[8:9]
.LBB170_24:
	s_or_b64 exec, exec, s[4:5]
	s_cbranch_execz .LBB170_26
	s_branch .LBB170_35
.LBB170_25:
                                        ; implicit-def: $vgpr6_vgpr7
.LBB170_26:
	v_mov_b64_e32 v[6:7], 0
	s_and_saveexec_b64 s[4:5], s[0:1]
	s_cbranch_execz .LBB170_34
; %bb.27:
	v_cmp_le_i32_e32 vcc, s18, v16
	s_and_saveexec_b64 s[8:9], vcc
	s_xor_b64 s[8:9], exec, s[8:9]
; %bb.28:
	v_mov_b32_e32 v10, 0
	v_lshlrev_b32_e32 v6, 3, v16
	v_mov_b32_e32 v11, v10
	ds_write_b64 v6, v[10:11] offset:10240
                                        ; implicit-def: $vgpr10_vgpr11
; %bb.29:
	s_or_saveexec_b64 s[8:9], s[8:9]
	v_mov_b64_e32 v[6:7], 0
	s_xor_b64 exec, exec, s[8:9]
	s_cbranch_execz .LBB170_33
; %bb.30:
	v_mad_u64_u32 v[6:7], s[10:11], s12, v16, 0
	v_mov_b32_e32 v12, v7
	v_mad_u64_u32 v[12:13], s[10:11], s13, v16, v[12:13]
	v_mov_b32_e32 v7, v12
	v_lshl_add_u64 v[6:7], v[6:7], 3, v[10:11]
	flat_load_dwordx2 v[10:11], v[6:7]
	v_lshlrev_b32_e32 v12, 3, v16
	v_mov_b64_e32 v[6:7], 0
	v_cmp_neq_f64_e32 vcc, 0, v[2:3]
	s_waitcnt vmcnt(0) lgkmcnt(0)
	ds_write_b64 v12, v[10:11] offset:10240
	s_and_saveexec_b64 s[10:11], vcc
	s_cbranch_execz .LBB170_32
; %bb.31:
	v_mad_u64_u32 v[6:7], s[12:13], s6, v16, 0
	v_mov_b32_e32 v10, v7
	v_mad_u64_u32 v[10:11], s[12:13], s7, v16, v[10:11]
	v_mov_b32_e32 v7, v10
	v_lshl_add_u64 v[6:7], v[6:7], 3, v[0:1]
	flat_load_dwordx2 v[6:7], v[6:7]
	s_waitcnt vmcnt(0) lgkmcnt(0)
	v_mul_f64 v[6:7], v[2:3], v[6:7]
.LBB170_32:
	s_or_b64 exec, exec, s[10:11]
.LBB170_33:
	s_or_b64 exec, exec, s[8:9]
.LBB170_34:
	s_or_b64 exec, exec, s[4:5]
.LBB170_35:
	s_add_u32 s4, s16, 1
	s_addc_u32 s5, s17, 0
	s_mul_i32 s8, s4, s20
	s_mul_hi_u32 s9, s4, s19
	s_add_i32 s8, s9, s8
	s_mul_i32 s5, s5, s19
	s_add_i32 s5, s8, s5
	v_mad_u64_u32 v[14:15], s[8:9], s16, v17, 0
	v_mov_b32_e32 v12, v15
	s_mul_i32 s4, s4, s19
	v_mad_u64_u32 v[12:13], s[8:9], s17, v17, v[12:13]
	v_lshl_add_u64 v[10:11], s[4:5], 3, v[8:9]
	v_mov_b32_e32 v15, v12
	v_lshl_add_u64 v[12:13], v[14:15], 3, v[10:11]
	v_lshlrev_b32_e32 v10, 3, v16
	v_mov_b32_e32 v11, 0
	v_lshl_add_u64 v[12:13], v[12:13], 0, v[10:11]
	v_lshlrev_b32_e32 v11, 8, v17
	v_lshlrev_b32_e32 v20, 5, v17
	s_mov_b64 s[8:9], -1
	s_andn2_b64 vcc, exec, s[2:3]
	v_add_u32_e32 v18, v10, v11
	s_cbranch_vccnz .LBB170_37
; %bb.36:
	s_lshl_b64 s[8:9], s[16:17], 5
	v_lshl_add_u64 v[22:23], v[12:13], 0, s[8:9]
	v_lshl_add_u64 v[24:25], v[22:23], 0, s[8:9]
	;; [unrolled: 1-line block ×3, first 2 shown]
	flat_load_dwordx2 v[28:29], v[12:13]
	flat_load_dwordx2 v[30:31], v[22:23]
	;; [unrolled: 1-line block ×4, first 2 shown]
	v_lshl_add_u64 v[22:23], v[26:27], 0, s[8:9]
	v_lshl_add_u64 v[24:25], v[22:23], 0, s[8:9]
	;; [unrolled: 1-line block ×4, first 2 shown]
	flat_load_dwordx2 v[38:39], v[22:23]
	flat_load_dwordx2 v[40:41], v[24:25]
	;; [unrolled: 1-line block ×4, first 2 shown]
	s_mov_b64 s[8:9], 0
	s_waitcnt vmcnt(0) lgkmcnt(0)
	ds_write2st64_b64 v18, v[28:29], v[30:31] offset1:2
	ds_write2st64_b64 v18, v[32:33], v[34:35] offset0:4 offset1:6
	ds_write2st64_b64 v18, v[38:39], v[40:41] offset0:8 offset1:10
	;; [unrolled: 1-line block ×3, first 2 shown]
.LBB170_37:
	s_andn2_b64 vcc, exec, s[8:9]
	v_add_u32_e32 v19, v20, v16
	s_cbranch_vccnz .LBB170_45
; %bb.38:
	s_mov_b32 s8, 0
	s_mov_b32 s9, s8
	v_mov_b64_e32 v[22:23], s[8:9]
	v_cmp_gt_i32_e32 vcc, s18, v16
	ds_write2st64_b64 v18, v[22:23], v[22:23] offset1:2
	ds_write2st64_b64 v18, v[22:23], v[22:23] offset0:4 offset1:6
	ds_write2st64_b64 v18, v[22:23], v[22:23] offset0:8 offset1:10
	;; [unrolled: 1-line block ×3, first 2 shown]
	s_and_saveexec_b64 s[10:11], vcc
	s_cbranch_execz .LBB170_44
; %bb.39:
	s_cmp_lt_u32 s18, 4
	s_cbranch_scc1 .LBB170_42
; %bb.40:
	v_lshlrev_b64 v[14:15], 3, v[14:15]
	v_lshl_add_u64 v[14:15], s[4:5], 3, v[14:15]
	v_mov_b32_e32 v11, 0
	s_lshr_b32 s8, s18, 2
	v_lshl_add_u64 v[14:15], v[14:15], 0, v[10:11]
	v_lshl_add_u32 v21, v20, 3, v10
	v_lshl_add_u64 v[8:9], v[8:9], 0, v[14:15]
	s_lshl_b64 s[4:5], s[16:17], 5
	s_mov_b32 s9, s8
.LBB170_41:                             ; =>This Inner Loop Header: Depth=1
	flat_load_dwordx2 v[14:15], v[8:9]
	s_add_i32 s9, s9, -1
	v_lshl_add_u64 v[8:9], v[8:9], 0, s[4:5]
	s_cmp_lg_u32 s9, 0
	s_waitcnt vmcnt(0) lgkmcnt(0)
	ds_write_b64 v21, v[14:15]
	v_add_u32_e32 v21, 0x400, v21
	s_cbranch_scc1 .LBB170_41
.LBB170_42:
	s_and_b32 s4, s18, 3
	v_cmp_gt_u32_e32 vcc, s4, v17
	s_and_b64 exec, exec, vcc
	s_cbranch_execz .LBB170_44
; %bb.43:
	s_lshl_b32 s4, s8, 2
	s_mul_i32 s5, s17, s4
	s_mul_hi_u32 s9, s16, s4
	s_add_i32 s5, s9, s5
	s_mul_i32 s4, s16, s4
	v_lshl_add_u64 v[8:9], s[4:5], 3, v[12:13]
	flat_load_dwordx2 v[8:9], v[8:9]
	v_lshlrev_b32_e32 v11, 3, v19
	v_lshl_add_u32 v11, s8, 10, v11
	s_waitcnt vmcnt(0) lgkmcnt(0)
	ds_write_b64 v11, v[8:9]
.LBB170_44:
	s_or_b64 exec, exec, s[10:11]
.LBB170_45:
	v_cmp_ge_u32_e32 vcc, v16, v17
	v_lshlrev_b32_e32 v9, 8, v16
	s_waitcnt lgkmcnt(0)
	s_barrier
	s_and_saveexec_b64 s[4:5], vcc
	s_xor_b64 s[4:5], exec, s[4:5]
; %bb.46:
	v_lshlrev_b32_e32 v9, 8, v16
                                        ; implicit-def: $vgpr20
; %bb.47:
	s_or_saveexec_b64 s[4:5], s[4:5]
	v_lshlrev_b32_e32 v8, 3, v17
	s_xor_b64 exec, exec, s[4:5]
	s_cbranch_execz .LBB170_49
; %bb.48:
	v_mul_u32_u24_e32 v11, 0xf8, v16
	v_add3_u32 v11, v10, v11, v8
	ds_read_b64 v[12:13], v11
	v_lshl_add_u32 v11, v20, 3, v10
	s_waitcnt lgkmcnt(0)
	ds_write_b64 v11, v[12:13]
.LBB170_49:
	s_or_b64 exec, exec, s[4:5]
	v_sub_u32_e32 v11, v16, v17
	v_sub_u32_e32 v12, 0, v11
	v_max_i32_e32 v12, v11, v12
	v_cmp_gt_u32_e32 vcc, 4, v12
	v_lshl_add_u32 v11, v17, 3, v9
	v_lshl_add_u32 v9, v17, 8, v10
	s_and_saveexec_b64 s[4:5], vcc
	s_cbranch_execnz .LBB170_67
; %bb.50:
	s_or_b64 exec, exec, s[4:5]
	v_cmp_gt_u32_e32 vcc, 8, v12
	s_and_saveexec_b64 s[4:5], vcc
	s_cbranch_execnz .LBB170_68
.LBB170_51:
	s_or_b64 exec, exec, s[4:5]
	v_cmp_gt_u32_e32 vcc, 12, v12
	s_and_saveexec_b64 s[4:5], vcc
	s_cbranch_execnz .LBB170_69
.LBB170_52:
	s_or_b64 exec, exec, s[4:5]
	v_cmp_gt_u32_e32 vcc, 16, v12
	s_and_saveexec_b64 s[4:5], vcc
	s_cbranch_execnz .LBB170_70
.LBB170_53:
	s_or_b64 exec, exec, s[4:5]
	v_cmp_gt_u32_e32 vcc, 20, v12
	s_and_saveexec_b64 s[4:5], vcc
	s_cbranch_execnz .LBB170_71
.LBB170_54:
	s_or_b64 exec, exec, s[4:5]
	v_cmp_gt_u32_e32 vcc, 24, v12
	s_and_saveexec_b64 s[4:5], vcc
	s_cbranch_execz .LBB170_56
.LBB170_55:
	ds_read_b64 v[14:15], v11 offset:192
	s_waitcnt lgkmcnt(0)
	ds_write_b64 v18, v[14:15] offset:6144
.LBB170_56:
	s_or_b64 exec, exec, s[4:5]
	v_cmp_lt_u32_e32 vcc, 27, v12
	v_add_u32_e32 v12, 28, v17
                                        ; implicit-def: $vgpr13
	s_and_saveexec_b64 s[4:5], vcc
	s_xor_b64 s[4:5], exec, s[4:5]
; %bb.57:
	v_add_u32_e32 v12, 28, v17
	v_lshlrev_b32_e32 v13, 8, v12
                                        ; implicit-def: $vgpr11
; %bb.58:
	s_andn2_saveexec_b64 s[4:5], s[4:5]
	s_cbranch_execz .LBB170_60
; %bb.59:
	ds_read_b64 v[14:15], v11 offset:224
	v_lshlrev_b32_e32 v13, 8, v12
	v_add_u32_e32 v11, v10, v13
	s_waitcnt lgkmcnt(0)
	ds_write_b64 v11, v[14:15]
.LBB170_60:
	s_or_b64 exec, exec, s[4:5]
	v_add_u32_e32 v11, 0x2800, v8
	s_waitcnt lgkmcnt(0)
	s_barrier
	ds_read_b64 v[14:15], v18
	ds_read2_b64 v[20:23], v11 offset1:4
	v_add_u32_e32 v13, v10, v13
	v_lshlrev_b32_e32 v12, 3, v12
	ds_read_b64 v[40:41], v8 offset:10432
	ds_read_b64 v[42:43], v13
	ds_read_b64 v[44:45], v12 offset:10240
	v_lshlrev_b32_e32 v8, 3, v19
	s_waitcnt lgkmcnt(0)
	v_fma_f64 v[20:21], v[14:15], v[20:21], 0
	ds_read2st64_b64 v[12:15], v9 offset0:2 offset1:4
	ds_read2_b64 v[24:27], v11 offset0:8 offset1:12
	ds_read2st64_b64 v[28:31], v9 offset0:6 offset1:8
	ds_read2_b64 v[32:35], v11 offset0:16 offset1:20
	ds_read2st64_b64 v[36:39], v9 offset0:10 offset1:12
	s_waitcnt lgkmcnt(0)
	v_fmac_f64_e32 v[20:21], v[12:13], v[22:23]
	v_fmac_f64_e32 v[20:21], v[14:15], v[24:25]
	;; [unrolled: 1-line block ×7, first 2 shown]
	ds_write_b64 v8, v[20:21] offset:8192
	s_waitcnt lgkmcnt(0)
	s_barrier
	s_and_saveexec_b64 s[4:5], s[0:1]
	s_cbranch_execz .LBB170_66
; %bb.61:
	v_add_u32_e32 v12, 0x2000, v10
	ds_read2_b64 v[8:11], v12 offset1:32
	ds_read2_b64 v[12:15], v12 offset0:64 offset1:96
	v_cmp_neq_f64_e32 vcc, 0, v[2:3]
	s_mov_b64 s[0:1], -1
	s_waitcnt lgkmcnt(0)
	v_add_f64 v[8:9], v[8:9], 0
	v_add_f64 v[8:9], v[8:9], v[10:11]
	;; [unrolled: 1-line block ×4, first 2 shown]
	v_mul_f64 v[10:11], v[4:5], v[8:9]
	v_fmac_f64_e32 v[6:7], v[4:5], v[8:9]
	v_cndmask_b32_e32 v3, v11, v7, vcc
	v_cndmask_b32_e32 v2, v10, v6, vcc
	s_and_b64 vcc, exec, s[2:3]
	s_cbranch_vccz .LBB170_63
; %bb.62:
	v_mad_u64_u32 v[4:5], s[0:1], s6, v16, 0
	v_mov_b32_e32 v6, v5
	v_mad_u64_u32 v[6:7], s[0:1], s7, v16, v[6:7]
	v_mov_b32_e32 v5, v6
	v_lshl_add_u64 v[4:5], v[4:5], 3, v[0:1]
	flat_store_dwordx2 v[4:5], v[2:3]
	s_mov_b64 s[0:1], 0
.LBB170_63:
	s_andn2_b64 vcc, exec, s[0:1]
	s_cbranch_vccnz .LBB170_66
; %bb.64:
	v_cmp_gt_i32_e32 vcc, s18, v16
	s_and_b64 exec, exec, vcc
	s_cbranch_execz .LBB170_66
; %bb.65:
	v_mad_u64_u32 v[4:5], s[0:1], s6, v16, 0
	v_mov_b32_e32 v6, v5
	v_mad_u64_u32 v[6:7], s[0:1], s7, v16, v[6:7]
	v_mov_b32_e32 v5, v6
	v_lshl_add_u64 v[0:1], v[4:5], 3, v[0:1]
	flat_store_dwordx2 v[0:1], v[2:3]
.LBB170_66:
	s_endpgm
.LBB170_67:
	ds_read_b64 v[14:15], v11 offset:32
	s_waitcnt lgkmcnt(0)
	ds_write_b64 v9, v[14:15] offset:1024
	s_or_b64 exec, exec, s[4:5]
	v_cmp_gt_u32_e32 vcc, 8, v12
	s_and_saveexec_b64 s[4:5], vcc
	s_cbranch_execz .LBB170_51
.LBB170_68:
	ds_read_b64 v[14:15], v11 offset:64
	s_waitcnt lgkmcnt(0)
	ds_write_b64 v9, v[14:15] offset:2048
	s_or_b64 exec, exec, s[4:5]
	v_cmp_gt_u32_e32 vcc, 12, v12
	s_and_saveexec_b64 s[4:5], vcc
	s_cbranch_execz .LBB170_52
.LBB170_69:
	ds_read_b64 v[14:15], v11 offset:96
	s_waitcnt lgkmcnt(0)
	ds_write_b64 v9, v[14:15] offset:3072
	s_or_b64 exec, exec, s[4:5]
	v_cmp_gt_u32_e32 vcc, 16, v12
	s_and_saveexec_b64 s[4:5], vcc
	s_cbranch_execz .LBB170_53
.LBB170_70:
	ds_read_b64 v[14:15], v11 offset:128
	s_waitcnt lgkmcnt(0)
	ds_write_b64 v18, v[14:15] offset:4096
	s_or_b64 exec, exec, s[4:5]
	v_cmp_gt_u32_e32 vcc, 20, v12
	s_and_saveexec_b64 s[4:5], vcc
	s_cbranch_execz .LBB170_54
.LBB170_71:
	ds_read_b64 v[14:15], v11 offset:160
	s_waitcnt lgkmcnt(0)
	ds_write_b64 v18, v[14:15] offset:5120
	s_or_b64 exec, exec, s[4:5]
	v_cmp_gt_u32_e32 vcc, 24, v12
	s_and_saveexec_b64 s[4:5], vcc
	s_cbranch_execnz .LBB170_55
	s_branch .LBB170_56
	.section	.rodata,"a",@progbits
	.p2align	6, 0x0
	.amdhsa_kernel _ZL58rocblas_symv_kernel_lower_double_buffered_diagonal_genericILi32ELi4E24rocblas_internal_val_ptrIdEPKPKdPKPdEvbiT1_lT2_lllSA_lllS9_lT3_lllii
		.amdhsa_group_segment_fixed_size 10496
		.amdhsa_private_segment_fixed_size 0
		.amdhsa_kernarg_size 400
		.amdhsa_user_sgpr_count 2
		.amdhsa_user_sgpr_dispatch_ptr 0
		.amdhsa_user_sgpr_queue_ptr 0
		.amdhsa_user_sgpr_kernarg_segment_ptr 1
		.amdhsa_user_sgpr_dispatch_id 0
		.amdhsa_user_sgpr_kernarg_preload_length 0
		.amdhsa_user_sgpr_kernarg_preload_offset 0
		.amdhsa_user_sgpr_private_segment_size 0
		.amdhsa_uses_dynamic_stack 0
		.amdhsa_enable_private_segment 0
		.amdhsa_system_sgpr_workgroup_id_x 1
		.amdhsa_system_sgpr_workgroup_id_y 0
		.amdhsa_system_sgpr_workgroup_id_z 1
		.amdhsa_system_sgpr_workgroup_info 0
		.amdhsa_system_vgpr_workitem_id 1
		.amdhsa_next_free_vgpr 46
		.amdhsa_next_free_sgpr 24
		.amdhsa_accum_offset 48
		.amdhsa_reserve_vcc 1
		.amdhsa_float_round_mode_32 0
		.amdhsa_float_round_mode_16_64 0
		.amdhsa_float_denorm_mode_32 3
		.amdhsa_float_denorm_mode_16_64 3
		.amdhsa_dx10_clamp 1
		.amdhsa_ieee_mode 1
		.amdhsa_fp16_overflow 0
		.amdhsa_tg_split 0
		.amdhsa_exception_fp_ieee_invalid_op 0
		.amdhsa_exception_fp_denorm_src 0
		.amdhsa_exception_fp_ieee_div_zero 0
		.amdhsa_exception_fp_ieee_overflow 0
		.amdhsa_exception_fp_ieee_underflow 0
		.amdhsa_exception_fp_ieee_inexact 0
		.amdhsa_exception_int_div_zero 0
	.end_amdhsa_kernel
	.section	.text._ZL58rocblas_symv_kernel_lower_double_buffered_diagonal_genericILi32ELi4E24rocblas_internal_val_ptrIdEPKPKdPKPdEvbiT1_lT2_lllSA_lllS9_lT3_lllii,"axG",@progbits,_ZL58rocblas_symv_kernel_lower_double_buffered_diagonal_genericILi32ELi4E24rocblas_internal_val_ptrIdEPKPKdPKPdEvbiT1_lT2_lllSA_lllS9_lT3_lllii,comdat
.Lfunc_end170:
	.size	_ZL58rocblas_symv_kernel_lower_double_buffered_diagonal_genericILi32ELi4E24rocblas_internal_val_ptrIdEPKPKdPKPdEvbiT1_lT2_lllSA_lllS9_lT3_lllii, .Lfunc_end170-_ZL58rocblas_symv_kernel_lower_double_buffered_diagonal_genericILi32ELi4E24rocblas_internal_val_ptrIdEPKPKdPKPdEvbiT1_lT2_lllSA_lllS9_lT3_lllii
                                        ; -- End function
	.set _ZL58rocblas_symv_kernel_lower_double_buffered_diagonal_genericILi32ELi4E24rocblas_internal_val_ptrIdEPKPKdPKPdEvbiT1_lT2_lllSA_lllS9_lT3_lllii.num_vgpr, 46
	.set _ZL58rocblas_symv_kernel_lower_double_buffered_diagonal_genericILi32ELi4E24rocblas_internal_val_ptrIdEPKPKdPKPdEvbiT1_lT2_lllSA_lllS9_lT3_lllii.num_agpr, 0
	.set _ZL58rocblas_symv_kernel_lower_double_buffered_diagonal_genericILi32ELi4E24rocblas_internal_val_ptrIdEPKPKdPKPdEvbiT1_lT2_lllSA_lllS9_lT3_lllii.numbered_sgpr, 24
	.set _ZL58rocblas_symv_kernel_lower_double_buffered_diagonal_genericILi32ELi4E24rocblas_internal_val_ptrIdEPKPKdPKPdEvbiT1_lT2_lllSA_lllS9_lT3_lllii.num_named_barrier, 0
	.set _ZL58rocblas_symv_kernel_lower_double_buffered_diagonal_genericILi32ELi4E24rocblas_internal_val_ptrIdEPKPKdPKPdEvbiT1_lT2_lllSA_lllS9_lT3_lllii.private_seg_size, 0
	.set _ZL58rocblas_symv_kernel_lower_double_buffered_diagonal_genericILi32ELi4E24rocblas_internal_val_ptrIdEPKPKdPKPdEvbiT1_lT2_lllSA_lllS9_lT3_lllii.uses_vcc, 1
	.set _ZL58rocblas_symv_kernel_lower_double_buffered_diagonal_genericILi32ELi4E24rocblas_internal_val_ptrIdEPKPKdPKPdEvbiT1_lT2_lllSA_lllS9_lT3_lllii.uses_flat_scratch, 0
	.set _ZL58rocblas_symv_kernel_lower_double_buffered_diagonal_genericILi32ELi4E24rocblas_internal_val_ptrIdEPKPKdPKPdEvbiT1_lT2_lllSA_lllS9_lT3_lllii.has_dyn_sized_stack, 0
	.set _ZL58rocblas_symv_kernel_lower_double_buffered_diagonal_genericILi32ELi4E24rocblas_internal_val_ptrIdEPKPKdPKPdEvbiT1_lT2_lllSA_lllS9_lT3_lllii.has_recursion, 0
	.set _ZL58rocblas_symv_kernel_lower_double_buffered_diagonal_genericILi32ELi4E24rocblas_internal_val_ptrIdEPKPKdPKPdEvbiT1_lT2_lllSA_lllS9_lT3_lllii.has_indirect_call, 0
	.section	.AMDGPU.csdata,"",@progbits
; Kernel info:
; codeLenInByte = 2448
; TotalNumSgprs: 30
; NumVgprs: 46
; NumAgprs: 0
; TotalNumVgprs: 46
; ScratchSize: 0
; MemoryBound: 0
; FloatMode: 240
; IeeeMode: 1
; LDSByteSize: 10496 bytes/workgroup (compile time only)
; SGPRBlocks: 3
; VGPRBlocks: 5
; NumSGPRsForWavesPerEU: 30
; NumVGPRsForWavesPerEU: 46
; AccumOffset: 48
; Occupancy: 8
; WaveLimiterHint : 1
; COMPUTE_PGM_RSRC2:SCRATCH_EN: 0
; COMPUTE_PGM_RSRC2:USER_SGPR: 2
; COMPUTE_PGM_RSRC2:TRAP_HANDLER: 0
; COMPUTE_PGM_RSRC2:TGID_X_EN: 1
; COMPUTE_PGM_RSRC2:TGID_Y_EN: 0
; COMPUTE_PGM_RSRC2:TGID_Z_EN: 1
; COMPUTE_PGM_RSRC2:TIDIG_COMP_CNT: 1
; COMPUTE_PGM_RSRC3_GFX90A:ACCUM_OFFSET: 11
; COMPUTE_PGM_RSRC3_GFX90A:TG_SPLIT: 0
	.section	.text._ZL62rocblas_symv_kernel_lower_double_buffered_non_diagonal_genericILi32ELi4ELi4E24rocblas_internal_val_ptrIdEPKPKdPKPdEvbiT2_lT3_lllSA_lllT4_lllii,"axG",@progbits,_ZL62rocblas_symv_kernel_lower_double_buffered_non_diagonal_genericILi32ELi4ELi4E24rocblas_internal_val_ptrIdEPKPKdPKPdEvbiT2_lT3_lllSA_lllT4_lllii,comdat
	.globl	_ZL62rocblas_symv_kernel_lower_double_buffered_non_diagonal_genericILi32ELi4ELi4E24rocblas_internal_val_ptrIdEPKPKdPKPdEvbiT2_lT3_lllSA_lllT4_lllii ; -- Begin function _ZL62rocblas_symv_kernel_lower_double_buffered_non_diagonal_genericILi32ELi4ELi4E24rocblas_internal_val_ptrIdEPKPKdPKPdEvbiT2_lT3_lllSA_lllT4_lllii
	.p2align	8
	.type	_ZL62rocblas_symv_kernel_lower_double_buffered_non_diagonal_genericILi32ELi4ELi4E24rocblas_internal_val_ptrIdEPKPKdPKPdEvbiT2_lT3_lllSA_lllT4_lllii,@function
_ZL62rocblas_symv_kernel_lower_double_buffered_non_diagonal_genericILi32ELi4ELi4E24rocblas_internal_val_ptrIdEPKPKdPKPdEvbiT2_lT3_lllSA_lllT4_lllii: ; @_ZL62rocblas_symv_kernel_lower_double_buffered_non_diagonal_genericILi32ELi4ELi4E24rocblas_internal_val_ptrIdEPKPKdPKPdEvbiT2_lT3_lllSA_lllT4_lllii
; %bb.0:
	s_load_dword s5, s[0:1], 0x0
	s_load_dwordx8 s[8:15], s[0:1], 0x8
	s_load_dwordx2 s[6:7], s[0:1], 0x28
	s_waitcnt lgkmcnt(0)
	s_bitcmp1_b32 s5, 0
	s_cselect_b64 s[16:17], -1, 0
	s_and_b64 vcc, exec, s[16:17]
	v_mov_b64_e32 v[2:3], s[8:9]
	s_cbranch_vccnz .LBB171_2
; %bb.1:
	s_mul_i32 s5, s11, s4
	s_mul_hi_u32 s11, s10, s4
	s_add_i32 s11, s11, s5
	s_mul_i32 s10, s10, s4
	s_lshl_b64 s[10:11], s[10:11], 3
	s_add_u32 s8, s8, s10
	s_addc_u32 s9, s9, s11
	v_mov_b64_e32 v[2:3], s[8:9]
	flat_load_dwordx2 v[2:3], v[2:3]
.LBB171_2:
	s_waitcnt vmcnt(0) lgkmcnt(0)
	v_cmp_neq_f64_e32 vcc, 0, v[2:3]
	s_and_saveexec_b64 s[8:9], vcc
	s_cbranch_execz .LBB171_35
; %bb.3:
	s_load_dwordx2 s[8:9], s[0:1], 0x80
	s_waitcnt lgkmcnt(0)
	v_cvt_f32_u32_e32 v1, s9
	s_add_i32 s24, s8, -1
	s_cmp_eq_u32 s2, s24
	v_rcp_iflag_f32_e32 v1, v1
	s_nop 0
	v_mul_f32_e32 v1, 0x4f7ffffe, v1
	v_cvt_u32_f32_e32 v1, v1
	s_nop 0
	v_readfirstlane_b32 s10, v1
	s_cbranch_scc1 .LBB171_35
; %bb.4:
	s_sub_i32 s11, 0, s9
	s_not_b32 s5, s2
	s_mul_i32 s11, s11, s10
	s_add_i32 s24, s24, s5
	s_mov_b32 s5, 0
	s_mul_hi_u32 s11, s10, s11
	s_load_dwordx4 s[20:23], s[0:1], 0x38
	s_load_dwordx2 s[16:17], s[0:1], 0x48
	s_add_i32 s10, s10, s11
	s_lshl_b64 s[4:5], s[4:5], 3
	s_add_u32 s18, s12, s4
	s_addc_u32 s19, s13, s5
	s_load_dwordx2 s[26:27], s[0:1], 0x58
	s_mul_hi_u32 s25, s24, s10
	s_waitcnt lgkmcnt(0)
	s_add_u32 s10, s20, s4
	s_addc_u32 s11, s21, s5
	s_load_dwordx2 s[10:11], s[10:11], 0x0
	s_add_u32 s20, s26, s4
	s_addc_u32 s21, s27, s5
	s_lshl_b64 s[4:5], s[22:23], 3
	v_and_b32_e32 v60, 0x3ff, v0
	s_waitcnt lgkmcnt(0)
	s_add_u32 s22, s10, s4
	s_addc_u32 s23, s11, s5
	s_lshl_b32 s28, s2, 5
	s_ashr_i32 s29, s28, 31
	s_mul_i32 s4, s16, s29
	s_mul_hi_u32 s5, s16, s28
	s_add_i32 s4, s5, s4
	s_mul_i32 s5, s17, s28
	s_add_i32 s5, s4, s5
	s_mul_i32 s4, s16, s28
	s_lshl_b64 s[4:5], s[4:5], 3
	v_bfe_u32 v0, v0, 10, 10
	s_add_u32 s10, s22, s4
	s_addc_u32 s11, s23, s5
	v_cmp_eq_u32_e64 s[4:5], 0, v0
	s_and_saveexec_b64 s[12:13], s[4:5]
	s_cbranch_execz .LBB171_6
; %bb.5:
	v_mad_u64_u32 v[4:5], s[26:27], s16, v60, 0
	v_mov_b32_e32 v6, v5
	v_mad_u64_u32 v[6:7], s[26:27], s17, v60, v[6:7]
	v_mov_b32_e32 v5, v6
	v_lshl_add_u64 v[4:5], v[4:5], 3, s[10:11]
	flat_load_dwordx2 v[4:5], v[4:5]
	v_lshlrev_b32_e32 v1, 3, v60
	s_waitcnt vmcnt(0) lgkmcnt(0)
	ds_write_b64 v1, v[4:5] offset:6144
.LBB171_6:
	s_or_b64 exec, exec, s[12:13]
	s_mul_i32 s12, s25, s9
	s_sub_i32 s12, s24, s12
	s_add_i32 s13, s25, 1
	s_sub_i32 s26, s12, s9
	s_cmp_ge_u32 s12, s9
	s_cselect_b32 s13, s13, s25
	s_cselect_b32 s12, s26, s12
	s_add_i32 s25, s13, 1
	s_cmp_ge_u32 s12, s9
	s_cselect_b32 s25, s25, s13
	s_add_i32 s26, s9, -1
	s_cmp_eq_u32 s3, s26
	s_cselect_b64 s[12:13], -1, 0
	s_cmp_lg_u32 s3, s26
	s_mov_b32 s33, s25
	s_cbranch_scc1 .LBB171_8
; %bb.7:
	s_mul_i32 s9, s25, s9
	s_sub_i32 s9, s24, s9
	s_add_i32 s33, s9, s25
.LBB171_8:
	s_cmp_lg_u32 s3, s26
	s_cselect_b64 s[26:27], -1, 0
	s_cmp_eq_u32 s33, 0
	s_cselect_b64 s[30:31], -1, 0
	s_and_b64 s[26:27], s[26:27], s[30:31]
	s_and_b64 vcc, exec, s[26:27]
	s_cbranch_vccnz .LBB171_35
; %bb.9:
	s_load_dwordx2 s[30:31], s[18:19], 0x0
	s_load_dwordx2 s[26:27], s[20:21], 0x0
	s_mul_i32 s3, s3, s25
	s_lshl_b32 s24, s3, 5
	s_ashr_i32 s25, s24, 31
	s_lshl_b64 s[14:15], s[14:15], 3
	s_waitcnt lgkmcnt(0)
	s_add_u32 s3, s30, s14
	s_addc_u32 s9, s31, s15
	s_add_u32 s14, s6, 1
	s_addc_u32 s15, s7, 0
	s_mul_i32 s18, s14, s29
	s_mul_hi_u32 s19, s14, s28
	s_add_i32 s18, s19, s18
	s_mul_i32 s15, s15, s28
	s_add_i32 s15, s18, s15
	s_mul_i32 s14, s14, s28
	s_lshl_b64 s[14:15], s[14:15], 3
	s_add_u32 s3, s3, s14
	s_addc_u32 s9, s9, s15
	s_lshl_b64 s[30:31], s[24:25], 3
	s_add_u32 s18, s3, s30
	s_addc_u32 s19, s9, s31
	s_mul_i32 s3, s16, s25
	s_mul_hi_u32 s9, s16, s24
	s_add_i32 s3, s9, s3
	s_mul_i32 s9, s17, s24
	s_add_i32 s15, s3, s9
	s_mul_i32 s14, s16, s24
	v_lshl_add_u32 v1, v0, 5, v60
	s_lshl_b64 s[14:15], s[14:15], 3
	v_lshrrev_b32_e32 v61, 4, v1
	s_add_u32 s20, s10, s14
	v_and_b32_e32 v0, 15, v60
	v_lshlrev_b32_e32 v62, 2, v61
	v_mov_b32_e32 v1, 0
	s_addc_u32 s21, s11, s15
	v_mad_u64_u32 v[6:7], s[10:11], s6, v62, v[0:1]
	v_mov_b32_e32 v4, v7
	v_mad_u64_u32 v[4:5], s[10:11], s7, v62, v[4:5]
	s_lshl_b64 s[14:15], s[16:17], 5
	s_add_i32 s3, s8, -2
	v_mov_b32_e32 v7, v4
	v_mov_b64_e32 v[4:5], 0
	s_cmp_ge_u32 s2, s3
	v_mov_b64_e32 v[74:75], 0
	v_mov_b64_e32 v[66:67], 0
	;; [unrolled: 1-line block ×5, first 2 shown]
	s_barrier
	s_cbranch_scc1 .LBB171_11
; %bb.10:
	v_lshl_add_u64 v[8:9], v[6:7], 3, s[18:19]
	v_lshl_add_u64 v[10:11], s[6:7], 3, v[8:9]
	;; [unrolled: 1-line block ×3, first 2 shown]
	flat_load_dwordx2 v[66:67], v[8:9] offset:256
	flat_load_dwordx2 v[68:69], v[10:11] offset:256
	;; [unrolled: 1-line block ×3, first 2 shown]
	v_mad_u64_u32 v[8:9], s[8:9], s6, 24, v[8:9]
	v_mov_b32_e32 v10, v9
	v_mad_u64_u32 v[10:11], s[8:9], s7, 24, v[10:11]
	v_mov_b32_e32 v9, v10
	flat_load_dwordx2 v[72:73], v[8:9] offset:256
	v_mad_u64_u32 v[8:9], s[8:9], s16, v0, 0
	s_lshl_b64 s[2:3], s[14:15], 3
	v_mov_b32_e32 v10, v9
	s_add_u32 s2, s20, s2
	v_mad_u64_u32 v[10:11], s[8:9], s17, v0, v[10:11]
	s_addc_u32 s3, s21, s3
	v_mov_b32_e32 v9, v10
	v_lshl_add_u64 v[8:9], v[8:9], 3, s[2:3]
	flat_load_dwordx2 v[74:75], v[8:9]
.LBB171_11:
	s_load_dwordx4 s[8:11], s[0:1], 0x60
	s_waitcnt lgkmcnt(0)
	s_lshl_b64 s[2:3], s[8:9], 3
	s_mul_i32 s8, s10, s29
	s_mul_hi_u32 s9, s10, s28
	s_add_u32 s26, s26, s2
	s_mul_i32 s34, s11, s28
	s_addc_u32 s27, s27, s3
	s_add_i32 s2, s9, s8
	s_add_i32 s3, s2, s34
	s_mul_i32 s2, s10, s28
	s_lshl_b64 s[2:3], s[2:3], 3
	s_add_u32 s2, s26, s2
	s_mul_i32 s8, s10, s25
	s_mul_hi_u32 s9, s10, s24
	s_addc_u32 s3, s27, s3
	s_add_i32 s8, s9, s8
	s_mul_i32 s9, s11, s24
	s_add_i32 s9, s8, s9
	s_mul_i32 s8, s10, s24
	s_lshl_b64 s[8:9], s[8:9], 3
	s_add_u32 s26, s2, s8
	s_addc_u32 s27, s3, s9
	s_cmp_lt_i32 s33, 1
	s_cbranch_scc1 .LBB171_18
; %bb.12:
	v_mov_b32_e32 v4, 0x1800
	v_mad_u64_u32 v[16:17], s[24:25], s10, v60, 0
	v_mov_b32_e32 v1, 0x1000
	v_lshl_add_u32 v64, v62, 3, v4
	v_mov_b32_e32 v4, v17
	v_lshl_or_b32 v8, v0, 3, v1
	v_lshlrev_b32_e32 v9, 8, v61
	s_lshl_b64 s[8:9], s[10:11], 8
	v_mad_u64_u32 v[4:5], s[24:25], s11, v60, v[4:5]
	v_lshl_add_u32 v1, v60, 3, v1
	v_mov_b32_e32 v17, v4
	s_cmp_lg_u32 s33, 1
	v_add_u32_e32 v63, v8, v9
	s_cbranch_scc0 .LBB171_19
; %bb.13:
	v_mad_u64_u32 v[4:5], s[34:35], s6, v61, 0
	v_mov_b32_e32 v8, v5
	v_mad_u64_u32 v[8:9], s[34:35], s7, v61, v[8:9]
	v_mov_b32_e32 v5, v8
	v_lshlrev_b64 v[4:5], 5, v[4:5]
	v_lshlrev_b32_e32 v8, 3, v0
	v_mov_b32_e32 v9, 0
	v_lshlrev_b32_e32 v10, 5, v61
	v_lshl_add_u64 v[20:21], v[4:5], 0, v[8:9]
	v_or_b32_e32 v5, 16, v10
	v_mad_u64_u32 v[30:31], s[34:35], s6, v5, v[8:9]
	v_mov_b32_e32 v4, v31
	v_mad_u64_u32 v[4:5], s[34:35], s7, v5, v[4:5]
	v_or_b32_e32 v5, 24, v10
	v_mad_u64_u32 v[32:33], s[34:35], s6, v5, v[8:9]
	v_mov_b32_e32 v31, v4
	v_mov_b32_e32 v4, v33
	v_mad_u64_u32 v[4:5], s[34:35], s7, v5, v[4:5]
	s_lshl_b64 s[24:25], s[6:7], 3
	s_add_i32 s33, s33, -1
	v_or_b32_e32 v5, 8, v10
	s_lshl_b64 s[28:29], s[28:29], 3
	v_mad_u64_u32 v[34:35], s[34:35], s6, v5, v[8:9]
	s_add_u32 s28, s30, s28
	v_mov_b32_e32 v33, v4
	v_mov_b32_e32 v4, v35
	s_addc_u32 s29, s31, s29
	v_mad_u64_u32 v[4:5], s[34:35], s7, v5, v[4:5]
	s_mul_i32 s30, s16, s29
	s_mul_hi_u32 s31, s16, s28
	v_mov_b32_e32 v35, v4
	s_add_i32 s30, s31, s30
	s_mul_i32 s31, s17, s28
	s_mul_i32 s37, s16, s28
	v_lshl_add_u64 v[4:5], s[28:29], 0, v[8:9]
	s_mov_b64 s[28:29], 0x200
	v_lshl_add_u64 v[8:9], v[4:5], 0, s[28:29]
	v_mad_u64_u32 v[36:37], s[28:29], s16, v8, 0
	s_mov_b64 s[28:29], 0x180
	s_nop 0
	v_lshl_add_u64 v[4:5], v[4:5], 0, s[28:29]
	v_mul_lo_u32 v10, s17, v8
	v_mul_lo_u32 v9, s16, v9
	;; [unrolled: 1-line block ×4, first 2 shown]
	v_mad_u64_u32 v[38:39], s[28:29], s16, v4, 0
	s_add_i32 s36, s30, s31
	s_lshl_b64 s[30:31], s[16:17], 8
	v_add3_u32 v37, v37, v9, v10
	v_add3_u32 v39, v39, v5, v8
	v_mov_b64_e32 v[8:9], 0
	v_mov_b64_e32 v[14:15], s[26:27]
	s_mov_b64 s[28:29], s[18:19]
	s_waitcnt vmcnt(0)
	v_mov_b64_e32 v[40:41], v[74:75]
	v_mov_b64_e32 v[12:13], 0
	;; [unrolled: 1-line block ×8, first 2 shown]
.LBB171_14:                             ; =>This Inner Loop Header: Depth=1
	v_lshl_add_u64 v[18:19], s[22:23], 0, v[38:39]
	flat_load_dwordx2 v[42:43], v[18:19]
	v_lshl_add_u64 v[18:19], s[28:29], 0, v[20:21]
	v_lshl_add_u64 v[76:77], s[28:29], 0, v[34:35]
	flat_load_dwordx2 v[56:57], v[18:19] offset:384
	flat_load_dwordx2 v[54:55], v[76:77] offset:384
	v_lshl_add_u64 v[78:79], s[28:29], 0, v[30:31]
	v_lshl_add_u64 v[80:81], s[28:29], 0, v[32:33]
	flat_load_dwordx2 v[58:59], v[78:79] offset:384
	flat_load_dwordx2 v[52:53], v[80:81] offset:384
	;; [unrolled: 1-line block ×6, first 2 shown]
	v_lshl_add_u64 v[18:19], s[22:23], 0, v[36:37]
	flat_load_dwordx2 v[18:19], v[18:19]
	ds_read_b128 v[76:79], v64
	ds_read_b128 v[80:83], v64 offset:16
	s_waitcnt lgkmcnt(0)
	s_barrier
	v_fma_f64 v[84:85], v[44:45], v[76:77], 0
	v_fmac_f64_e32 v[84:85], v[46:47], v[78:79]
	v_fmac_f64_e32 v[84:85], v[48:49], v[80:81]
	;; [unrolled: 1-line block ×3, first 2 shown]
	s_waitcnt vmcnt(0)
	v_fma_f64 v[76:77], v[56:57], v[76:77], 0
	v_fmac_f64_e32 v[76:77], v[54:55], v[78:79]
	v_fmac_f64_e32 v[76:77], v[58:59], v[80:81]
	;; [unrolled: 1-line block ×3, first 2 shown]
	ds_write2_b64 v63, v[84:85], v[76:77] offset1:16
	s_waitcnt lgkmcnt(0)
	s_barrier
	s_and_saveexec_b64 s[34:35], s[4:5]
	s_cbranch_execz .LBB171_16
; %bb.15:                               ;   in Loop: Header=BB171_14 Depth=1
	ds_read2_b64 v[76:79], v1 offset1:32
	ds_read2_b64 v[80:83], v1 offset0:64 offset1:96
	ds_read2_b64 v[84:87], v1 offset0:128 offset1:160
	;; [unrolled: 1-line block ×3, first 2 shown]
	v_lshl_add_u64 v[14:15], v[14:15], 0, s[8:9]
	s_waitcnt lgkmcnt(3)
	v_add_f64 v[76:77], v[76:77], 0
	v_add_f64 v[76:77], v[76:77], v[78:79]
	s_waitcnt lgkmcnt(2)
	v_add_f64 v[76:77], v[76:77], v[80:81]
	v_add_f64 v[76:77], v[76:77], v[82:83]
	;; [unrolled: 3-line block ×4, first 2 shown]
	v_lshl_add_u64 v[78:79], v[16:17], 3, v[14:15]
	v_mul_f64 v[76:77], v[2:3], v[76:77]
	flat_atomic_add_f64 v[78:79], v[76:77]
.LBB171_16:                             ;   in Loop: Header=BB171_14 Depth=1
	s_or_b64 exec, exec, s[34:35]
	s_add_u32 s28, s28, 0x100
	s_addc_u32 s29, s29, 0
	s_add_i32 s33, s33, -1
	s_add_u32 s22, s22, s30
	s_addc_u32 s23, s23, s31
	s_add_u32 s34, s22, s37
	v_fmac_f64_e32 v[8:9], v[40:41], v[44:45]
	v_fmac_f64_e32 v[12:13], v[40:41], v[46:47]
	v_fmac_f64_e32 v[10:11], v[40:41], v[48:49]
	v_fmac_f64_e32 v[4:5], v[40:41], v[50:51]
	s_addc_u32 s35, s23, s36
	v_fmac_f64_e32 v[8:9], v[42:43], v[56:57]
	v_fmac_f64_e32 v[12:13], v[42:43], v[54:55]
	;; [unrolled: 1-line block ×3, first 2 shown]
	s_cmp_eq_u32 s33, 0
	v_fmac_f64_e32 v[4:5], v[42:43], v[52:53]
	s_cbranch_scc1 .LBB171_20
; %bb.17:                               ;   in Loop: Header=BB171_14 Depth=1
	v_mov_b64_e32 v[40:41], v[18:19]
	v_mov_b64_e32 v[44:45], v[28:29]
	;; [unrolled: 1-line block ×5, first 2 shown]
	s_branch .LBB171_14
.LBB171_18:
	v_mov_b64_e32 v[14:15], s[26:27]
	v_mov_b64_e32 v[10:11], 0
	;; [unrolled: 1-line block ×5, first 2 shown]
	s_waitcnt vmcnt(0)
	v_mov_b64_e32 v[18:19], v[74:75]
	s_and_b64 vcc, exec, s[12:13]
	s_cbranch_vccnz .LBB171_26
	s_branch .LBB171_33
.LBB171_19:
	s_mov_b64 s[22:23], -1
                                        ; implicit-def: $vgpr22_vgpr23
                                        ; implicit-def: $vgpr26_vgpr27
                                        ; implicit-def: $vgpr24_vgpr25
                                        ; implicit-def: $vgpr28_vgpr29
                                        ; implicit-def: $vgpr4_vgpr5
                                        ; implicit-def: $vgpr10_vgpr11
                                        ; implicit-def: $vgpr12_vgpr13
                                        ; implicit-def: $vgpr8_vgpr9
                                        ; implicit-def: $sgpr34_sgpr35
                                        ; implicit-def: $vgpr14_vgpr15
                                        ; implicit-def: $vgpr18_vgpr19
                                        ; implicit-def: $sgpr28_sgpr29
                                        ; implicit-def: $sgpr24_sgpr25
	s_branch .LBB171_21
.LBB171_20:
	s_mov_b64 s[22:23], 0
.LBB171_21:
	s_and_b64 vcc, exec, s[22:23]
	s_cbranch_vccz .LBB171_23
; %bb.22:
	s_lshl_b64 s[24:25], s[6:7], 3
	v_mov_b64_e32 v[8:9], 0
	v_mov_b64_e32 v[14:15], s[26:27]
	s_mov_b64 s[28:29], s[18:19]
	s_waitcnt vmcnt(0)
	v_mov_b64_e32 v[18:19], v[74:75]
	s_mov_b64 s[34:35], s[20:21]
	v_mov_b64_e32 v[12:13], 0
	v_mov_b64_e32 v[10:11], 0
	;; [unrolled: 1-line block ×7, first 2 shown]
.LBB171_23:
	s_lshl_b64 s[18:19], s[14:15], 3
	s_add_u32 s20, s34, s18
	v_lshl_add_u64 v[20:21], v[6:7], 3, s[28:29]
	s_addc_u32 s21, s35, s19
	v_mad_u64_u32 v[38:39], s[18:19], s6, 24, v[20:21]
	v_mov_b32_e32 v30, v39
	v_mad_u64_u32 v[30:31], s[18:19], s7, 24, v[30:31]
	s_sub_u32 s18, 0, s24
	v_mov_b32_e32 v39, v30
	s_subb_u32 s19, 0, s25
	v_or_b32_e32 v44, 16, v0
	v_lshl_add_u64 v[40:41], v[38:39], 0, s[18:19]
	v_lshl_add_u64 v[42:43], v[40:41], 0, s[18:19]
	flat_load_dwordx2 v[30:31], v[38:39] offset:384
	flat_load_dwordx2 v[32:33], v[40:41] offset:384
	;; [unrolled: 1-line block ×4, first 2 shown]
	v_mad_u64_u32 v[20:21], s[18:19], s16, v44, 0
	v_mov_b32_e32 v38, v21
	v_mad_u64_u32 v[38:39], s[18:19], s17, v44, v[38:39]
	v_mov_b32_e32 v21, v38
	v_lshl_add_u64 v[20:21], v[20:21], 3, s[20:21]
	flat_load_dwordx2 v[20:21], v[20:21]
	ds_read_b128 v[38:41], v64
	ds_read_b128 v[42:45], v64 offset:16
	v_fmac_f64_e32 v[8:9], v[18:19], v[28:29]
	v_fmac_f64_e32 v[4:5], v[18:19], v[22:23]
	s_add_u32 s18, s28, 0x100
	s_waitcnt lgkmcnt(0)
	v_fma_f64 v[28:29], v[28:29], v[38:39], 0
	v_fmac_f64_e32 v[28:29], v[24:25], v[40:41]
	v_fmac_f64_e32 v[28:29], v[26:27], v[42:43]
	v_fmac_f64_e32 v[28:29], v[22:23], v[44:45]
	v_fmac_f64_e32 v[10:11], v[18:19], v[26:27]
	v_fmac_f64_e32 v[12:13], v[18:19], v[24:25]
	s_addc_u32 s19, s29, 0
	s_barrier
	s_waitcnt vmcnt(0)
	v_fma_f64 v[22:23], v[36:37], v[38:39], 0
	v_fmac_f64_e32 v[22:23], v[34:35], v[40:41]
	v_fmac_f64_e32 v[22:23], v[32:33], v[42:43]
	;; [unrolled: 1-line block ×3, first 2 shown]
	ds_write2_b64 v63, v[28:29], v[22:23] offset1:16
	s_waitcnt lgkmcnt(0)
	s_barrier
	s_and_saveexec_b64 s[22:23], s[4:5]
	s_cbranch_execz .LBB171_25
; %bb.24:
	ds_read2_b64 v[22:25], v1 offset1:32
	ds_read2_b64 v[26:29], v1 offset0:64 offset1:96
	ds_read2_b64 v[38:41], v1 offset0:128 offset1:160
	;; [unrolled: 1-line block ×3, first 2 shown]
	v_lshl_add_u64 v[14:15], v[14:15], 0, s[8:9]
	s_waitcnt lgkmcnt(3)
	v_add_f64 v[22:23], v[22:23], 0
	v_add_f64 v[22:23], v[22:23], v[24:25]
	s_waitcnt lgkmcnt(2)
	v_add_f64 v[22:23], v[22:23], v[26:27]
	v_add_f64 v[22:23], v[22:23], v[28:29]
	;; [unrolled: 3-line block ×4, first 2 shown]
	v_lshl_add_u64 v[16:17], v[16:17], 3, v[14:15]
	v_mul_f64 v[22:23], v[2:3], v[22:23]
	flat_atomic_add_f64 v[16:17], v[22:23]
.LBB171_25:
	s_or_b64 exec, exec, s[22:23]
	v_fmac_f64_e32 v[8:9], v[20:21], v[36:37]
	v_fmac_f64_e32 v[12:13], v[20:21], v[34:35]
	;; [unrolled: 1-line block ×4, first 2 shown]
	s_and_b64 vcc, exec, s[12:13]
	s_cbranch_vccz .LBB171_33
.LBB171_26:
	s_load_dword s12, s[0:1], 0x78
	s_lshl_b64 s[0:1], s[14:15], 3
	s_add_u32 s0, s20, s0
	s_addc_u32 s1, s21, s1
	v_mov_b64_e32 v[16:17], 0
	s_waitcnt lgkmcnt(0)
	v_cmp_gt_i32_e32 vcc, s12, v0
	v_mov_b64_e32 v[26:27], 0
	v_mov_b64_e32 v[28:29], 0
	;; [unrolled: 1-line block ×4, first 2 shown]
	s_and_saveexec_b64 s[8:9], vcc
	s_cbranch_execz .LBB171_28
; %bb.27:
	v_lshl_add_u64 v[18:19], v[6:7], 3, s[18:19]
	v_lshl_add_u64 v[22:23], s[6:7], 3, v[18:19]
	;; [unrolled: 1-line block ×3, first 2 shown]
	flat_load_dwordx2 v[26:27], v[18:19] offset:256
	flat_load_dwordx2 v[28:29], v[22:23] offset:256
	;; [unrolled: 1-line block ×3, first 2 shown]
	v_mad_u64_u32 v[18:19], s[14:15], s6, 24, v[18:19]
	v_mov_b32_e32 v22, v19
	v_mad_u64_u32 v[22:23], s[14:15], s7, 24, v[22:23]
	v_mov_b32_e32 v19, v22
	flat_load_dwordx2 v[34:35], v[18:19] offset:256
	v_mad_u64_u32 v[18:19], s[14:15], s16, v0, 0
	v_mov_b32_e32 v22, v19
	v_mad_u64_u32 v[22:23], s[14:15], s17, v0, v[22:23]
	v_mov_b32_e32 v19, v22
	v_lshl_add_u64 v[18:19], v[18:19], 3, s[0:1]
	flat_load_dwordx2 v[18:19], v[18:19]
.LBB171_28:
	s_or_b64 exec, exec, s[8:9]
	v_or_b32_e32 v1, 16, v0
	v_cmp_gt_i32_e32 vcc, s12, v1
	v_mov_b64_e32 v[22:23], 0
	v_mov_b64_e32 v[24:25], 0
	;; [unrolled: 1-line block ×3, first 2 shown]
	s_and_saveexec_b64 s[8:9], vcc
	s_cbranch_execz .LBB171_30
; %bb.29:
	v_lshl_add_u64 v[6:7], v[6:7], 3, s[18:19]
	v_lshl_add_u64 v[20:21], s[6:7], 3, v[6:7]
	;; [unrolled: 1-line block ×3, first 2 shown]
	flat_load_dwordx2 v[16:17], v[6:7] offset:384
	flat_load_dwordx2 v[22:23], v[20:21] offset:384
	;; [unrolled: 1-line block ×3, first 2 shown]
	v_mad_u64_u32 v[6:7], s[14:15], s6, 24, v[6:7]
	v_mov_b32_e32 v20, v7
	v_mad_u64_u32 v[20:21], s[6:7], s7, 24, v[20:21]
	v_mov_b32_e32 v7, v20
	flat_load_dwordx2 v[32:33], v[6:7] offset:384
	v_mad_u64_u32 v[6:7], s[6:7], s16, v1, 0
	v_mov_b32_e32 v20, v7
	v_mad_u64_u32 v[20:21], s[6:7], s17, v1, v[20:21]
	v_mov_b32_e32 v7, v20
	v_lshl_add_u64 v[6:7], v[6:7], 3, s[0:1]
	flat_load_dwordx2 v[20:21], v[6:7]
.LBB171_30:
	s_or_b64 exec, exec, s[8:9]
	v_lshlrev_b32_e32 v1, 3, v62
	ds_read_b128 v[36:39], v1 offset:6144
	ds_read_b128 v[40:43], v1 offset:6160
	s_waitcnt vmcnt(0) lgkmcnt(0)
	v_fmac_f64_e32 v[8:9], v[18:19], v[26:27]
	v_fmac_f64_e32 v[12:13], v[18:19], v[28:29]
	;; [unrolled: 1-line block ×4, first 2 shown]
	v_fma_f64 v[6:7], v[16:17], v[36:37], 0
	v_fma_f64 v[18:19], v[26:27], v[36:37], 0
	v_fmac_f64_e32 v[6:7], v[22:23], v[38:39]
	v_fmac_f64_e32 v[18:19], v[28:29], v[38:39]
	v_lshlrev_b32_e32 v1, 3, v0
	v_fmac_f64_e32 v[6:7], v[24:25], v[40:41]
	v_fmac_f64_e32 v[18:19], v[30:31], v[40:41]
	v_lshl_or_b32 v1, v61, 8, v1
	v_cmp_gt_i32_e32 vcc, s12, v60
	v_fmac_f64_e32 v[6:7], v[32:33], v[42:43]
	v_fmac_f64_e32 v[18:19], v[34:35], v[42:43]
	v_add_u32_e32 v1, 0x1000, v1
	s_and_b64 s[6:7], s[4:5], vcc
	s_barrier
	ds_write2_b64 v1, v[18:19], v[6:7] offset1:16
	s_waitcnt lgkmcnt(0)
	s_barrier
	s_and_saveexec_b64 s[0:1], s[6:7]
	s_cbranch_execz .LBB171_32
; %bb.31:
	v_lshlrev_b32_e32 v1, 3, v60
	v_add_u32_e32 v1, 0x1000, v1
	ds_read2_b64 v[26:29], v1 offset1:32
	ds_read2_b64 v[34:37], v1 offset0:64 offset1:96
	ds_read2_b64 v[38:41], v1 offset0:128 offset1:160
	s_lshl_b64 s[6:7], s[10:11], 8
	v_lshl_add_u64 v[6:7], v[14:15], 0, s[6:7]
	v_mad_u64_u32 v[18:19], s[6:7], s10, v60, 0
	s_waitcnt lgkmcnt(2)
	v_add_f64 v[14:15], v[26:27], 0
	v_add_f64 v[14:15], v[14:15], v[28:29]
	ds_read2_b64 v[26:29], v1 offset0:192 offset1:224
	s_waitcnt lgkmcnt(2)
	v_add_f64 v[14:15], v[14:15], v[34:35]
	v_add_f64 v[14:15], v[14:15], v[36:37]
	s_waitcnt lgkmcnt(1)
	v_add_f64 v[14:15], v[14:15], v[38:39]
	v_add_f64 v[14:15], v[14:15], v[40:41]
	s_waitcnt lgkmcnt(0)
	v_add_f64 v[14:15], v[14:15], v[26:27]
	v_mov_b32_e32 v26, v19
	v_mad_u64_u32 v[26:27], s[6:7], s11, v60, v[26:27]
	v_add_f64 v[14:15], v[14:15], v[28:29]
	v_mov_b32_e32 v19, v26
	v_lshl_add_u64 v[6:7], v[18:19], 3, v[6:7]
	v_mul_f64 v[14:15], v[2:3], v[14:15]
	flat_atomic_add_f64 v[6:7], v[14:15]
.LBB171_32:
	s_or_b64 exec, exec, s[0:1]
	v_fmac_f64_e32 v[8:9], v[20:21], v[16:17]
	v_fmac_f64_e32 v[12:13], v[20:21], v[22:23]
	;; [unrolled: 1-line block ×4, first 2 shown]
.LBB171_33:
	v_lshlrev_b32_e32 v1, 9, v61
	v_lshl_or_b32 v1, v0, 3, v1
	ds_write2_b64 v1, v[8:9], v[12:13] offset1:16
	ds_write2_b64 v1, v[10:11], v[4:5] offset0:32 offset1:48
	s_waitcnt lgkmcnt(0)
	s_barrier
	s_and_b64 exec, exec, s[4:5]
	s_cbranch_execz .LBB171_35
; %bb.34:
	v_add_u32_e32 v4, 1, v60
	v_lshlrev_b32_e32 v16, 7, v60
	v_and_b32_e32 v4, 15, v4
	v_lshl_or_b32 v6, v4, 3, v16
	v_add_u32_e32 v4, 2, v60
	v_and_b32_e32 v4, 15, v4
	v_lshl_or_b32 v1, v0, 3, v16
	v_lshl_or_b32 v8, v4, 3, v16
	ds_read_b64 v[4:5], v1
	ds_read_b64 v[6:7], v6
	;; [unrolled: 1-line block ×3, first 2 shown]
	v_add_u32_e32 v1, 3, v60
	v_and_b32_e32 v1, 15, v1
	s_waitcnt lgkmcnt(0)
	v_add_f64 v[4:5], v[4:5], 0
	v_add_f64 v[4:5], v[4:5], v[6:7]
	v_add_u32_e32 v6, 5, v60
	v_and_b32_e32 v6, 15, v6
	v_lshl_or_b32 v1, v1, 3, v16
	v_add_f64 v[4:5], v[4:5], v[8:9]
	v_lshl_or_b32 v8, v6, 3, v16
	v_add_u32_e32 v6, 6, v60
	ds_read_b64 v[10:11], v1
	v_and_b32_e32 v6, 15, v6
	v_add_u32_e32 v1, 4, v60
	v_lshl_or_b32 v12, v6, 3, v16
	v_add_u32_e32 v6, 7, v60
	v_and_b32_e32 v1, 15, v1
	v_and_b32_e32 v6, 15, v6
	v_lshl_or_b32 v1, v1, 3, v16
	v_lshl_or_b32 v14, v6, 3, v16
	ds_read_b64 v[6:7], v1
	ds_read_b64 v[8:9], v8
	;; [unrolled: 1-line block ×4, first 2 shown]
	v_add_u32_e32 v1, 9, v60
	s_waitcnt lgkmcnt(0)
	v_add_f64 v[4:5], v[4:5], v[10:11]
	v_and_b32_e32 v1, 15, v1
	v_add_f64 v[4:5], v[4:5], v[6:7]
	v_lshl_or_b32 v6, v1, 3, v16
	v_add_u32_e32 v1, 10, v60
	v_xor_b32_e32 v0, 8, v0
	v_and_b32_e32 v1, 15, v1
	v_add_f64 v[4:5], v[4:5], v[8:9]
	v_lshl_or_b32 v0, v0, 3, v16
	v_lshl_or_b32 v8, v1, 3, v16
	ds_read_b64 v[0:1], v0
	ds_read_b64 v[6:7], v6
	;; [unrolled: 1-line block ×3, first 2 shown]
	v_add_f64 v[4:5], v[4:5], v[12:13]
	v_add_f64 v[4:5], v[4:5], v[14:15]
	v_add_u32_e32 v10, 11, v60
	s_waitcnt lgkmcnt(0)
	v_add_f64 v[0:1], v[4:5], v[0:1]
	v_add_u32_e32 v5, 13, v60
	v_and_b32_e32 v10, 15, v10
	v_and_b32_e32 v5, 15, v5
	v_lshl_or_b32 v10, v10, 3, v16
	v_add_f64 v[0:1], v[0:1], v[6:7]
	v_lshl_or_b32 v6, v5, 3, v16
	v_add_u32_e32 v5, 14, v60
	ds_read_b64 v[10:11], v10
	v_and_b32_e32 v5, 15, v5
	v_add_f64 v[0:1], v[0:1], v[8:9]
	v_add_u32_e32 v4, 12, v60
	v_lshl_or_b32 v8, v5, 3, v16
	v_add_u32_e32 v5, -1, v60
	v_and_b32_e32 v4, 15, v4
	v_and_b32_e32 v5, 15, v5
	v_lshl_or_b32 v4, v4, 3, v16
	v_lshl_or_b32 v12, v5, 3, v16
	ds_read_b64 v[4:5], v4
	ds_read_b64 v[6:7], v6
	;; [unrolled: 1-line block ×4, first 2 shown]
	s_waitcnt lgkmcnt(0)
	v_add_f64 v[0:1], v[0:1], v[10:11]
	v_add_f64 v[0:1], v[0:1], v[4:5]
	v_mad_u64_u32 v[4:5], s[0:1], s10, v60, 0
	v_add_f64 v[0:1], v[0:1], v[6:7]
	v_mov_b32_e32 v6, v5
	v_add_f64 v[0:1], v[0:1], v[8:9]
	v_mad_u64_u32 v[6:7], s[0:1], s11, v60, v[6:7]
	v_add_f64 v[0:1], v[0:1], v[12:13]
	v_mov_b32_e32 v5, v6
	v_lshl_add_u64 v[4:5], v[4:5], 3, s[2:3]
	v_mul_f64 v[0:1], v[2:3], v[0:1]
	flat_atomic_add_f64 v[4:5], v[0:1]
.LBB171_35:
	s_endpgm
	.section	.rodata,"a",@progbits
	.p2align	6, 0x0
	.amdhsa_kernel _ZL62rocblas_symv_kernel_lower_double_buffered_non_diagonal_genericILi32ELi4ELi4E24rocblas_internal_val_ptrIdEPKPKdPKPdEvbiT2_lT3_lllSA_lllT4_lllii
		.amdhsa_group_segment_fixed_size 6400
		.amdhsa_private_segment_fixed_size 0
		.amdhsa_kernarg_size 384
		.amdhsa_user_sgpr_count 2
		.amdhsa_user_sgpr_dispatch_ptr 0
		.amdhsa_user_sgpr_queue_ptr 0
		.amdhsa_user_sgpr_kernarg_segment_ptr 1
		.amdhsa_user_sgpr_dispatch_id 0
		.amdhsa_user_sgpr_kernarg_preload_length 0
		.amdhsa_user_sgpr_kernarg_preload_offset 0
		.amdhsa_user_sgpr_private_segment_size 0
		.amdhsa_uses_dynamic_stack 0
		.amdhsa_enable_private_segment 0
		.amdhsa_system_sgpr_workgroup_id_x 1
		.amdhsa_system_sgpr_workgroup_id_y 1
		.amdhsa_system_sgpr_workgroup_id_z 1
		.amdhsa_system_sgpr_workgroup_info 0
		.amdhsa_system_vgpr_workitem_id 1
		.amdhsa_next_free_vgpr 92
		.amdhsa_next_free_sgpr 38
		.amdhsa_accum_offset 92
		.amdhsa_reserve_vcc 1
		.amdhsa_float_round_mode_32 0
		.amdhsa_float_round_mode_16_64 0
		.amdhsa_float_denorm_mode_32 3
		.amdhsa_float_denorm_mode_16_64 3
		.amdhsa_dx10_clamp 1
		.amdhsa_ieee_mode 1
		.amdhsa_fp16_overflow 0
		.amdhsa_tg_split 0
		.amdhsa_exception_fp_ieee_invalid_op 0
		.amdhsa_exception_fp_denorm_src 0
		.amdhsa_exception_fp_ieee_div_zero 0
		.amdhsa_exception_fp_ieee_overflow 0
		.amdhsa_exception_fp_ieee_underflow 0
		.amdhsa_exception_fp_ieee_inexact 0
		.amdhsa_exception_int_div_zero 0
	.end_amdhsa_kernel
	.section	.text._ZL62rocblas_symv_kernel_lower_double_buffered_non_diagonal_genericILi32ELi4ELi4E24rocblas_internal_val_ptrIdEPKPKdPKPdEvbiT2_lT3_lllSA_lllT4_lllii,"axG",@progbits,_ZL62rocblas_symv_kernel_lower_double_buffered_non_diagonal_genericILi32ELi4ELi4E24rocblas_internal_val_ptrIdEPKPKdPKPdEvbiT2_lT3_lllSA_lllT4_lllii,comdat
.Lfunc_end171:
	.size	_ZL62rocblas_symv_kernel_lower_double_buffered_non_diagonal_genericILi32ELi4ELi4E24rocblas_internal_val_ptrIdEPKPKdPKPdEvbiT2_lT3_lllSA_lllT4_lllii, .Lfunc_end171-_ZL62rocblas_symv_kernel_lower_double_buffered_non_diagonal_genericILi32ELi4ELi4E24rocblas_internal_val_ptrIdEPKPKdPKPdEvbiT2_lT3_lllSA_lllT4_lllii
                                        ; -- End function
	.set _ZL62rocblas_symv_kernel_lower_double_buffered_non_diagonal_genericILi32ELi4ELi4E24rocblas_internal_val_ptrIdEPKPKdPKPdEvbiT2_lT3_lllSA_lllT4_lllii.num_vgpr, 92
	.set _ZL62rocblas_symv_kernel_lower_double_buffered_non_diagonal_genericILi32ELi4ELi4E24rocblas_internal_val_ptrIdEPKPKdPKPdEvbiT2_lT3_lllSA_lllT4_lllii.num_agpr, 0
	.set _ZL62rocblas_symv_kernel_lower_double_buffered_non_diagonal_genericILi32ELi4ELi4E24rocblas_internal_val_ptrIdEPKPKdPKPdEvbiT2_lT3_lllSA_lllT4_lllii.numbered_sgpr, 38
	.set _ZL62rocblas_symv_kernel_lower_double_buffered_non_diagonal_genericILi32ELi4ELi4E24rocblas_internal_val_ptrIdEPKPKdPKPdEvbiT2_lT3_lllSA_lllT4_lllii.num_named_barrier, 0
	.set _ZL62rocblas_symv_kernel_lower_double_buffered_non_diagonal_genericILi32ELi4ELi4E24rocblas_internal_val_ptrIdEPKPKdPKPdEvbiT2_lT3_lllSA_lllT4_lllii.private_seg_size, 0
	.set _ZL62rocblas_symv_kernel_lower_double_buffered_non_diagonal_genericILi32ELi4ELi4E24rocblas_internal_val_ptrIdEPKPKdPKPdEvbiT2_lT3_lllSA_lllT4_lllii.uses_vcc, 1
	.set _ZL62rocblas_symv_kernel_lower_double_buffered_non_diagonal_genericILi32ELi4ELi4E24rocblas_internal_val_ptrIdEPKPKdPKPdEvbiT2_lT3_lllSA_lllT4_lllii.uses_flat_scratch, 0
	.set _ZL62rocblas_symv_kernel_lower_double_buffered_non_diagonal_genericILi32ELi4ELi4E24rocblas_internal_val_ptrIdEPKPKdPKPdEvbiT2_lT3_lllSA_lllT4_lllii.has_dyn_sized_stack, 0
	.set _ZL62rocblas_symv_kernel_lower_double_buffered_non_diagonal_genericILi32ELi4ELi4E24rocblas_internal_val_ptrIdEPKPKdPKPdEvbiT2_lT3_lllSA_lllT4_lllii.has_recursion, 0
	.set _ZL62rocblas_symv_kernel_lower_double_buffered_non_diagonal_genericILi32ELi4ELi4E24rocblas_internal_val_ptrIdEPKPKdPKPdEvbiT2_lT3_lllSA_lllT4_lllii.has_indirect_call, 0
	.section	.AMDGPU.csdata,"",@progbits
; Kernel info:
; codeLenInByte = 3704
; TotalNumSgprs: 44
; NumVgprs: 92
; NumAgprs: 0
; TotalNumVgprs: 92
; ScratchSize: 0
; MemoryBound: 0
; FloatMode: 240
; IeeeMode: 1
; LDSByteSize: 6400 bytes/workgroup (compile time only)
; SGPRBlocks: 5
; VGPRBlocks: 11
; NumSGPRsForWavesPerEU: 44
; NumVGPRsForWavesPerEU: 92
; AccumOffset: 92
; Occupancy: 5
; WaveLimiterHint : 1
; COMPUTE_PGM_RSRC2:SCRATCH_EN: 0
; COMPUTE_PGM_RSRC2:USER_SGPR: 2
; COMPUTE_PGM_RSRC2:TRAP_HANDLER: 0
; COMPUTE_PGM_RSRC2:TGID_X_EN: 1
; COMPUTE_PGM_RSRC2:TGID_Y_EN: 1
; COMPUTE_PGM_RSRC2:TGID_Z_EN: 1
; COMPUTE_PGM_RSRC2:TIDIG_COMP_CNT: 1
; COMPUTE_PGM_RSRC3_GFX90A:ACCUM_OFFSET: 22
; COMPUTE_PGM_RSRC3_GFX90A:TG_SPLIT: 0
	.section	.text._ZL26rocblas_hemvn_kernel_lowerILb0ELi64ELi4ELi33ELi32ELi16ElPKdPKS1_PdEviT6_lT7_lT5_lS6_lS7_lS5_lT8_i,"axG",@progbits,_ZL26rocblas_hemvn_kernel_lowerILb0ELi64ELi4ELi33ELi32ELi16ElPKdPKS1_PdEviT6_lT7_lT5_lS6_lS7_lS5_lT8_i,comdat
	.globl	_ZL26rocblas_hemvn_kernel_lowerILb0ELi64ELi4ELi33ELi32ELi16ElPKdPKS1_PdEviT6_lT7_lT5_lS6_lS7_lS5_lT8_i ; -- Begin function _ZL26rocblas_hemvn_kernel_lowerILb0ELi64ELi4ELi33ELi32ELi16ElPKdPKS1_PdEviT6_lT7_lT5_lS6_lS7_lS5_lT8_i
	.p2align	8
	.type	_ZL26rocblas_hemvn_kernel_lowerILb0ELi64ELi4ELi33ELi32ELi16ElPKdPKS1_PdEviT6_lT7_lT5_lS6_lS7_lS5_lT8_i,@function
_ZL26rocblas_hemvn_kernel_lowerILb0ELi64ELi4ELi33ELi32ELi16ElPKdPKS1_PdEviT6_lT7_lT5_lS6_lS7_lS5_lT8_i: ; @_ZL26rocblas_hemvn_kernel_lowerILb0ELi64ELi4ELi33ELi32ELi16ElPKdPKS1_PdEviT6_lT7_lT5_lS6_lS7_lS5_lT8_i
; %bb.0:
	s_load_dwordx2 s[4:5], s[0:1], 0x84
	s_add_u32 s12, s0, 0x78
	s_mov_b32 s26, s3
	s_addc_u32 s13, s1, 0
	s_waitcnt lgkmcnt(0)
	s_and_b32 s3, s5, 0xffff
	s_lshr_b32 s5, s4, 16
	s_and_b32 s4, s4, 0xffff
	s_mul_i32 s4, s5, s4
	s_mul_i32 s4, s4, s3
	s_cmpk_lg_i32 s4, 0x100
	s_cbranch_scc1 .LBB172_80
; %bb.1:
	s_load_dwordx8 s[4:11], s[0:1], 0x8
	s_load_dwordx4 s[16:19], s[0:1], 0x58
	s_waitcnt lgkmcnt(0)
	s_mul_i32 s3, s7, s26
	s_mul_hi_u32 s7, s6, s26
	s_mul_i32 s6, s6, s26
	s_add_i32 s7, s7, s3
	s_lshl_b64 s[6:7], s[6:7], 3
	s_mul_i32 s14, s19, s26
	s_add_u32 s4, s4, s6
	s_mul_hi_u32 s3, s18, s26
	s_addc_u32 s5, s5, s7
	s_add_i32 s7, s3, s14
	s_mul_i32 s6, s18, s26
	s_lshl_b64 s[6:7], s[6:7], 3
	s_add_u32 s6, s16, s6
	s_addc_u32 s7, s17, s7
	s_load_dwordx2 s[4:5], s[4:5], 0x0
	s_nop 0
	s_load_dwordx2 s[14:15], s[6:7], 0x0
	s_waitcnt lgkmcnt(0)
	v_cmp_eq_f64_e64 s[6:7], s[4:5], 0
	v_cmp_eq_f64_e64 s[4:5], s[14:15], 1.0
	s_and_b64 s[4:5], s[6:7], s[4:5]
	s_and_b64 vcc, exec, s[4:5]
	s_cbranch_vccnz .LBB172_80
; %bb.2:
	s_mov_b64 s[4:5], 0
	s_and_b64 vcc, exec, s[6:7]
	s_cbranch_vccnz .LBB172_4
; %bb.3:
	s_mov_b64 s[4:5], -1
.LBB172_4:
	s_andn2_b64 vcc, exec, s[4:5]
	s_cbranch_vccnz .LBB172_80
; %bb.5:
	s_mov_b32 s27, 0
	s_load_dword s3, s[12:13], 0x0
	s_load_dwordx4 s[4:7], s[0:1], 0x38
	s_load_dwordx2 s[20:21], s[0:1], 0x48
	s_lshl_b64 s[12:13], s[26:27], 3
	s_add_u32 s8, s8, s12
	s_addc_u32 s9, s9, s13
	s_waitcnt lgkmcnt(0)
	s_add_u32 s12, s4, s12
	s_addc_u32 s13, s5, s13
	s_load_dwordx2 s[14:15], s[12:13], 0x0
	s_load_dwordx2 s[24:25], s[0:1], 0x28
	s_load_dword s27, s[0:1], 0x0
	s_load_dwordx2 s[4:5], s[8:9], 0x0
	s_load_dwordx2 s[30:31], s[0:1], 0x68
	s_lshl_b64 s[0:1], s[6:7], 3
	s_waitcnt lgkmcnt(0)
	s_add_u32 s0, s14, s0
	s_addc_u32 s1, s15, s1
	s_ashr_i32 s33, s27, 31
	s_lshr_b32 s7, s33, 26
	s_add_i32 s7, s27, s7
	v_and_b32_e32 v77, 0x3ff, v0
	s_lshl_b32 s34, s2, 6
	s_andn2_b32 s7, s7, 63
	s_add_i32 s6, s3, -1
	s_sub_i32 s7, s27, s7
	v_add_u32_e32 v32, s34, v77
	s_cmp_eq_u32 s2, s6
	v_ashrrev_i32_e32 v33, 31, v32
	v_bfe_u32 v76, v0, 10, 10
	s_cselect_b32 s28, s7, 0
	v_mul_lo_u32 v2, s20, v33
	v_mul_lo_u32 v3, s21, v32
	v_mad_u64_u32 v[0:1], s[6:7], s20, v32, 0
	v_add3_u32 v1, v1, v2, v3
	v_lshl_add_u64 v[16:17], v[0:1], 3, s[0:1]
	v_cmp_ne_u32_e64 s[0:1], 0, v76
	v_cmp_eq_u32_e64 s[16:17], 0, v76
	s_and_saveexec_b64 s[6:7], s[16:17]
	s_cbranch_execz .LBB172_9
; %bb.6:
	s_cmp_eq_u32 s28, 0
	s_cselect_b64 s[8:9], -1, 0
	v_cmp_gt_i32_e32 vcc, s28, v77
	s_or_b64 s[12:13], s[8:9], vcc
	v_mov_b64_e32 v[0:1], 0
	s_and_saveexec_b64 s[8:9], s[12:13]
	s_cbranch_execz .LBB172_8
; %bb.7:
	flat_load_dwordx2 v[0:1], v[16:17]
.LBB172_8:
	s_or_b64 exec, exec, s[8:9]
	v_lshlrev_b32_e32 v2, 3, v77
	s_waitcnt vmcnt(0) lgkmcnt(0)
	ds_write_b64 v2, v[0:1] offset:9088
.LBB172_9:
	s_or_b64 exec, exec, s[6:7]
	s_lshl_b64 s[6:7], s[10:11], 3
	s_add_u32 s6, s4, s6
	s_addc_u32 s7, s5, s7
	s_ashr_i32 s35, s34, 31
	v_lshl_add_u32 v22, v76, 6, v77
	s_lshl_b64 s[4:5], s[34:35], 3
	v_and_b32_e32 v0, 31, v77
	v_lshrrev_b32_e32 v8, 5, v22
	s_add_u32 s4, s6, s4
	v_mov_b32_e32 v1, 0
	s_addc_u32 s5, s7, s5
	v_mad_u64_u32 v[18:19], s[6:7], s24, v8, v[0:1]
	v_mov_b32_e32 v2, v19
	v_mad_u64_u32 v[2:3], s[6:7], s25, v8, v[2:3]
	v_mov_b32_e32 v19, v2
	v_lshl_add_u64 v[2:3], v[18:19], 3, s[4:5]
	s_mul_hi_u32 s4, s24, s34
	s_mul_i32 s5, s24, s35
	s_add_i32 s4, s4, s5
	s_mul_i32 s5, s25, s34
	s_add_i32 s37, s4, s5
	s_cmp_lg_u32 s28, 0
	s_mul_i32 s36, s24, s34
	s_cselect_b64 s[38:39], -1, 0
	s_cmp_eq_u32 s28, 0
	v_lshl_add_u64 v[2:3], s[36:37], 3, v[2:3]
	s_cselect_b64 s[18:19], -1, 0
	s_mov_b64 s[4:5], -1
	s_and_b64 vcc, exec, s[38:39]
	s_cbranch_vccnz .LBB172_11
; %bb.10:
	s_lshl_b64 s[4:5], s[24:25], 6
	v_lshl_add_u64 v[4:5], v[2:3], 0, s[4:5]
	v_lshl_add_u64 v[6:7], v[4:5], 0, s[4:5]
	;; [unrolled: 1-line block ×3, first 2 shown]
	flat_load_dwordx2 v[12:13], v[2:3]
	flat_load_dwordx2 v[14:15], v[4:5]
	;; [unrolled: 1-line block ×4, first 2 shown]
	v_mul_u32_u24_e32 v1, 0x108, v8
	v_lshl_add_u32 v1, v0, 3, v1
	s_mov_b64 s[4:5], 0
	s_waitcnt vmcnt(0) lgkmcnt(0)
	ds_write_b64 v1, v[12:13]
	ds_write_b64 v1, v[14:15] offset:2112
	ds_write_b64 v1, v[20:21] offset:4224
	;; [unrolled: 1-line block ×3, first 2 shown]
.LBB172_11:
	s_andn2_b64 vcc, exec, s[4:5]
	s_cbranch_vccnz .LBB172_21
; %bb.12:
	v_lshlrev_b32_e32 v4, 3, v0
	v_sub_co_u32_e32 v6, vcc, v2, v4
	s_ashr_i32 s29, s28, 31
	s_nop 0
	v_subbrev_co_u32_e32 v7, vcc, 0, v3, vcc
	v_lshl_add_u64 v[6:7], s[28:29], 3, v[6:7]
	v_lshl_add_u64 v[6:7], v[6:7], 0, -8
	v_cmp_gt_i32_e32 vcc, s28, v0
	v_cmp_gt_i32_e64 s[4:5], s28, v8
	v_mov_b64_e32 v[10:11], 0
	v_cndmask_b32_e32 v7, v7, v3, vcc
	v_cndmask_b32_e32 v6, v6, v2, vcc
	v_mov_b64_e32 v[12:13], 0
	s_and_saveexec_b64 s[6:7], s[4:5]
	s_cbranch_execz .LBB172_14
; %bb.13:
	flat_load_dwordx2 v[12:13], v[6:7]
.LBB172_14:
	s_or_b64 exec, exec, s[6:7]
	v_lshlrev_b32_e32 v1, 3, v0
	s_movk_i32 s4, 0x108
	v_mad_u32_u24 v9, v8, s4, v1
	s_waitcnt vmcnt(0) lgkmcnt(0)
	ds_write_b64 v9, v[12:13]
	v_add_u32_e32 v9, 8, v8
	v_mul_u32_u24_e32 v5, 0x108, v8
	v_cmp_gt_i32_e64 s[4:5], s28, v9
	s_and_saveexec_b64 s[6:7], s[4:5]
	s_cbranch_execz .LBB172_16
; %bb.15:
	s_lshl_b64 s[4:5], s[24:25], 6
	v_lshl_add_u64 v[10:11], v[6:7], 0, s[4:5]
	flat_load_dwordx2 v[10:11], v[10:11]
.LBB172_16:
	s_or_b64 exec, exec, s[6:7]
	v_add_u32_e32 v1, v5, v1
	v_add_u32_e32 v5, 16, v8
	s_waitcnt vmcnt(0) lgkmcnt(0)
	ds_write_b64 v1, v[10:11] offset:2112
	v_cmp_gt_i32_e64 s[4:5], s28, v5
	v_mov_b64_e32 v[10:11], 0
	v_mov_b64_e32 v[12:13], 0
	s_and_saveexec_b64 s[6:7], s[4:5]
	s_cbranch_execz .LBB172_18
; %bb.17:
	s_lshl_b64 s[4:5], s[24:25], 7
	v_lshl_add_u64 v[12:13], v[6:7], 0, s[4:5]
	flat_load_dwordx2 v[12:13], v[12:13]
.LBB172_18:
	s_or_b64 exec, exec, s[6:7]
	v_add_u32_e32 v5, 24, v8
	v_cmp_gt_i32_e64 s[4:5], s28, v5
	s_waitcnt vmcnt(0) lgkmcnt(0)
	ds_write_b64 v1, v[12:13] offset:4224
	s_and_saveexec_b64 s[6:7], s[4:5]
	s_cbranch_execz .LBB172_20
; %bb.19:
	v_mov_b32_e32 v5, 0xc0
	v_mad_u64_u32 v[10:11], s[4:5], s24, v5, v[6:7]
	s_mul_i32 s4, s25, 0xc0
	s_nop 0
	v_add_u32_e32 v11, s4, v11
	flat_load_dwordx2 v[10:11], v[10:11]
.LBB172_20:
	s_or_b64 exec, exec, s[6:7]
	v_mov_b32_e32 v5, 0
	v_lshl_add_u64 v[4:5], v[6:7], 0, v[4:5]
	s_lshl_b64 s[4:5], s[28:29], 3
	s_waitcnt vmcnt(0) lgkmcnt(0)
	ds_write_b64 v1, v[10:11] offset:6336
	v_mov_b32_e32 v1, s5
	v_subrev_co_u32_e64 v4, s[4:5], s4, v4
	s_nop 1
	v_subb_co_u32_e64 v5, s[4:5], v5, v1, s[4:5]
	v_lshl_add_u64 v[4:5], v[4:5], 0, 8
	v_cndmask_b32_e32 v3, v5, v3, vcc
	v_cndmask_b32_e32 v2, v4, v2, vcc
.LBB172_21:
	v_lshlrev_b32_e32 v1, 2, v8
	v_lshlrev_b32_e32 v9, 3, v0
	v_lshl_or_b32 v4, v0, 8, v9
	v_cmp_lt_u32_e64 s[6:7], v1, v0
	s_waitcnt lgkmcnt(0)
	s_barrier
	s_and_saveexec_b64 s[4:5], s[6:7]
	s_cbranch_execz .LBB172_23
; %bb.22:
	s_movk_i32 s8, 0x420
	v_mad_u32_u24 v5, v8, s8, v9
	ds_read_b64 v[6:7], v5
	v_lshl_add_u32 v5, v1, 3, v4
	s_waitcnt lgkmcnt(0)
	ds_write_b64 v5, v[6:7]
.LBB172_23:
	s_or_b64 exec, exec, s[4:5]
	v_or_b32_e32 v10, 1, v1
	v_cmp_lt_u32_e64 s[8:9], v10, v0
	s_and_saveexec_b64 s[4:5], s[8:9]
	s_cbranch_execz .LBB172_25
; %bb.24:
	s_movk_i32 s10, 0x108
	v_mad_u32_u24 v5, v10, s10, v9
	ds_read_b64 v[6:7], v5
	v_lshl_add_u32 v5, v1, 3, v4
	s_waitcnt lgkmcnt(0)
	ds_write_b64 v5, v[6:7] offset:8
.LBB172_25:
	s_or_b64 exec, exec, s[4:5]
	v_or_b32_e32 v5, 2, v1
	v_cmp_lt_u32_e64 s[10:11], v5, v0
	s_and_saveexec_b64 s[4:5], s[10:11]
	s_cbranch_execz .LBB172_27
; %bb.26:
	s_movk_i32 s12, 0x108
	v_mad_u32_u24 v5, v5, s12, v9
	ds_read_b64 v[6:7], v5
	v_lshl_add_u32 v5, v1, 3, v4
	s_waitcnt lgkmcnt(0)
	ds_write_b64 v5, v[6:7] offset:16
.LBB172_27:
	s_or_b64 exec, exec, s[4:5]
	v_or_b32_e32 v6, 3, v1
	v_cmp_lt_u32_e64 s[12:13], v6, v0
	v_cmp_ge_u32_e32 vcc, v6, v0
                                        ; implicit-def: $vgpr5
	s_and_saveexec_b64 s[4:5], vcc
	s_xor_b64 s[4:5], exec, s[4:5]
; %bb.28:
	v_mul_u32_u24_e32 v5, 0x108, v6
                                        ; implicit-def: $vgpr4
                                        ; implicit-def: $vgpr6
; %bb.29:
	s_andn2_saveexec_b64 s[4:5], s[4:5]
	s_cbranch_execz .LBB172_31
; %bb.30:
	s_movk_i32 s14, 0x108
	v_mad_u32_u24 v5, v6, s14, v9
	ds_read_b64 v[12:13], v5
	v_lshl_add_u32 v4, v1, 3, v4
	v_mul_u32_u24_e32 v5, 0x108, v6
	s_waitcnt lgkmcnt(0)
	ds_write_b64 v4, v[12:13] offset:24
.LBB172_31:
	s_or_b64 exec, exec, s[4:5]
	s_movk_i32 s4, 0x420
	v_mad_u32_u24 v4, v8, s4, v9
	s_movk_i32 s4, 0x108
	s_waitcnt lgkmcnt(0)
	s_barrier
	v_lshlrev_b32_e32 v12, 3, v1
	ds_read_b64 v[14:15], v4
	ds_read_b128 v[24:27], v12 offset:9088
	v_mad_u32_u24 v4, v10, s4, v9
	ds_read2_b64 v[28:31], v4 offset1:33
	v_add_u32_e32 v11, v9, v5
	ds_read_b128 v[4:7], v12 offset:9104
	ds_read_b64 v[20:21], v11
	s_waitcnt lgkmcnt(3)
	v_fma_f64 v[14:15], v[14:15], v[24:25], 0
	v_mov_b64_e32 v[34:35], 0
	s_waitcnt lgkmcnt(2)
	v_fmac_f64_e32 v[14:15], v[28:29], v[26:27]
	s_waitcnt lgkmcnt(1)
	v_fmac_f64_e32 v[14:15], v[30:31], v[4:5]
	v_mul_u32_u24_e32 v4, 33, v0
	v_lshlrev_b32_e32 v23, 3, v4
	s_waitcnt lgkmcnt(0)
	v_fmac_f64_e32 v[14:15], v[20:21], v[6:7]
	v_lshl_add_u32 v24, v8, 3, v23
	v_cmp_gt_u32_e64 s[4:5], 32, v22
	s_barrier
	ds_write_b64 v24, v[14:15]
	s_waitcnt lgkmcnt(0)
	s_barrier
	s_and_saveexec_b64 s[14:15], s[4:5]
	s_cbranch_execz .LBB172_33
; %bb.32:
	ds_read2_b64 v[4:7], v23 offset1:1
	ds_read2_b64 v[26:29], v23 offset0:2 offset1:3
	ds_read2_b64 v[34:37], v23 offset0:4 offset1:5
	s_waitcnt lgkmcnt(2)
	v_add_f64 v[14:15], v[4:5], v[6:7]
	ds_read2_b64 v[4:7], v23 offset0:6 offset1:7
	s_waitcnt lgkmcnt(2)
	v_add_f64 v[14:15], v[14:15], v[26:27]
	v_add_f64 v[14:15], v[14:15], v[28:29]
	s_waitcnt lgkmcnt(1)
	v_add_f64 v[14:15], v[14:15], v[34:35]
	v_add_f64 v[14:15], v[14:15], v[36:37]
	;; [unrolled: 3-line block ×3, first 2 shown]
.LBB172_33:
	s_or_b64 exec, exec, s[14:15]
	s_lshl_b64 s[22:23], s[24:25], 8
	v_lshl_add_u64 v[6:7], v[2:3], 0, s[22:23]
	v_cndmask_b32_e64 v2, 0, 1, s[18:19]
	s_mov_b64 s[40:41], 0x100
	v_cmp_ne_u32_e64 s[14:15], 1, v2
	s_andn2_b64 vcc, exec, s[18:19]
	s_mov_b64 s[18:19], -1
	s_barrier
	s_cbranch_vccnz .LBB172_35
; %bb.34:
	s_lshl_b64 s[18:19], s[24:25], 6
	v_lshl_add_u64 v[2:3], v[6:7], 0, s[18:19]
	v_lshl_add_u64 v[4:5], v[2:3], 0, s[18:19]
	;; [unrolled: 1-line block ×3, first 2 shown]
	flat_load_dwordx2 v[20:21], v[6:7] offset:256
	flat_load_dwordx2 v[26:27], v[2:3] offset:256
	;; [unrolled: 1-line block ×4, first 2 shown]
	s_movk_i32 s18, 0x108
	v_mad_u32_u24 v2, v8, s18, v9
	s_mov_b64 s[18:19], 0
	s_waitcnt vmcnt(0) lgkmcnt(0)
	ds_write_b64 v2, v[20:21]
	ds_write_b64 v2, v[26:27] offset:2112
	ds_write_b64 v2, v[28:29] offset:4224
	;; [unrolled: 1-line block ×3, first 2 shown]
.LBB172_35:
	s_andn2_b64 vcc, exec, s[18:19]
	v_lshl_add_u64 v[2:3], v[6:7], 0, s[40:41]
	s_cbranch_vccnz .LBB172_45
; %bb.36:
	v_lshlrev_b32_e32 v4, 3, v0
	v_sub_co_u32_e32 v6, vcc, v6, v4
	s_ashr_i32 s29, s28, 31
	s_nop 0
	v_subbrev_co_u32_e32 v7, vcc, 0, v7, vcc
	v_or_b32_e32 v5, 32, v0
	v_lshl_add_u64 v[6:7], s[28:29], 3, v[6:7]
	v_lshl_add_u64 v[6:7], v[6:7], 0, -8
	v_cmp_gt_i32_e32 vcc, s28, v5
	s_sub_i32 s42, s28, 32
	v_cmp_gt_i32_e64 s[18:19], s42, v8
	v_cndmask_b32_e32 v7, v7, v3, vcc
	v_cndmask_b32_e32 v6, v6, v2, vcc
	v_mov_b64_e32 v[14:15], 0
	v_mov_b64_e32 v[20:21], 0
	s_and_saveexec_b64 s[40:41], s[18:19]
	s_cbranch_execz .LBB172_38
; %bb.37:
	flat_load_dwordx2 v[20:21], v[6:7]
.LBB172_38:
	s_or_b64 exec, exec, s[40:41]
	s_movk_i32 s18, 0x108
	v_mad_u32_u24 v13, v8, s18, v9
	s_waitcnt vmcnt(0) lgkmcnt(0)
	ds_write_b64 v13, v[20:21]
	v_add_u32_e32 v13, 8, v8
	v_mul_u32_u24_e32 v5, 0x108, v8
	v_cmp_gt_i32_e64 s[18:19], s42, v13
	s_and_saveexec_b64 s[40:41], s[18:19]
	s_cbranch_execz .LBB172_40
; %bb.39:
	s_lshl_b64 s[18:19], s[24:25], 6
	v_lshl_add_u64 v[14:15], v[6:7], 0, s[18:19]
	flat_load_dwordx2 v[14:15], v[14:15]
.LBB172_40:
	s_or_b64 exec, exec, s[40:41]
	v_add_u32_e32 v5, v5, v9
	v_add_u32_e32 v13, 16, v8
	s_waitcnt vmcnt(0) lgkmcnt(0)
	ds_write_b64 v5, v[14:15] offset:2112
	v_cmp_gt_i32_e64 s[18:19], s42, v13
	v_mov_b64_e32 v[14:15], 0
	v_mov_b64_e32 v[20:21], 0
	s_and_saveexec_b64 s[40:41], s[18:19]
	s_cbranch_execz .LBB172_42
; %bb.41:
	s_lshl_b64 s[18:19], s[24:25], 7
	v_lshl_add_u64 v[20:21], v[6:7], 0, s[18:19]
	flat_load_dwordx2 v[20:21], v[20:21]
.LBB172_42:
	s_or_b64 exec, exec, s[40:41]
	v_add_u32_e32 v13, 24, v8
	v_cmp_gt_i32_e64 s[18:19], s42, v13
	s_waitcnt vmcnt(0) lgkmcnt(0)
	ds_write_b64 v5, v[20:21] offset:4224
	s_and_saveexec_b64 s[40:41], s[18:19]
	s_cbranch_execz .LBB172_44
; %bb.43:
	v_mov_b32_e32 v13, 0xc0
	v_mad_u64_u32 v[14:15], s[18:19], s24, v13, v[6:7]
	s_mul_i32 s18, s25, 0xc0
	s_nop 0
	v_add_u32_e32 v15, s18, v15
	flat_load_dwordx2 v[14:15], v[14:15]
.LBB172_44:
	s_or_b64 exec, exec, s[40:41]
	s_waitcnt vmcnt(0) lgkmcnt(0)
	ds_write_b64 v5, v[14:15] offset:6336
	v_mov_b32_e32 v5, 0
	v_lshl_add_u64 v[4:5], v[6:7], 0, v[4:5]
	s_lshl_b64 s[18:19], s[28:29], 3
	v_mov_b32_e32 v6, s19
	v_subrev_co_u32_e64 v4, s[18:19], s18, v4
	s_nop 1
	v_subb_co_u32_e64 v5, s[18:19], v5, v6, s[18:19]
	s_mov_b64 s[18:19], 0x108
	s_nop 0
	v_lshl_add_u64 v[4:5], v[4:5], 0, s[18:19]
	v_cndmask_b32_e32 v3, v5, v3, vcc
	v_cndmask_b32_e32 v2, v4, v2, vcc
.LBB172_45:
	v_mul_u32_u24_e32 v5, 0x420, v8
	v_add_u32_e32 v4, 0x2380, v12
	v_mul_u32_u24_e32 v6, 0x108, v10
	s_lshl_b64 s[18:19], s[24:25], 5
	v_add_u32_e32 v5, v9, v5
	s_waitcnt lgkmcnt(0)
	s_barrier
	s_and_saveexec_b64 s[40:41], s[6:7]
	s_cbranch_execnz .LBB172_54
; %bb.46:
	s_or_b64 exec, exec, s[40:41]
	v_add_u32_e32 v6, v9, v6
	s_and_saveexec_b64 s[6:7], s[8:9]
	s_cbranch_execnz .LBB172_55
.LBB172_47:
	s_or_b64 exec, exec, s[6:7]
	s_and_saveexec_b64 s[6:7], s[10:11]
	s_cbranch_execnz .LBB172_56
.LBB172_48:
	s_or_b64 exec, exec, s[6:7]
	s_and_saveexec_b64 s[6:7], s[12:13]
	s_cbranch_execz .LBB172_50
.LBB172_49:
	ds_read_b64 v[12:13], v11
	v_lshl_add_u32 v7, v1, 3, v23
	s_waitcnt lgkmcnt(0)
	ds_write_b64 v7, v[12:13] offset:24
.LBB172_50:
	s_or_b64 exec, exec, s[6:7]
	s_waitcnt lgkmcnt(0)
	s_barrier
	ds_read_b64 v[20:21], v5
	ds_read_b128 v[12:15], v4 offset:256
	ds_read2_b64 v[26:29], v6 offset1:33
	ds_read_b128 v[36:39], v4 offset:272
	ds_read_b64 v[6:7], v11
	v_cmp_eq_u32_e64 s[6:7], 1, v8
	s_waitcnt lgkmcnt(3)
	v_fma_f64 v[10:11], v[20:21], v[12:13], 0
	s_waitcnt lgkmcnt(2)
	v_fmac_f64_e32 v[10:11], v[26:27], v[14:15]
	s_waitcnt lgkmcnt(1)
	v_fmac_f64_e32 v[10:11], v[28:29], v[36:37]
	;; [unrolled: 2-line block ×3, first 2 shown]
	s_barrier
	ds_write_b64 v24, v[10:11]
	s_waitcnt lgkmcnt(0)
	s_barrier
	s_and_saveexec_b64 s[8:9], s[6:7]
	s_cbranch_execz .LBB172_52
; %bb.51:
	ds_read2_b64 v[10:13], v23 offset1:1
	ds_read2_b64 v[26:29], v23 offset0:2 offset1:3
	ds_read2_b64 v[34:37], v23 offset0:4 offset1:5
	s_waitcnt lgkmcnt(2)
	v_add_f64 v[6:7], v[10:11], v[12:13]
	ds_read2_b64 v[10:13], v23 offset0:6 offset1:7
	s_waitcnt lgkmcnt(2)
	v_add_f64 v[6:7], v[6:7], v[26:27]
	v_add_f64 v[6:7], v[6:7], v[28:29]
	s_waitcnt lgkmcnt(1)
	v_add_f64 v[6:7], v[6:7], v[34:35]
	v_add_f64 v[6:7], v[6:7], v[36:37]
	;; [unrolled: 3-line block ×3, first 2 shown]
.LBB172_52:
	s_or_b64 exec, exec, s[8:9]
	s_lshl_b64 s[8:9], s[18:19], 3
	v_mov_b32_e32 v5, s9
	v_subrev_co_u32_e64 v20, s[8:9], s8, v2
	s_and_b64 vcc, exec, s[14:15]
	s_nop 0
	v_subb_co_u32_e64 v21, s[8:9], v3, v5, s[8:9]
	s_barrier
	s_cbranch_vccnz .LBB172_57
; %bb.53:
	s_lshl_b64 s[8:9], s[24:25], 6
	v_lshl_add_u64 v[2:3], v[20:21], 0, s[8:9]
	v_lshl_add_u64 v[6:7], v[2:3], 0, s[8:9]
	;; [unrolled: 1-line block ×3, first 2 shown]
	flat_load_dwordx2 v[14:15], v[20:21]
	flat_load_dwordx2 v[26:27], v[2:3]
	;; [unrolled: 1-line block ×4, first 2 shown]
	s_movk_i32 s8, 0x108
	v_mov_b32_e32 v2, 0x840
	v_mov_b32_e32 v3, 0x1080
	;; [unrolled: 1-line block ×3, first 2 shown]
	v_mul_u32_u24_e32 v6, 0x108, v8
	v_add_u32_e32 v5, 8, v8
	v_add_u32_e32 v7, 16, v8
	;; [unrolled: 1-line block ×3, first 2 shown]
	v_mad_u32_u24 v25, v8, s8, v9
	v_mad_u32_u24 v10, v8, s8, v2
	;; [unrolled: 1-line block ×4, first 2 shown]
	v_add_u32_e32 v2, v9, v10
	v_add_u32_e32 v3, v9, v12
	;; [unrolled: 1-line block ×3, first 2 shown]
	s_waitcnt vmcnt(0) lgkmcnt(0)
	ds_write_b64 v25, v[14:15]
	ds_write_b64 v2, v[26:27]
	;; [unrolled: 1-line block ×4, first 2 shown]
	s_cbranch_execz .LBB172_58
	s_branch .LBB172_67
.LBB172_54:
	ds_read_b64 v[12:13], v5
	v_lshl_add_u32 v7, v1, 3, v23
	s_waitcnt lgkmcnt(0)
	ds_write_b64 v7, v[12:13]
	s_or_b64 exec, exec, s[40:41]
	v_add_u32_e32 v6, v9, v6
	s_and_saveexec_b64 s[6:7], s[8:9]
	s_cbranch_execz .LBB172_47
.LBB172_55:
	ds_read_b64 v[12:13], v6
	v_lshl_add_u32 v7, v1, 3, v23
	s_waitcnt lgkmcnt(0)
	ds_write_b64 v7, v[12:13] offset:8
	s_or_b64 exec, exec, s[6:7]
	s_and_saveexec_b64 s[6:7], s[10:11]
	s_cbranch_execz .LBB172_48
.LBB172_56:
	ds_read_b64 v[12:13], v6 offset:264
	v_lshl_add_u32 v7, v1, 3, v23
	s_waitcnt lgkmcnt(0)
	ds_write_b64 v7, v[12:13] offset:16
	s_or_b64 exec, exec, s[6:7]
	s_and_saveexec_b64 s[6:7], s[12:13]
	s_cbranch_execnz .LBB172_49
	s_branch .LBB172_50
.LBB172_57:
                                        ; implicit-def: $vgpr6
                                        ; implicit-def: $vgpr5
                                        ; implicit-def: $vgpr10
                                        ; implicit-def: $vgpr7
                                        ; implicit-def: $vgpr12
                                        ; implicit-def: $vgpr11
                                        ; implicit-def: $vgpr13
.LBB172_58:
	v_or_b32_e32 v5, 32, v0
	v_lshlrev_b32_e32 v2, 3, v5
	v_sub_co_u32_e32 v2, vcc, v20, v2
	s_ashr_i32 s29, s28, 31
	s_nop 0
	v_subbrev_co_u32_e32 v3, vcc, 0, v21, vcc
	v_lshl_add_u64 v[2:3], s[28:29], 3, v[2:3]
	v_lshl_add_u64 v[2:3], v[2:3], 0, -8
	v_cmp_gt_i32_e32 vcc, s28, v5
	v_cmp_gt_i32_e64 s[8:9], s28, v8
	v_mov_b64_e32 v[12:13], 0
	v_cndmask_b32_e32 v3, v3, v21, vcc
	v_cndmask_b32_e32 v2, v2, v20, vcc
	v_mov_b64_e32 v[10:11], 0
	s_and_saveexec_b64 s[10:11], s[8:9]
	s_cbranch_execz .LBB172_60
; %bb.59:
	flat_load_dwordx2 v[10:11], v[2:3]
.LBB172_60:
	s_or_b64 exec, exec, s[10:11]
	s_movk_i32 s8, 0x108
	v_mad_u32_u24 v5, v8, s8, v9
	s_waitcnt vmcnt(0) lgkmcnt(0)
	ds_write_b64 v5, v[10:11]
	v_add_u32_e32 v5, 8, v8
	v_mul_u32_u24_e32 v6, 0x108, v8
	v_cmp_gt_i32_e64 s[8:9], s28, v5
	s_and_saveexec_b64 s[10:11], s[8:9]
	s_cbranch_execz .LBB172_62
; %bb.61:
	s_lshl_b64 s[8:9], s[24:25], 6
	v_lshl_add_u64 v[10:11], v[2:3], 0, s[8:9]
	flat_load_dwordx2 v[12:13], v[10:11]
.LBB172_62:
	s_or_b64 exec, exec, s[10:11]
	v_add_u32_e32 v10, 0x840, v6
	v_add_u32_e32 v7, v9, v10
	s_waitcnt vmcnt(0) lgkmcnt(0)
	ds_write_b64 v7, v[12:13]
	v_add_u32_e32 v7, 16, v8
	v_cmp_gt_i32_e64 s[8:9], s28, v7
	v_mov_b64_e32 v[14:15], 0
	v_mov_b64_e32 v[26:27], 0
	s_and_saveexec_b64 s[10:11], s[8:9]
	s_cbranch_execz .LBB172_64
; %bb.63:
	s_lshl_b64 s[8:9], s[24:25], 7
	v_lshl_add_u64 v[12:13], v[2:3], 0, s[8:9]
	flat_load_dwordx2 v[26:27], v[12:13]
.LBB172_64:
	s_or_b64 exec, exec, s[10:11]
	v_add_u32_e32 v12, 0x840, v10
	v_add_u32_e32 v11, v9, v12
	s_waitcnt vmcnt(0) lgkmcnt(0)
	ds_write_b64 v11, v[26:27]
	v_add_u32_e32 v11, 24, v8
	v_cmp_gt_i32_e64 s[8:9], s28, v11
	s_and_saveexec_b64 s[10:11], s[8:9]
	s_cbranch_execz .LBB172_66
; %bb.65:
	v_mov_b32_e32 v13, 0xc0
	v_mad_u64_u32 v[14:15], s[8:9], s24, v13, v[2:3]
	s_mul_i32 s8, s25, 0xc0
	s_nop 0
	v_add_u32_e32 v15, s8, v15
	flat_load_dwordx2 v[14:15], v[14:15]
.LBB172_66:
	s_or_b64 exec, exec, s[10:11]
	v_add_u32_e32 v13, 0x840, v12
	v_add_u32_e32 v25, v9, v13
	s_waitcnt vmcnt(0) lgkmcnt(0)
	ds_write_b64 v25, v[14:15]
	v_lshlrev_b32_e32 v14, 3, v0
	v_mov_b32_e32 v15, 0
	v_lshl_add_u64 v[2:3], v[2:3], 0, v[14:15]
	s_lshl_b64 s[8:9], s[28:29], 3
	v_mov_b32_e32 v0, s9
	v_subrev_co_u32_e64 v2, s[8:9], s8, v2
	s_nop 1
	v_subb_co_u32_e64 v3, s[8:9], v3, v0, s[8:9]
	s_mov_b64 s[8:9], 0x108
	s_nop 0
	v_lshl_add_u64 v[2:3], v[2:3], 0, s[8:9]
	v_cndmask_b32_e32 v21, v3, v21, vcc
	v_cndmask_b32_e32 v20, v2, v20, vcc
.LBB172_67:
	v_add_u32_e32 v0, v9, v6
	v_lshlrev_b32_e32 v5, 3, v5
	s_waitcnt lgkmcnt(0)
	s_barrier
	v_lshlrev_b32_e32 v2, 3, v8
	v_add_u32_e32 v3, v9, v10
	ds_read_b64 v[26:27], v0
	ds_read_b64 v[28:29], v2 offset:9088
	ds_read_b64 v[30:31], v3
	ds_read_b64 v[36:37], v5 offset:9088
	v_add_u32_e32 v0, v9, v12
	v_lshlrev_b32_e32 v5, 3, v11
	v_lshlrev_b32_e32 v2, 3, v7
	v_add_u32_e32 v3, v9, v13
	ds_read_b64 v[38:39], v0
	ds_read_b64 v[40:41], v2 offset:9088
	ds_read_b64 v[42:43], v3
	ds_read_b64 v[44:45], v5 offset:9088
	v_lshl_add_u32 v5, v1, 3, v23
	ds_read_b128 v[8:11], v4 offset:256
	ds_read_b128 v[0:3], v4 offset:272
	ds_read2_b64 v[12:15], v5 offset1:1
	ds_read2_b64 v[4:7], v5 offset0:2 offset1:3
	s_waitcnt lgkmcnt(10)
	v_fma_f64 v[26:27], v[26:27], v[28:29], 0
	s_waitcnt lgkmcnt(8)
	v_fmac_f64_e32 v[26:27], v[30:31], v[36:37]
	s_waitcnt lgkmcnt(6)
	v_fmac_f64_e32 v[26:27], v[38:39], v[40:41]
	;; [unrolled: 2-line block ×3, first 2 shown]
	s_waitcnt lgkmcnt(0)
	s_barrier
	ds_write_b64 v24, v[26:27]
	s_waitcnt lgkmcnt(0)
	s_barrier
	s_and_saveexec_b64 s[8:9], s[6:7]
	s_cbranch_execz .LBB172_69
; %bb.68:
	ds_read2_b64 v[26:29], v23 offset1:1
	ds_read2_b64 v[36:39], v23 offset0:2 offset1:3
	ds_read2_b64 v[40:43], v23 offset0:4 offset1:5
	s_waitcnt lgkmcnt(2)
	v_add_f64 v[26:27], v[34:35], v[26:27]
	v_add_f64 v[30:31], v[26:27], v[28:29]
	ds_read2_b64 v[26:29], v23 offset0:6 offset1:7
	s_waitcnt lgkmcnt(2)
	v_add_f64 v[30:31], v[30:31], v[36:37]
	v_add_f64 v[30:31], v[30:31], v[38:39]
	s_waitcnt lgkmcnt(1)
	v_add_f64 v[30:31], v[30:31], v[40:41]
	v_add_f64 v[30:31], v[30:31], v[42:43]
	;; [unrolled: 3-line block ×3, first 2 shown]
.LBB172_69:
	s_or_b64 exec, exec, s[8:9]
	v_fma_f64 v[8:9], v[12:13], v[8:9], 0
	v_fmac_f64_e32 v[8:9], v[14:15], v[10:11]
	v_fmac_f64_e32 v[8:9], v[4:5], v[0:1]
	;; [unrolled: 1-line block ×3, first 2 shown]
	s_barrier
	ds_write_b64 v24, v[8:9]
	s_waitcnt lgkmcnt(0)
	s_barrier
	s_and_saveexec_b64 s[6:7], s[4:5]
	s_cbranch_execz .LBB172_71
; %bb.70:
	ds_read2_b64 v[0:3], v23 offset1:1
	ds_read2_b64 v[4:7], v23 offset0:2 offset1:3
	ds_read2_b64 v[8:11], v23 offset0:4 offset1:5
	s_waitcnt lgkmcnt(2)
	v_add_f64 v[0:1], v[34:35], v[0:1]
	v_add_f64 v[12:13], v[0:1], v[2:3]
	ds_read2_b64 v[0:3], v23 offset0:6 offset1:7
	s_waitcnt lgkmcnt(2)
	v_add_f64 v[4:5], v[12:13], v[4:5]
	v_add_f64 v[4:5], v[4:5], v[6:7]
	s_waitcnt lgkmcnt(1)
	v_add_f64 v[4:5], v[4:5], v[8:9]
	v_add_f64 v[4:5], v[4:5], v[10:11]
	;; [unrolled: 3-line block ×3, first 2 shown]
.LBB172_71:
	s_or_b64 exec, exec, s[6:7]
	s_mul_hi_u32 s4, s27, s26
	s_mul_i32 s33, s33, s26
	s_add_i32 s4, s4, s33
	s_mul_i32 s6, s27, s26
	s_mul_i32 s4, s4, s3
	s_mul_hi_u32 s5, s6, s3
	s_add_i32 s5, s5, s4
	s_mul_i32 s4, s6, s3
	s_lshl_b64 s[4:5], s[4:5], 3
	s_add_u32 s3, s30, s4
	s_mul_i32 s4, s27, s2
	s_addc_u32 s7, s31, s5
	s_ashr_i32 s5, s4, 31
	s_lshl_b64 s[4:5], s[4:5], 3
	s_add_u32 s6, s3, s4
	v_cmp_le_i32_e32 vcc, s28, v77
	s_addc_u32 s7, s7, s5
	s_and_b64 vcc, s[38:39], vcc
	s_cmp_lt_i32 s2, 1
	v_lshlrev_b32_e32 v36, 3, v77
	s_barrier
	s_cbranch_scc1 .LBB172_78
; %bb.72:
	s_mul_i32 s3, s20, s35
	s_mul_hi_u32 s4, s20, s34
	s_add_i32 s3, s4, s3
	s_mul_i32 s4, s21, s34
	s_add_i32 s5, s3, s4
	s_mul_i32 s4, s20, s34
	s_lshl_b64 s[4:5], s[4:5], 3
	v_mov_b32_e32 v0, s5
	v_subrev_co_u32_e64 v38, s[4:5], s4, v16
	v_lshlrev_b64 v[2:3], 3, v[18:19]
	s_nop 0
	v_subb_co_u32_e64 v39, s[4:5], v17, v0, s[4:5]
	s_lshl_b64 s[4:5], s[36:37], 3
	s_nop 0
	v_mov_b32_e32 v1, s5
	v_subrev_co_u32_e64 v0, s[4:5], s4, v20
	v_lshlrev_b32_e32 v5, 2, v76
	s_nop 0
	v_subb_co_u32_e64 v1, s[4:5], v21, v1, s[4:5]
	s_movk_i32 s4, 0xff00
	s_mov_b32 s5, -1
	v_lshl_add_u64 v[0:1], v[0:1], 0, s[4:5]
	v_sub_co_u32_e64 v0, s[4:5], v0, v2
	s_ashr_i32 s29, s28, 31
	s_nop 0
	v_subb_co_u32_e64 v1, s[4:5], v1, v3, s[4:5]
	v_mad_u64_u32 v[2:3], s[4:5], s24, v5, 0
	v_mov_b32_e32 v4, v3
	v_mad_u64_u32 v[4:5], s[4:5], s25, v5, v[4:5]
	v_mov_b32_e32 v3, v4
	v_lshl_add_u64 v[0:1], v[2:3], 3, v[0:1]
	v_mov_b32_e32 v41, 0
	v_lshl_add_u64 v[2:3], s[28:29], 3, v[0:1]
	v_mov_b32_e32 v37, v41
	v_lshl_add_u64 v[2:3], v[2:3], 0, -8
	v_lshl_add_u64 v[0:1], v[0:1], 0, v[36:37]
	v_cndmask_b32_e32 v43, v1, v3, vcc
	s_movk_i32 s3, 0x860
	v_and_b32_e32 v1, 48, v77
	v_lshrrev_b32_e32 v6, 4, v22
	v_and_b32_e32 v7, 15, v77
	v_cndmask_b32_e32 v42, v0, v2, vcc
	v_mov_b32_e32 v0, 0x2180
	v_mad_u32_u24 v80, v76, s3, v36
	s_movk_i32 s3, 0x218
	v_lshlrev_b32_e32 v1, 3, v1
	v_lshl_add_u32 v78, v76, 5, v0
	v_lshlrev_b32_e32 v0, 5, v6
	v_mad_u32_u24 v82, v7, s3, v1
	v_or_b32_e32 v1, 0x78, v36
	v_mad_u32_u24 v81, v7, s3, v0
	v_mad_u32_u24 v83, v7, s3, v1
	s_mul_i32 s3, s25, 24
	s_mul_hi_u32 s14, s24, 24
	s_add_i32 s15, s14, s3
	s_mul_i32 s3, s25, 0x90
	s_mul_hi_u32 s26, s24, 0x90
	s_add_i32 s27, s26, s3
	;; [unrolled: 3-line block ×9, first 2 shown]
	s_mul_i32 s3, s25, 0x108
	s_mul_hi_u32 s33, s24, 0x108
	v_mul_i32_i24_e32 v0, 0xffffffe8, v6
	s_lshl_b64 s[8:9], s[24:25], 3
	s_lshl_b64 s[10:11], s[24:25], 4
	;; [unrolled: 1-line block ×4, first 2 shown]
	s_add_i32 s45, s33, s3
	s_mul_i32 s3, s25, 0x88
	s_mul_hi_u32 s25, s24, 0x88
	v_add_u32_e32 v37, 0x2180, v36
	v_add_u32_e32 v79, 0x2380, v36
	v_cmp_gt_u32_e64 s[4:5], 64, v22
	s_mul_i32 s14, s24, 24
	s_mul_i32 s26, s24, 0x90
	;; [unrolled: 1-line block ×10, first 2 shown]
	s_add_i32 s25, s25, s3
	s_mulk_i32 s24, 0x88
	s_mov_b32 s3, 0
	v_add_u32_e32 v84, v81, v0
	s_branch .LBB172_74
.LBB172_73:                             ;   in Loop: Header=BB172_74 Depth=1
	s_or_b64 exec, exec, s[46:47]
	v_fmac_f64_e32 v[34:35], v[50:51], v[4:5]
	v_fmac_f64_e32 v[34:35], v[48:49], v[6:7]
	;; [unrolled: 1-line block ×15, first 2 shown]
	s_add_i32 s3, s3, 64
	s_add_i32 s2, s2, -1
	v_fmac_f64_e32 v[34:35], v[68:69], v[26:27]
	s_cmp_eq_u32 s2, 0
	v_lshl_add_u64 v[42:43], v[42:43], 0, s[12:13]
	s_barrier
	s_cbranch_scc1 .LBB172_78
.LBB172_74:                             ; =>This Inner Loop Header: Depth=1
	s_and_saveexec_b64 s[46:47], s[16:17]
	s_cbranch_execz .LBB172_76
; %bb.75:                               ;   in Loop: Header=BB172_74 Depth=1
	s_mul_i32 s33, s21, s3
	s_mul_hi_u32 s48, s20, s3
	s_add_i32 s49, s48, s33
	s_mul_i32 s48, s20, s3
	v_lshl_add_u64 v[0:1], s[48:49], 3, v[38:39]
	flat_load_dwordx2 v[0:1], v[0:1]
	s_waitcnt vmcnt(0) lgkmcnt(0)
	ds_write_b64 v37, v[0:1]
.LBB172_76:                             ;   in Loop: Header=BB172_74 Depth=1
	s_or_b64 exec, exec, s[46:47]
	s_waitcnt lgkmcnt(0)
	s_barrier
	v_lshl_add_u64 v[0:1], v[42:43], 0, s[8:9]
	v_lshl_add_u64 v[2:3], v[42:43], 0, s[10:11]
	;; [unrolled: 1-line block ×3, first 2 shown]
	flat_load_dwordx2 v[50:51], v[42:43]
	flat_load_dwordx2 v[48:49], v[0:1]
	;; [unrolled: 1-line block ×4, first 2 shown]
	ds_read_b64 v[8:9], v79
	ds_read_b128 v[4:7], v78
	ds_read_b128 v[0:3], v78 offset:16
	v_lshl_add_u64 v[10:11], v[42:43], 0, s[18:19]
	v_lshl_add_u64 v[12:13], v[42:43], 0, s[24:25]
	;; [unrolled: 1-line block ×9, first 2 shown]
	s_waitcnt vmcnt(0) lgkmcnt(0)
	v_mul_f64 v[18:19], v[50:51], v[8:9]
	v_mul_f64 v[20:21], v[48:49], v[8:9]
	;; [unrolled: 1-line block ×4, first 2 shown]
	ds_write2_b64 v80, v[18:19], v[20:21] offset1:67
	ds_write2_b64 v80, v[22:23], v[8:9] offset0:134 offset1:201
	s_waitcnt lgkmcnt(0)
	s_barrier
	ds_read2_b64 v[24:27], v81 offset1:1
	ds_read2_b64 v[28:31], v81 offset0:2 offset1:3
	s_waitcnt lgkmcnt(0)
	s_barrier
	flat_load_dwordx2 v[58:59], v[10:11]
	flat_load_dwordx2 v[56:57], v[12:13]
	;; [unrolled: 1-line block ×4, first 2 shown]
	ds_read_b64 v[20:21], v79
	v_lshl_add_u64 v[16:17], v[42:43], 0, s[22:23]
	v_lshl_add_u64 v[18:19], v[42:43], 0, s[44:45]
	;; [unrolled: 1-line block ×3, first 2 shown]
	ds_read_b128 v[12:15], v78 offset:128
	ds_read_b128 v[8:11], v78 offset:144
	v_add_f64 v[24:25], v[24:25], 0
	v_add_f64 v[24:25], v[24:25], v[26:27]
	;; [unrolled: 1-line block ×3, first 2 shown]
	s_waitcnt vmcnt(0) lgkmcnt(0)
	v_mul_f64 v[60:61], v[58:59], v[20:21]
	v_mul_f64 v[62:63], v[56:57], v[20:21]
	;; [unrolled: 1-line block ×4, first 2 shown]
	ds_write2_b64 v80, v[60:61], v[62:63] offset1:67
	ds_write2_b64 v80, v[64:65], v[20:21] offset0:134 offset1:201
	s_waitcnt lgkmcnt(0)
	s_barrier
	ds_read2_b64 v[86:89], v81 offset1:1
	ds_read2_b64 v[90:93], v81 offset0:2 offset1:3
	s_waitcnt lgkmcnt(0)
	s_barrier
	flat_load_dwordx2 v[66:67], v[16:17]
	flat_load_dwordx2 v[64:65], v[18:19]
	;; [unrolled: 1-line block ×4, first 2 shown]
	ds_read_b64 v[68:69], v79
	ds_read_b128 v[20:23], v78 offset:256
	ds_read_b128 v[16:19], v78 offset:272
	s_waitcnt vmcnt(0) lgkmcnt(0)
	v_mul_f64 v[70:71], v[66:67], v[68:69]
	v_mul_f64 v[72:73], v[64:65], v[68:69]
	;; [unrolled: 1-line block ×4, first 2 shown]
	ds_write2_b64 v80, v[70:71], v[72:73] offset1:67
	ds_write2_b64 v80, v[74:75], v[68:69] offset0:134 offset1:201
	s_waitcnt lgkmcnt(0)
	s_barrier
	ds_read2_b64 v[94:97], v81 offset1:1
	ds_read2_b64 v[98:101], v81 offset0:2 offset1:3
	s_waitcnt lgkmcnt(0)
	s_barrier
	flat_load_dwordx2 v[74:75], v[102:103]
	flat_load_dwordx2 v[72:73], v[104:105]
	;; [unrolled: 1-line block ×4, first 2 shown]
	v_add_f64 v[102:103], v[24:25], v[30:31]
	v_add_f64 v[24:25], v[86:87], 0
	;; [unrolled: 1-line block ×5, first 2 shown]
	ds_read_b64 v[86:87], v79
	ds_read_b128 v[28:31], v78 offset:384
	ds_read_b128 v[24:27], v78 offset:400
	v_add_f64 v[88:89], v[94:95], 0
	v_add_f64 v[88:89], v[88:89], v[96:97]
	;; [unrolled: 1-line block ×4, first 2 shown]
	s_waitcnt vmcnt(0) lgkmcnt(0)
	v_mul_f64 v[88:89], v[74:75], v[86:87]
	v_mul_f64 v[90:91], v[72:73], v[86:87]
	;; [unrolled: 1-line block ×4, first 2 shown]
	ds_write2_b64 v80, v[88:89], v[90:91] offset1:67
	ds_write2_b64 v80, v[92:93], v[86:87] offset0:134 offset1:201
	s_waitcnt lgkmcnt(0)
	s_barrier
	ds_read2_b64 v[86:89], v81 offset1:1
	ds_read2_b64 v[90:93], v81 offset0:2 offset1:3
	s_waitcnt lgkmcnt(0)
	s_barrier
	v_add_f64 v[86:87], v[86:87], 0
	v_add_f64 v[86:87], v[86:87], v[88:89]
	;; [unrolled: 1-line block ×4, first 2 shown]
	ds_write2_b64 v84, v[102:103], v[104:105] offset1:16
	ds_write2_b64 v84, v[94:95], v[86:87] offset0:32 offset1:48
	s_waitcnt lgkmcnt(0)
	s_barrier
	s_and_saveexec_b64 s[46:47], s[4:5]
	s_cbranch_execz .LBB172_73
; %bb.77:                               ;   in Loop: Header=BB172_74 Depth=1
	ds_read2_b64 v[86:89], v82 offset1:1
	ds_read2_b64 v[90:93], v82 offset0:2 offset1:3
	ds_read2_b64 v[94:97], v82 offset0:4 offset1:5
	;; [unrolled: 1-line block ×4, first 2 shown]
	s_waitcnt lgkmcnt(4)
	v_add_f64 v[86:87], v[86:87], v[88:89]
	s_waitcnt lgkmcnt(3)
	v_add_f64 v[86:87], v[86:87], v[90:91]
	v_add_f64 v[86:87], v[86:87], v[92:93]
	s_waitcnt lgkmcnt(2)
	v_add_f64 v[86:87], v[86:87], v[94:95]
	;; [unrolled: 3-line block ×3, first 2 shown]
	ds_read2_b64 v[86:89], v82 offset0:10 offset1:11
	v_add_f64 v[90:91], v[90:91], v[100:101]
	s_waitcnt lgkmcnt(1)
	v_add_f64 v[90:91], v[90:91], v[102:103]
	v_add_f64 v[94:95], v[90:91], v[104:105]
	ds_read2_b64 v[90:93], v82 offset0:12 offset1:13
	s_waitcnt lgkmcnt(1)
	v_add_f64 v[86:87], v[94:95], v[86:87]
	ds_read_b64 v[94:95], v82 offset:112
	ds_read_b64 v[96:97], v83
	v_add_f64 v[86:87], v[86:87], v[88:89]
	v_add_u32_e32 v40, s3, v77
	s_waitcnt lgkmcnt(2)
	v_add_f64 v[86:87], v[86:87], v[90:91]
	v_add_f64 v[86:87], v[86:87], v[92:93]
	s_waitcnt lgkmcnt(1)
	v_add_f64 v[86:87], v[86:87], v[94:95]
	s_waitcnt lgkmcnt(0)
	v_add_f64 v[86:87], v[86:87], v[96:97]
	v_lshl_add_u64 v[88:89], v[40:41], 3, s[6:7]
	global_store_dwordx2 v[88:89], v[86:87], off
	s_branch .LBB172_73
.LBB172_78:
	s_movk_i32 s2, 0x218
	v_mad_u32_u24 v0, v76, s2, v36
	s_nor_b64 s[0:1], s[0:1], vcc
	ds_write_b64 v0, v[34:35]
	s_waitcnt lgkmcnt(0)
	s_barrier
	s_and_saveexec_b64 s[2:3], s[0:1]
	s_cbranch_execz .LBB172_80
; %bb.79:
	ds_read2_b64 v[0:3], v36 offset1:67
	ds_read2_b64 v[4:7], v36 offset0:134 offset1:201
	s_waitcnt lgkmcnt(1)
	v_add_f64 v[0:1], v[0:1], v[2:3]
	s_waitcnt lgkmcnt(0)
	v_add_f64 v[0:1], v[0:1], v[4:5]
	v_add_f64 v[0:1], v[0:1], v[6:7]
	v_lshl_add_u64 v[2:3], v[32:33], 3, s[6:7]
	global_store_dwordx2 v[2:3], v[0:1], off
.LBB172_80:
	s_endpgm
	.section	.rodata,"a",@progbits
	.p2align	6, 0x0
	.amdhsa_kernel _ZL26rocblas_hemvn_kernel_lowerILb0ELi64ELi4ELi33ELi32ELi16ElPKdPKS1_PdEviT6_lT7_lT5_lS6_lS7_lS5_lT8_i
		.amdhsa_group_segment_fixed_size 9600
		.amdhsa_private_segment_fixed_size 0
		.amdhsa_kernarg_size 376
		.amdhsa_user_sgpr_count 2
		.amdhsa_user_sgpr_dispatch_ptr 0
		.amdhsa_user_sgpr_queue_ptr 0
		.amdhsa_user_sgpr_kernarg_segment_ptr 1
		.amdhsa_user_sgpr_dispatch_id 0
		.amdhsa_user_sgpr_kernarg_preload_length 0
		.amdhsa_user_sgpr_kernarg_preload_offset 0
		.amdhsa_user_sgpr_private_segment_size 0
		.amdhsa_uses_dynamic_stack 0
		.amdhsa_enable_private_segment 0
		.amdhsa_system_sgpr_workgroup_id_x 1
		.amdhsa_system_sgpr_workgroup_id_y 0
		.amdhsa_system_sgpr_workgroup_id_z 1
		.amdhsa_system_sgpr_workgroup_info 0
		.amdhsa_system_vgpr_workitem_id 1
		.amdhsa_next_free_vgpr 110
		.amdhsa_next_free_sgpr 50
		.amdhsa_accum_offset 112
		.amdhsa_reserve_vcc 1
		.amdhsa_float_round_mode_32 0
		.amdhsa_float_round_mode_16_64 0
		.amdhsa_float_denorm_mode_32 3
		.amdhsa_float_denorm_mode_16_64 3
		.amdhsa_dx10_clamp 1
		.amdhsa_ieee_mode 1
		.amdhsa_fp16_overflow 0
		.amdhsa_tg_split 0
		.amdhsa_exception_fp_ieee_invalid_op 0
		.amdhsa_exception_fp_denorm_src 0
		.amdhsa_exception_fp_ieee_div_zero 0
		.amdhsa_exception_fp_ieee_overflow 0
		.amdhsa_exception_fp_ieee_underflow 0
		.amdhsa_exception_fp_ieee_inexact 0
		.amdhsa_exception_int_div_zero 0
	.end_amdhsa_kernel
	.section	.text._ZL26rocblas_hemvn_kernel_lowerILb0ELi64ELi4ELi33ELi32ELi16ElPKdPKS1_PdEviT6_lT7_lT5_lS6_lS7_lS5_lT8_i,"axG",@progbits,_ZL26rocblas_hemvn_kernel_lowerILb0ELi64ELi4ELi33ELi32ELi16ElPKdPKS1_PdEviT6_lT7_lT5_lS6_lS7_lS5_lT8_i,comdat
.Lfunc_end172:
	.size	_ZL26rocblas_hemvn_kernel_lowerILb0ELi64ELi4ELi33ELi32ELi16ElPKdPKS1_PdEviT6_lT7_lT5_lS6_lS7_lS5_lT8_i, .Lfunc_end172-_ZL26rocblas_hemvn_kernel_lowerILb0ELi64ELi4ELi33ELi32ELi16ElPKdPKS1_PdEviT6_lT7_lT5_lS6_lS7_lS5_lT8_i
                                        ; -- End function
	.set _ZL26rocblas_hemvn_kernel_lowerILb0ELi64ELi4ELi33ELi32ELi16ElPKdPKS1_PdEviT6_lT7_lT5_lS6_lS7_lS5_lT8_i.num_vgpr, 110
	.set _ZL26rocblas_hemvn_kernel_lowerILb0ELi64ELi4ELi33ELi32ELi16ElPKdPKS1_PdEviT6_lT7_lT5_lS6_lS7_lS5_lT8_i.num_agpr, 0
	.set _ZL26rocblas_hemvn_kernel_lowerILb0ELi64ELi4ELi33ELi32ELi16ElPKdPKS1_PdEviT6_lT7_lT5_lS6_lS7_lS5_lT8_i.numbered_sgpr, 50
	.set _ZL26rocblas_hemvn_kernel_lowerILb0ELi64ELi4ELi33ELi32ELi16ElPKdPKS1_PdEviT6_lT7_lT5_lS6_lS7_lS5_lT8_i.num_named_barrier, 0
	.set _ZL26rocblas_hemvn_kernel_lowerILb0ELi64ELi4ELi33ELi32ELi16ElPKdPKS1_PdEviT6_lT7_lT5_lS6_lS7_lS5_lT8_i.private_seg_size, 0
	.set _ZL26rocblas_hemvn_kernel_lowerILb0ELi64ELi4ELi33ELi32ELi16ElPKdPKS1_PdEviT6_lT7_lT5_lS6_lS7_lS5_lT8_i.uses_vcc, 1
	.set _ZL26rocblas_hemvn_kernel_lowerILb0ELi64ELi4ELi33ELi32ELi16ElPKdPKS1_PdEviT6_lT7_lT5_lS6_lS7_lS5_lT8_i.uses_flat_scratch, 0
	.set _ZL26rocblas_hemvn_kernel_lowerILb0ELi64ELi4ELi33ELi32ELi16ElPKdPKS1_PdEviT6_lT7_lT5_lS6_lS7_lS5_lT8_i.has_dyn_sized_stack, 0
	.set _ZL26rocblas_hemvn_kernel_lowerILb0ELi64ELi4ELi33ELi32ELi16ElPKdPKS1_PdEviT6_lT7_lT5_lS6_lS7_lS5_lT8_i.has_recursion, 0
	.set _ZL26rocblas_hemvn_kernel_lowerILb0ELi64ELi4ELi33ELi32ELi16ElPKdPKS1_PdEviT6_lT7_lT5_lS6_lS7_lS5_lT8_i.has_indirect_call, 0
	.section	.AMDGPU.csdata,"",@progbits
; Kernel info:
; codeLenInByte = 6024
; TotalNumSgprs: 56
; NumVgprs: 110
; NumAgprs: 0
; TotalNumVgprs: 110
; ScratchSize: 0
; MemoryBound: 0
; FloatMode: 240
; IeeeMode: 1
; LDSByteSize: 9600 bytes/workgroup (compile time only)
; SGPRBlocks: 6
; VGPRBlocks: 13
; NumSGPRsForWavesPerEU: 56
; NumVGPRsForWavesPerEU: 110
; AccumOffset: 112
; Occupancy: 4
; WaveLimiterHint : 1
; COMPUTE_PGM_RSRC2:SCRATCH_EN: 0
; COMPUTE_PGM_RSRC2:USER_SGPR: 2
; COMPUTE_PGM_RSRC2:TRAP_HANDLER: 0
; COMPUTE_PGM_RSRC2:TGID_X_EN: 1
; COMPUTE_PGM_RSRC2:TGID_Y_EN: 0
; COMPUTE_PGM_RSRC2:TGID_Z_EN: 1
; COMPUTE_PGM_RSRC2:TIDIG_COMP_CNT: 1
; COMPUTE_PGM_RSRC3_GFX90A:ACCUM_OFFSET: 27
; COMPUTE_PGM_RSRC3_GFX90A:TG_SPLIT: 0
	.section	.text._ZL36rocblas_hemvn_kernel_lower_block_sumILi64ElPKdPKPddEviT1_lS5_lT2_lT0_lPT3_i,"axG",@progbits,_ZL36rocblas_hemvn_kernel_lower_block_sumILi64ElPKdPKPddEviT1_lS5_lT2_lT0_lPT3_i,comdat
	.globl	_ZL36rocblas_hemvn_kernel_lower_block_sumILi64ElPKdPKPddEviT1_lS5_lT2_lT0_lPT3_i ; -- Begin function _ZL36rocblas_hemvn_kernel_lower_block_sumILi64ElPKdPKPddEviT1_lS5_lT2_lT0_lPT3_i
	.p2align	8
	.type	_ZL36rocblas_hemvn_kernel_lower_block_sumILi64ElPKdPKPddEviT1_lS5_lT2_lT0_lPT3_i,@function
_ZL36rocblas_hemvn_kernel_lower_block_sumILi64ElPKdPKPddEviT1_lS5_lT2_lT0_lPT3_i: ; @_ZL36rocblas_hemvn_kernel_lower_block_sumILi64ElPKdPKPddEviT1_lS5_lT2_lT0_lPT3_i
; %bb.0:
	s_load_dwordx8 s[8:15], s[0:1], 0x8
	s_mov_b32 s16, s3
	s_waitcnt lgkmcnt(0)
	s_mul_i32 s3, s11, s3
	s_mul_hi_u32 s4, s10, s16
	s_add_i32 s5, s4, s3
	s_mul_i32 s4, s10, s16
	s_lshl_b64 s[4:5], s[4:5], 3
	s_add_u32 s4, s8, s4
	s_addc_u32 s5, s9, s5
	s_load_dwordx2 s[8:9], s[4:5], 0x0
	s_mul_i32 s3, s15, s16
	s_mul_hi_u32 s4, s14, s16
	s_add_i32 s5, s4, s3
	s_mul_i32 s4, s14, s16
	s_lshl_b64 s[4:5], s[4:5], 3
	s_add_u32 s4, s12, s4
	s_addc_u32 s5, s13, s5
	s_load_dwordx2 s[12:13], s[4:5], 0x0
	s_waitcnt lgkmcnt(0)
	v_cmp_eq_f64_e64 s[4:5], s[8:9], 0
	v_cmp_eq_f64_e64 s[6:7], s[12:13], 1.0
	s_and_b64 s[4:5], s[4:5], s[6:7]
	s_and_b64 vcc, exec, s[4:5]
	s_cbranch_vccnz .LBB173_19
; %bb.1:
	s_load_dwordx2 s[10:11], s[0:1], 0x28
	s_mov_b32 s17, 0
	s_lshl_b64 s[14:15], s[16:17], 3
	s_load_dword s18, s[0:1], 0x0
	s_load_dwordx4 s[4:7], s[0:1], 0x30
	v_lshl_or_b32 v6, s2, 6, v0
	s_waitcnt lgkmcnt(0)
	s_add_u32 s10, s10, s14
	s_addc_u32 s11, s11, s15
	s_load_dwordx2 s[10:11], s[10:11], 0x0
	s_lshl_b64 s[4:5], s[4:5], 3
	v_cmp_neq_f64_e64 s[20:21], s[8:9], 0
	s_mov_b64 s[14:15], 0
	s_waitcnt lgkmcnt(0)
	s_add_u32 s10, s10, s4
	s_addc_u32 s11, s11, s5
	s_and_b64 vcc, exec, s[20:21]
	v_cmp_gt_i32_e64 s[4:5], s18, v6
	s_cbranch_vccnz .LBB173_6
; %bb.2:
	s_mov_b64 s[20:21], 0
                                        ; implicit-def: $vgpr0_vgpr1
                                        ; implicit-def: $vgpr2_vgpr3
	s_and_saveexec_b64 s[22:23], s[4:5]
	s_cbranch_execz .LBB173_7
; %bb.3:
	v_ashrrev_i32_e32 v2, 31, v6
	v_cmp_eq_f64_e64 s[4:5], s[12:13], 0
	v_mul_lo_u32 v4, s7, v6
	v_mul_lo_u32 v5, s6, v2
	v_mad_u64_u32 v[2:3], s[14:15], s6, v6, 0
	v_mov_b64_e32 v[0:1], 0
	v_add3_u32 v3, v3, v5, v4
	s_and_b64 vcc, exec, s[4:5]
	s_cbranch_vccnz .LBB173_5
; %bb.4:
	v_lshl_add_u64 v[0:1], v[2:3], 3, s[10:11]
	flat_load_dwordx2 v[0:1], v[0:1]
	s_waitcnt vmcnt(0) lgkmcnt(0)
	v_mul_f64 v[0:1], s[12:13], v[0:1]
.LBB173_5:
	s_mov_b64 s[14:15], exec
	s_or_b64 exec, exec, s[22:23]
	s_and_b64 vcc, exec, s[20:21]
	s_cbranch_vccnz .LBB173_8
	s_branch .LBB173_17
.LBB173_6:
                                        ; implicit-def: $vgpr0_vgpr1
                                        ; implicit-def: $vgpr2_vgpr3
	s_cbranch_execnz .LBB173_8
	s_branch .LBB173_17
.LBB173_7:
	s_or_b64 exec, exec, s[22:23]
	s_and_b64 vcc, exec, s[20:21]
	s_cbranch_vccz .LBB173_17
.LBB173_8:
	v_cmp_gt_i32_e32 vcc, s18, v6
                                        ; implicit-def: $vgpr0_vgpr1
                                        ; implicit-def: $vgpr2_vgpr3
	s_and_saveexec_b64 s[4:5], vcc
	s_cbranch_execz .LBB173_16
; %bb.9:
	s_load_dword s3, s[0:1], 0x58
	v_mov_b64_e32 v[4:5], 0
	s_waitcnt lgkmcnt(0)
	s_cmp_ge_i32 s2, s3
	s_cbranch_scc1 .LBB173_12
; %bb.10:
	s_ashr_i32 s19, s18, 31
	s_mul_i32 s17, s18, s2
	s_load_dwordx2 s[0:1], s[0:1], 0x48
	v_add_u32_e32 v0, s17, v6
	s_mul_hi_u32 s17, s18, s16
	s_mul_i32 s20, s19, s16
	s_add_i32 s17, s17, s20
	s_mul_i32 s16, s18, s16
	s_mul_i32 s17, s17, s3
	s_mul_hi_u32 s20, s16, s3
	s_add_i32 s17, s20, s17
	s_mul_i32 s16, s16, s3
	s_lshl_b64 s[16:17], s[16:17], 3
	s_waitcnt lgkmcnt(0)
	s_add_u32 s0, s0, s16
	v_ashrrev_i32_e32 v1, 31, v0
	s_addc_u32 s1, s1, s17
	v_lshl_add_u64 v[0:1], v[0:1], 3, s[0:1]
	s_lshl_b64 s[0:1], s[18:19], 3
	v_mov_b64_e32 v[4:5], 0
.LBB173_11:                             ; =>This Inner Loop Header: Depth=1
	global_load_dwordx2 v[2:3], v[0:1], off
	s_add_i32 s2, s2, 1
	v_lshl_add_u64 v[0:1], v[0:1], 0, s[0:1]
	s_cmp_ge_i32 s2, s3
	s_waitcnt vmcnt(0)
	v_add_f64 v[4:5], v[4:5], v[2:3]
	s_cbranch_scc0 .LBB173_11
.LBB173_12:
	v_cmp_eq_f64_e64 s[2:3], s[12:13], 0
	v_ashrrev_i32_e32 v0, 31, v6
	s_mov_b64 s[0:1], 0
	s_and_b64 vcc, exec, s[2:3]
	v_mul_lo_u32 v7, s7, v6
	v_mul_lo_u32 v8, s6, v0
	s_cbranch_vccz .LBB173_20
; %bb.13:
	v_mad_u64_u32 v[2:3], s[2:3], s6, v6, 0
	v_mul_f64 v[0:1], s[8:9], v[4:5]
	v_add3_u32 v3, v3, v8, v7
	s_andn2_b64 vcc, exec, s[0:1]
	s_cbranch_vccnz .LBB173_15
.LBB173_14:
	v_mad_u64_u32 v[2:3], s[0:1], s6, v6, 0
	v_add3_u32 v3, v3, v8, v7
	v_lshl_add_u64 v[0:1], v[2:3], 3, s[10:11]
	flat_load_dwordx2 v[0:1], v[0:1]
	s_waitcnt vmcnt(0) lgkmcnt(0)
	v_mul_f64 v[0:1], s[12:13], v[0:1]
	v_fmac_f64_e32 v[0:1], s[8:9], v[4:5]
.LBB173_15:
	s_or_b64 s[14:15], s[14:15], exec
.LBB173_16:
	s_or_b64 exec, exec, s[4:5]
.LBB173_17:
	s_and_saveexec_b64 s[0:1], s[14:15]
	s_cbranch_execz .LBB173_19
; %bb.18:
	v_lshl_add_u64 v[2:3], v[2:3], 3, s[10:11]
	flat_store_dwordx2 v[2:3], v[0:1]
.LBB173_19:
	s_endpgm
.LBB173_20:
                                        ; implicit-def: $vgpr0_vgpr1
                                        ; implicit-def: $vgpr2_vgpr3
	s_branch .LBB173_14
	.section	.rodata,"a",@progbits
	.p2align	6, 0x0
	.amdhsa_kernel _ZL36rocblas_hemvn_kernel_lower_block_sumILi64ElPKdPKPddEviT1_lS5_lT2_lT0_lPT3_i
		.amdhsa_group_segment_fixed_size 0
		.amdhsa_private_segment_fixed_size 0
		.amdhsa_kernarg_size 344
		.amdhsa_user_sgpr_count 2
		.amdhsa_user_sgpr_dispatch_ptr 0
		.amdhsa_user_sgpr_queue_ptr 0
		.amdhsa_user_sgpr_kernarg_segment_ptr 1
		.amdhsa_user_sgpr_dispatch_id 0
		.amdhsa_user_sgpr_kernarg_preload_length 0
		.amdhsa_user_sgpr_kernarg_preload_offset 0
		.amdhsa_user_sgpr_private_segment_size 0
		.amdhsa_uses_dynamic_stack 0
		.amdhsa_enable_private_segment 0
		.amdhsa_system_sgpr_workgroup_id_x 1
		.amdhsa_system_sgpr_workgroup_id_y 0
		.amdhsa_system_sgpr_workgroup_id_z 1
		.amdhsa_system_sgpr_workgroup_info 0
		.amdhsa_system_vgpr_workitem_id 0
		.amdhsa_next_free_vgpr 9
		.amdhsa_next_free_sgpr 24
		.amdhsa_accum_offset 12
		.amdhsa_reserve_vcc 1
		.amdhsa_float_round_mode_32 0
		.amdhsa_float_round_mode_16_64 0
		.amdhsa_float_denorm_mode_32 3
		.amdhsa_float_denorm_mode_16_64 3
		.amdhsa_dx10_clamp 1
		.amdhsa_ieee_mode 1
		.amdhsa_fp16_overflow 0
		.amdhsa_tg_split 0
		.amdhsa_exception_fp_ieee_invalid_op 0
		.amdhsa_exception_fp_denorm_src 0
		.amdhsa_exception_fp_ieee_div_zero 0
		.amdhsa_exception_fp_ieee_overflow 0
		.amdhsa_exception_fp_ieee_underflow 0
		.amdhsa_exception_fp_ieee_inexact 0
		.amdhsa_exception_int_div_zero 0
	.end_amdhsa_kernel
	.section	.text._ZL36rocblas_hemvn_kernel_lower_block_sumILi64ElPKdPKPddEviT1_lS5_lT2_lT0_lPT3_i,"axG",@progbits,_ZL36rocblas_hemvn_kernel_lower_block_sumILi64ElPKdPKPddEviT1_lS5_lT2_lT0_lPT3_i,comdat
.Lfunc_end173:
	.size	_ZL36rocblas_hemvn_kernel_lower_block_sumILi64ElPKdPKPddEviT1_lS5_lT2_lT0_lPT3_i, .Lfunc_end173-_ZL36rocblas_hemvn_kernel_lower_block_sumILi64ElPKdPKPddEviT1_lS5_lT2_lT0_lPT3_i
                                        ; -- End function
	.set _ZL36rocblas_hemvn_kernel_lower_block_sumILi64ElPKdPKPddEviT1_lS5_lT2_lT0_lPT3_i.num_vgpr, 9
	.set _ZL36rocblas_hemvn_kernel_lower_block_sumILi64ElPKdPKPddEviT1_lS5_lT2_lT0_lPT3_i.num_agpr, 0
	.set _ZL36rocblas_hemvn_kernel_lower_block_sumILi64ElPKdPKPddEviT1_lS5_lT2_lT0_lPT3_i.numbered_sgpr, 24
	.set _ZL36rocblas_hemvn_kernel_lower_block_sumILi64ElPKdPKPddEviT1_lS5_lT2_lT0_lPT3_i.num_named_barrier, 0
	.set _ZL36rocblas_hemvn_kernel_lower_block_sumILi64ElPKdPKPddEviT1_lS5_lT2_lT0_lPT3_i.private_seg_size, 0
	.set _ZL36rocblas_hemvn_kernel_lower_block_sumILi64ElPKdPKPddEviT1_lS5_lT2_lT0_lPT3_i.uses_vcc, 1
	.set _ZL36rocblas_hemvn_kernel_lower_block_sumILi64ElPKdPKPddEviT1_lS5_lT2_lT0_lPT3_i.uses_flat_scratch, 0
	.set _ZL36rocblas_hemvn_kernel_lower_block_sumILi64ElPKdPKPddEviT1_lS5_lT2_lT0_lPT3_i.has_dyn_sized_stack, 0
	.set _ZL36rocblas_hemvn_kernel_lower_block_sumILi64ElPKdPKPddEviT1_lS5_lT2_lT0_lPT3_i.has_recursion, 0
	.set _ZL36rocblas_hemvn_kernel_lower_block_sumILi64ElPKdPKPddEviT1_lS5_lT2_lT0_lPT3_i.has_indirect_call, 0
	.section	.AMDGPU.csdata,"",@progbits
; Kernel info:
; codeLenInByte = 684
; TotalNumSgprs: 30
; NumVgprs: 9
; NumAgprs: 0
; TotalNumVgprs: 9
; ScratchSize: 0
; MemoryBound: 0
; FloatMode: 240
; IeeeMode: 1
; LDSByteSize: 0 bytes/workgroup (compile time only)
; SGPRBlocks: 3
; VGPRBlocks: 1
; NumSGPRsForWavesPerEU: 30
; NumVGPRsForWavesPerEU: 9
; AccumOffset: 12
; Occupancy: 8
; WaveLimiterHint : 1
; COMPUTE_PGM_RSRC2:SCRATCH_EN: 0
; COMPUTE_PGM_RSRC2:USER_SGPR: 2
; COMPUTE_PGM_RSRC2:TRAP_HANDLER: 0
; COMPUTE_PGM_RSRC2:TGID_X_EN: 1
; COMPUTE_PGM_RSRC2:TGID_Y_EN: 0
; COMPUTE_PGM_RSRC2:TGID_Z_EN: 1
; COMPUTE_PGM_RSRC2:TIDIG_COMP_CNT: 0
; COMPUTE_PGM_RSRC3_GFX90A:ACCUM_OFFSET: 2
; COMPUTE_PGM_RSRC3_GFX90A:TG_SPLIT: 0
	.section	.text._ZL26rocblas_hemvn_kernel_lowerILb0ELi64ELi4ELi33ELi32ELi16EiPKdPKS1_PdEviT6_lT7_lT5_lS6_lS7_lS5_lT8_i,"axG",@progbits,_ZL26rocblas_hemvn_kernel_lowerILb0ELi64ELi4ELi33ELi32ELi16EiPKdPKS1_PdEviT6_lT7_lT5_lS6_lS7_lS5_lT8_i,comdat
	.globl	_ZL26rocblas_hemvn_kernel_lowerILb0ELi64ELi4ELi33ELi32ELi16EiPKdPKS1_PdEviT6_lT7_lT5_lS6_lS7_lS5_lT8_i ; -- Begin function _ZL26rocblas_hemvn_kernel_lowerILb0ELi64ELi4ELi33ELi32ELi16EiPKdPKS1_PdEviT6_lT7_lT5_lS6_lS7_lS5_lT8_i
	.p2align	8
	.type	_ZL26rocblas_hemvn_kernel_lowerILb0ELi64ELi4ELi33ELi32ELi16EiPKdPKS1_PdEviT6_lT7_lT5_lS6_lS7_lS5_lT8_i,@function
_ZL26rocblas_hemvn_kernel_lowerILb0ELi64ELi4ELi33ELi32ELi16EiPKdPKS1_PdEviT6_lT7_lT5_lS6_lS7_lS5_lT8_i: ; @_ZL26rocblas_hemvn_kernel_lowerILb0ELi64ELi4ELi33ELi32ELi16EiPKdPKS1_PdEviT6_lT7_lT5_lS6_lS7_lS5_lT8_i
; %bb.0:
	s_load_dwordx2 s[4:5], s[0:1], 0x84
	s_add_u32 s12, s0, 0x78
	s_mov_b32 s20, s3
	s_addc_u32 s13, s1, 0
	s_waitcnt lgkmcnt(0)
	s_and_b32 s3, s5, 0xffff
	s_lshr_b32 s5, s4, 16
	s_and_b32 s4, s4, 0xffff
	s_mul_i32 s4, s5, s4
	s_mul_i32 s4, s4, s3
	s_cmpk_lg_i32 s4, 0x100
	s_cbranch_scc1 .LBB174_80
; %bb.1:
	s_load_dwordx8 s[4:11], s[0:1], 0x8
	s_load_dwordx4 s[16:19], s[0:1], 0x58
	s_waitcnt lgkmcnt(0)
	s_mul_i32 s3, s7, s20
	s_mul_hi_u32 s7, s6, s20
	s_mul_i32 s6, s6, s20
	s_add_i32 s7, s7, s3
	s_lshl_b64 s[6:7], s[6:7], 3
	s_mul_i32 s14, s19, s20
	s_add_u32 s4, s4, s6
	s_mul_hi_u32 s3, s18, s20
	s_addc_u32 s5, s5, s7
	s_add_i32 s7, s3, s14
	s_mul_i32 s6, s18, s20
	s_lshl_b64 s[6:7], s[6:7], 3
	s_add_u32 s6, s16, s6
	s_addc_u32 s7, s17, s7
	s_load_dwordx2 s[4:5], s[4:5], 0x0
	s_nop 0
	s_load_dwordx2 s[14:15], s[6:7], 0x0
	s_waitcnt lgkmcnt(0)
	v_cmp_eq_f64_e64 s[6:7], s[4:5], 0
	v_cmp_eq_f64_e64 s[4:5], s[14:15], 1.0
	s_and_b64 s[4:5], s[6:7], s[4:5]
	s_and_b64 vcc, exec, s[4:5]
	s_cbranch_vccnz .LBB174_80
; %bb.2:
	s_mov_b64 s[4:5], 0
	s_and_b64 vcc, exec, s[6:7]
	s_cbranch_vccnz .LBB174_4
; %bb.3:
	s_mov_b64 s[4:5], -1
.LBB174_4:
	s_andn2_b64 vcc, exec, s[4:5]
	s_cbranch_vccnz .LBB174_80
; %bb.5:
	s_mov_b32 s21, 0
	s_load_dwordx4 s[4:7], s[0:1], 0x38
	s_load_dword s3, s[0:1], 0x48
	s_lshl_b64 s[14:15], s[20:21], 3
	s_add_u32 s8, s8, s14
	s_addc_u32 s9, s9, s15
	s_waitcnt lgkmcnt(0)
	s_add_u32 s14, s4, s14
	s_addc_u32 s15, s5, s15
	s_load_dwordx2 s[16:17], s[14:15], 0x0
	s_load_dwordx2 s[28:29], s[0:1], 0x68
	s_load_dword s21, s[0:1], 0x0
	s_load_dword s33, s[12:13], 0x0
	s_load_dwordx2 s[4:5], s[8:9], 0x0
	s_lshl_b64 s[6:7], s[6:7], 3
	s_waitcnt lgkmcnt(0)
	s_add_u32 s6, s16, s6
	s_addc_u32 s7, s17, s7
	s_ashr_i32 s40, s21, 31
	s_lshr_b32 s9, s40, 26
	v_and_b32_e32 v34, 0x3ff, v0
	s_lshl_b32 s26, s2, 6
	s_add_i32 s9, s21, s9
	s_andn2_b32 s9, s9, 63
	v_add_u32_e32 v32, s26, v34
	v_bfe_u32 v33, v0, 10, 10
	s_add_i32 s8, s33, -1
	s_sub_i32 s9, s21, s9
	v_mul_lo_u32 v0, s3, v32
	s_cmp_eq_u32 s2, s8
	v_ashrrev_i32_e32 v1, 31, v0
	s_cselect_b32 s24, s9, 0
	v_lshl_add_u64 v[16:17], v[0:1], 3, s[6:7]
	v_cmp_ne_u32_e64 s[16:17], 0, v33
	v_cmp_eq_u32_e64 s[18:19], 0, v33
	s_and_saveexec_b64 s[6:7], s[18:19]
	s_cbranch_execz .LBB174_9
; %bb.6:
	s_cmp_eq_u32 s24, 0
	s_cselect_b64 s[8:9], -1, 0
	v_cmp_gt_i32_e32 vcc, s24, v34
	s_or_b64 s[12:13], s[8:9], vcc
	v_mov_b64_e32 v[0:1], 0
	s_and_saveexec_b64 s[8:9], s[12:13]
	s_cbranch_execz .LBB174_8
; %bb.7:
	flat_load_dwordx2 v[0:1], v[16:17]
.LBB174_8:
	s_or_b64 exec, exec, s[8:9]
	v_lshlrev_b32_e32 v2, 3, v34
	s_waitcnt vmcnt(0) lgkmcnt(0)
	ds_write_b64 v2, v[0:1] offset:9088
.LBB174_9:
	s_or_b64 exec, exec, s[6:7]
	s_load_dword s22, s[0:1], 0x28
	s_lshl_b64 s[6:7], s[10:11], 3
	s_add_u32 s4, s4, s6
	s_addc_u32 s5, s5, s7
	s_ashr_i32 s27, s26, 31
	v_lshl_add_u32 v22, v33, 6, v34
	s_lshl_b64 s[0:1], s[26:27], 3
	v_and_b32_e32 v2, 31, v34
	v_lshrrev_b32_e32 v8, 5, v22
	s_add_u32 s0, s4, s0
	s_waitcnt lgkmcnt(0)
	s_mul_i32 s30, s22, s26
	s_addc_u32 s1, s5, s1
	v_mad_u64_u32 v[18:19], s[4:5], s22, v8, v[2:3]
	s_ashr_i32 s31, s30, 31
	v_ashrrev_i32_e32 v19, 31, v18
	s_cmp_lg_u32 s24, 0
	v_lshl_add_u64 v[0:1], v[18:19], 3, s[0:1]
	s_cselect_b64 s[34:35], -1, 0
	s_cmp_eq_u32 s24, 0
	v_lshl_add_u64 v[4:5], s[30:31], 3, v[0:1]
	s_cselect_b64 s[36:37], -1, 0
	s_mov_b64 s[0:1], -1
	s_and_b64 vcc, exec, s[34:35]
	s_cbranch_vccnz .LBB174_11
; %bb.10:
	s_lshl_b32 s0, s22, 3
	s_ashr_i32 s1, s0, 31
	s_ashr_i32 s23, s22, 31
	v_lshl_add_u64 v[0:1], s[0:1], 3, v[4:5]
	s_lshl_b64 s[0:1], s[22:23], 6
	v_lshl_add_u64 v[6:7], v[0:1], 0, s[0:1]
	v_lshl_add_u64 v[10:11], v[6:7], 0, s[0:1]
	flat_load_dwordx2 v[12:13], v[4:5]
	flat_load_dwordx2 v[14:15], v[0:1]
	;; [unrolled: 1-line block ×4, first 2 shown]
	v_mul_u32_u24_e32 v0, 0x108, v8
	v_lshl_add_u32 v0, v2, 3, v0
	s_mov_b64 s[0:1], 0
	s_waitcnt vmcnt(0) lgkmcnt(0)
	ds_write_b64 v0, v[12:13]
	ds_write_b64 v0, v[14:15] offset:2112
	ds_write_b64 v0, v[20:21] offset:4224
	;; [unrolled: 1-line block ×3, first 2 shown]
.LBB174_11:
	s_andn2_b64 vcc, exec, s[0:1]
	v_lshlrev_b32_e32 v0, 3, v2
	s_cbranch_vccnz .LBB174_21
; %bb.12:
	v_sub_co_u32_e32 v6, vcc, v4, v0
	s_ashr_i32 s25, s24, 31
	s_nop 0
	v_subbrev_co_u32_e32 v7, vcc, 0, v5, vcc
	v_lshl_add_u64 v[6:7], s[24:25], 3, v[6:7]
	v_lshl_add_u64 v[6:7], v[6:7], 0, -8
	v_cmp_gt_i32_e32 vcc, s24, v2
	v_cmp_gt_i32_e64 s[0:1], s24, v8
	v_mov_b64_e32 v[10:11], 0
	v_cndmask_b32_e32 v7, v7, v5, vcc
	v_cndmask_b32_e32 v6, v6, v4, vcc
	v_mov_b64_e32 v[12:13], 0
	s_and_saveexec_b64 s[4:5], s[0:1]
	s_cbranch_execz .LBB174_14
; %bb.13:
	flat_load_dwordx2 v[12:13], v[6:7]
.LBB174_14:
	s_or_b64 exec, exec, s[4:5]
	s_movk_i32 s0, 0x108
	v_mad_u32_u24 v3, v8, s0, v0
	s_waitcnt vmcnt(0) lgkmcnt(0)
	ds_write_b64 v3, v[12:13]
	v_add_u32_e32 v3, 8, v8
	v_mul_u32_u24_e32 v1, 0x108, v8
	v_cmp_gt_i32_e64 s[0:1], s24, v3
	s_and_saveexec_b64 s[4:5], s[0:1]
	s_cbranch_execz .LBB174_16
; %bb.15:
	s_lshl_b32 s0, s22, 3
	s_ashr_i32 s1, s0, 31
	v_lshl_add_u64 v[10:11], s[0:1], 3, v[6:7]
	flat_load_dwordx2 v[10:11], v[10:11]
.LBB174_16:
	s_or_b64 exec, exec, s[4:5]
	v_add_u32_e32 v1, v1, v0
	v_add_u32_e32 v3, 16, v8
	s_waitcnt vmcnt(0) lgkmcnt(0)
	ds_write_b64 v1, v[10:11] offset:2112
	v_cmp_gt_i32_e64 s[0:1], s24, v3
	v_mov_b64_e32 v[10:11], 0
	v_mov_b64_e32 v[12:13], 0
	s_and_saveexec_b64 s[4:5], s[0:1]
	s_cbranch_execz .LBB174_18
; %bb.17:
	s_lshl_b32 s0, s22, 4
	s_ashr_i32 s1, s0, 31
	v_lshl_add_u64 v[12:13], s[0:1], 3, v[6:7]
	flat_load_dwordx2 v[12:13], v[12:13]
.LBB174_18:
	s_or_b64 exec, exec, s[4:5]
	v_add_u32_e32 v3, 24, v8
	v_cmp_gt_i32_e64 s[0:1], s24, v3
	s_waitcnt vmcnt(0) lgkmcnt(0)
	ds_write_b64 v1, v[12:13] offset:4224
	s_and_saveexec_b64 s[4:5], s[0:1]
	s_cbranch_execz .LBB174_20
; %bb.19:
	s_mul_i32 s0, s22, 24
	s_ashr_i32 s1, s0, 31
	v_lshl_add_u64 v[10:11], s[0:1], 3, v[6:7]
	flat_load_dwordx2 v[10:11], v[10:11]
.LBB174_20:
	s_or_b64 exec, exec, s[4:5]
	s_waitcnt vmcnt(0) lgkmcnt(0)
	ds_write_b64 v1, v[10:11] offset:6336
	v_mov_b32_e32 v1, 0
	v_lshl_add_u64 v[6:7], v[6:7], 0, v[0:1]
	s_lshl_b64 s[0:1], s[24:25], 3
	v_mov_b32_e32 v1, s1
	v_subrev_co_u32_e64 v6, s[0:1], s0, v6
	s_nop 1
	v_subb_co_u32_e64 v7, s[0:1], v7, v1, s[0:1]
	v_lshl_add_u64 v[6:7], v[6:7], 0, 8
	v_cndmask_b32_e32 v5, v7, v5, vcc
	v_cndmask_b32_e32 v4, v6, v4, vcc
.LBB174_21:
	v_lshlrev_b32_e32 v9, 2, v8
	v_lshl_or_b32 v1, v2, 8, v0
	v_cmp_lt_u32_e64 s[6:7], v9, v2
	s_waitcnt lgkmcnt(0)
	s_barrier
	s_and_saveexec_b64 s[0:1], s[6:7]
	s_cbranch_execz .LBB174_23
; %bb.22:
	s_movk_i32 s4, 0x420
	v_mad_u32_u24 v3, v8, s4, v0
	ds_read_b64 v[6:7], v3
	v_lshl_add_u32 v3, v9, 3, v1
	s_waitcnt lgkmcnt(0)
	ds_write_b64 v3, v[6:7]
.LBB174_23:
	s_or_b64 exec, exec, s[0:1]
	v_or_b32_e32 v3, 1, v9
	v_cmp_lt_u32_e64 s[8:9], v3, v2
	s_and_saveexec_b64 s[0:1], s[8:9]
	s_cbranch_execz .LBB174_25
; %bb.24:
	s_movk_i32 s4, 0x108
	v_mad_u32_u24 v6, v3, s4, v0
	ds_read_b64 v[6:7], v6
	v_lshl_add_u32 v10, v9, 3, v1
	s_waitcnt lgkmcnt(0)
	ds_write_b64 v10, v[6:7] offset:8
.LBB174_25:
	s_or_b64 exec, exec, s[0:1]
	v_or_b32_e32 v6, 2, v9
	v_cmp_lt_u32_e64 s[10:11], v6, v2
	s_and_saveexec_b64 s[0:1], s[10:11]
	s_cbranch_execz .LBB174_27
; %bb.26:
	s_movk_i32 s4, 0x108
	v_mad_u32_u24 v6, v6, s4, v0
	ds_read_b64 v[6:7], v6
	v_lshl_add_u32 v10, v9, 3, v1
	s_waitcnt lgkmcnt(0)
	ds_write_b64 v10, v[6:7] offset:16
.LBB174_27:
	s_or_b64 exec, exec, s[0:1]
	v_or_b32_e32 v7, 3, v9
	v_cmp_lt_u32_e64 s[12:13], v7, v2
	v_cmp_ge_u32_e32 vcc, v7, v2
                                        ; implicit-def: $vgpr6
	s_and_saveexec_b64 s[0:1], vcc
	s_xor_b64 s[0:1], exec, s[0:1]
; %bb.28:
	v_mul_u32_u24_e32 v6, 0x108, v7
                                        ; implicit-def: $vgpr1
                                        ; implicit-def: $vgpr7
; %bb.29:
	s_andn2_saveexec_b64 s[0:1], s[0:1]
	s_cbranch_execz .LBB174_31
; %bb.30:
	s_movk_i32 s4, 0x108
	v_mad_u32_u24 v6, v7, s4, v0
	ds_read_b64 v[10:11], v6
	v_lshl_add_u32 v1, v9, 3, v1
	v_mul_u32_u24_e32 v6, 0x108, v7
	s_waitcnt lgkmcnt(0)
	ds_write_b64 v1, v[10:11] offset:24
.LBB174_31:
	s_or_b64 exec, exec, s[0:1]
	s_movk_i32 s0, 0x420
	v_mad_u32_u24 v1, v8, s0, v0
	s_movk_i32 s0, 0x108
	s_waitcnt lgkmcnt(0)
	s_barrier
	v_lshlrev_b32_e32 v11, 3, v9
	ds_read_b64 v[20:21], v1
	ds_read_b128 v[12:15], v11 offset:9088
	v_mad_u32_u24 v1, v3, s0, v0
	ds_read2_b64 v[24:27], v1 offset1:33
	v_add_u32_e32 v10, v0, v6
	ds_read_b128 v[28:31], v11 offset:9104
	ds_read_b64 v[6:7], v10
	s_waitcnt lgkmcnt(3)
	v_fma_f64 v[12:13], v[20:21], v[12:13], 0
	v_mul_u32_u24_e32 v1, 33, v2
	s_waitcnt lgkmcnt(2)
	v_fmac_f64_e32 v[12:13], v[24:25], v[14:15]
	s_waitcnt lgkmcnt(1)
	v_fmac_f64_e32 v[12:13], v[26:27], v[28:29]
	v_lshlrev_b32_e32 v23, 3, v1
	v_mov_b64_e32 v[36:37], 0
	s_waitcnt lgkmcnt(0)
	v_fmac_f64_e32 v[12:13], v[6:7], v[30:31]
	v_lshl_add_u32 v24, v8, 3, v23
	v_cmp_gt_u32_e64 s[4:5], 32, v22
	s_barrier
	ds_write_b64 v24, v[12:13]
	s_waitcnt lgkmcnt(0)
	s_barrier
	s_and_saveexec_b64 s[0:1], s[4:5]
	s_cbranch_execz .LBB174_33
; %bb.32:
	ds_read2_b64 v[12:15], v23 offset1:1
	ds_read2_b64 v[26:29], v23 offset0:2 offset1:3
	ds_read2_b64 v[36:39], v23 offset0:4 offset1:5
	s_waitcnt lgkmcnt(2)
	v_add_f64 v[6:7], v[12:13], v[14:15]
	ds_read2_b64 v[12:15], v23 offset0:6 offset1:7
	s_waitcnt lgkmcnt(2)
	v_add_f64 v[6:7], v[6:7], v[26:27]
	v_add_f64 v[6:7], v[6:7], v[28:29]
	s_waitcnt lgkmcnt(1)
	v_add_f64 v[6:7], v[6:7], v[36:37]
	v_add_f64 v[6:7], v[6:7], v[38:39]
	;; [unrolled: 3-line block ×3, first 2 shown]
.LBB174_33:
	s_or_b64 exec, exec, s[0:1]
	s_lshl_b32 s38, s22, 5
	s_ashr_i32 s39, s38, 31
	v_cndmask_b32_e64 v1, 0, 1, s[36:37]
	v_lshl_add_u64 v[6:7], s[38:39], 3, v[4:5]
	s_mov_b64 s[0:1], 0x100
	v_cmp_ne_u32_e64 s[14:15], 1, v1
	s_andn2_b64 vcc, exec, s[36:37]
	s_mov_b64 s[36:37], -1
	s_barrier
	s_cbranch_vccnz .LBB174_35
; %bb.34:
	s_lshl_b32 s36, s22, 3
	s_ashr_i32 s37, s36, 31
	s_ashr_i32 s23, s22, 31
	v_lshl_add_u64 v[4:5], s[36:37], 3, v[6:7]
	s_lshl_b64 s[36:37], s[22:23], 6
	v_lshl_add_u64 v[12:13], v[4:5], 0, s[36:37]
	v_lshl_add_u64 v[14:15], v[12:13], 0, s[36:37]
	flat_load_dwordx2 v[20:21], v[6:7] offset:256
	flat_load_dwordx2 v[26:27], v[4:5] offset:256
	;; [unrolled: 1-line block ×4, first 2 shown]
	s_movk_i32 s23, 0x108
	v_mad_u32_u24 v1, v8, s23, v0
	s_mov_b64 s[36:37], 0
	s_waitcnt vmcnt(0) lgkmcnt(0)
	ds_write_b64 v1, v[20:21]
	ds_write_b64 v1, v[26:27] offset:2112
	ds_write_b64 v1, v[28:29] offset:4224
	ds_write_b64 v1, v[30:31] offset:6336
.LBB174_35:
	s_andn2_b64 vcc, exec, s[36:37]
	v_lshl_add_u64 v[4:5], v[6:7], 0, s[0:1]
	s_cbranch_vccnz .LBB174_45
; %bb.36:
	v_sub_co_u32_e32 v6, vcc, v6, v0
	s_ashr_i32 s25, s24, 31
	s_nop 0
	v_subbrev_co_u32_e32 v7, vcc, 0, v7, vcc
	v_or_b32_e32 v1, 32, v2
	v_lshl_add_u64 v[6:7], s[24:25], 3, v[6:7]
	v_lshl_add_u64 v[6:7], v[6:7], 0, -8
	v_cmp_gt_i32_e32 vcc, s24, v1
	s_sub_i32 s23, s24, 32
	v_cmp_gt_i32_e64 s[0:1], s23, v8
	v_cndmask_b32_e32 v7, v7, v5, vcc
	v_cndmask_b32_e32 v6, v6, v4, vcc
	v_mov_b64_e32 v[12:13], 0
	v_mov_b64_e32 v[14:15], 0
	s_and_saveexec_b64 s[36:37], s[0:1]
	s_cbranch_execz .LBB174_38
; %bb.37:
	flat_load_dwordx2 v[14:15], v[6:7]
.LBB174_38:
	s_or_b64 exec, exec, s[36:37]
	s_movk_i32 s0, 0x108
	v_mad_u32_u24 v20, v8, s0, v0
	s_waitcnt vmcnt(0) lgkmcnt(0)
	ds_write_b64 v20, v[14:15]
	v_add_u32_e32 v14, 8, v8
	v_mul_u32_u24_e32 v1, 0x108, v8
	v_cmp_gt_i32_e64 s[0:1], s23, v14
	s_and_saveexec_b64 s[36:37], s[0:1]
	s_cbranch_execz .LBB174_40
; %bb.39:
	s_lshl_b32 s0, s22, 3
	s_ashr_i32 s1, s0, 31
	v_lshl_add_u64 v[12:13], s[0:1], 3, v[6:7]
	flat_load_dwordx2 v[12:13], v[12:13]
.LBB174_40:
	s_or_b64 exec, exec, s[36:37]
	v_add_u32_e32 v1, v1, v0
	s_waitcnt vmcnt(0) lgkmcnt(0)
	ds_write_b64 v1, v[12:13] offset:2112
	v_add_u32_e32 v12, 16, v8
	v_cmp_gt_i32_e64 s[0:1], s23, v12
	v_mov_b64_e32 v[12:13], 0
	v_mov_b64_e32 v[14:15], 0
	s_and_saveexec_b64 s[36:37], s[0:1]
	s_cbranch_execz .LBB174_42
; %bb.41:
	s_lshl_b32 s0, s22, 4
	s_ashr_i32 s1, s0, 31
	v_lshl_add_u64 v[14:15], s[0:1], 3, v[6:7]
	flat_load_dwordx2 v[14:15], v[14:15]
.LBB174_42:
	s_or_b64 exec, exec, s[36:37]
	s_waitcnt vmcnt(0) lgkmcnt(0)
	ds_write_b64 v1, v[14:15] offset:4224
	v_add_u32_e32 v14, 24, v8
	v_cmp_gt_i32_e64 s[0:1], s23, v14
	s_and_saveexec_b64 s[36:37], s[0:1]
	s_cbranch_execz .LBB174_44
; %bb.43:
	s_mul_i32 s0, s22, 24
	s_ashr_i32 s1, s0, 31
	v_lshl_add_u64 v[12:13], s[0:1], 3, v[6:7]
	flat_load_dwordx2 v[12:13], v[12:13]
.LBB174_44:
	s_or_b64 exec, exec, s[36:37]
	s_waitcnt vmcnt(0) lgkmcnt(0)
	ds_write_b64 v1, v[12:13] offset:6336
	v_mov_b32_e32 v1, 0
	v_lshl_add_u64 v[6:7], v[6:7], 0, v[0:1]
	s_lshl_b64 s[0:1], s[24:25], 3
	v_mov_b32_e32 v1, s1
	v_subrev_co_u32_e64 v6, s[0:1], s0, v6
	s_nop 1
	v_subb_co_u32_e64 v7, s[0:1], v7, v1, s[0:1]
	s_mov_b64 s[0:1], 0x108
	s_nop 0
	v_lshl_add_u64 v[6:7], v[6:7], 0, s[0:1]
	v_cndmask_b32_e32 v5, v7, v5, vcc
	v_cndmask_b32_e32 v4, v6, v4, vcc
.LBB174_45:
	v_mul_u32_u24_e32 v1, 0x420, v8
	v_add_u32_e32 v6, 0x2380, v11
	v_mul_u32_u24_e32 v3, 0x108, v3
	v_add_u32_e32 v1, v0, v1
	s_waitcnt lgkmcnt(0)
	s_barrier
	s_and_saveexec_b64 s[0:1], s[6:7]
	s_cbranch_execnz .LBB174_54
; %bb.46:
	s_or_b64 exec, exec, s[0:1]
	v_add_u32_e32 v3, v0, v3
	s_and_saveexec_b64 s[0:1], s[8:9]
	s_cbranch_execnz .LBB174_55
.LBB174_47:
	s_or_b64 exec, exec, s[0:1]
	s_and_saveexec_b64 s[0:1], s[10:11]
	s_cbranch_execnz .LBB174_56
.LBB174_48:
	s_or_b64 exec, exec, s[0:1]
	s_and_saveexec_b64 s[0:1], s[12:13]
	s_cbranch_execz .LBB174_50
.LBB174_49:
	ds_read_b64 v[12:13], v10
	v_lshl_add_u32 v7, v9, 3, v23
	s_waitcnt lgkmcnt(0)
	ds_write_b64 v7, v[12:13] offset:24
.LBB174_50:
	s_or_b64 exec, exec, s[0:1]
	s_waitcnt lgkmcnt(0)
	s_barrier
	ds_read_b64 v[20:21], v1
	ds_read_b128 v[12:15], v6 offset:256
	ds_read2_b64 v[26:29], v3 offset1:33
	ds_read_b128 v[38:41], v6 offset:272
	ds_read_b64 v[10:11], v10
	v_cmp_eq_u32_e64 s[6:7], 1, v8
	s_waitcnt lgkmcnt(3)
	v_fma_f64 v[12:13], v[20:21], v[12:13], 0
	s_waitcnt lgkmcnt(2)
	v_fmac_f64_e32 v[12:13], v[26:27], v[14:15]
	s_waitcnt lgkmcnt(1)
	v_fmac_f64_e32 v[12:13], v[28:29], v[38:39]
	;; [unrolled: 2-line block ×3, first 2 shown]
	s_barrier
	ds_write_b64 v24, v[12:13]
	s_waitcnt lgkmcnt(0)
	s_barrier
	s_and_saveexec_b64 s[0:1], s[6:7]
	s_cbranch_execz .LBB174_52
; %bb.51:
	ds_read2_b64 v[10:13], v23 offset1:1
	ds_read2_b64 v[26:29], v23 offset0:2 offset1:3
	ds_read2_b64 v[36:39], v23 offset0:4 offset1:5
	s_waitcnt lgkmcnt(2)
	v_add_f64 v[14:15], v[10:11], v[12:13]
	ds_read2_b64 v[10:13], v23 offset0:6 offset1:7
	s_waitcnt lgkmcnt(2)
	v_add_f64 v[14:15], v[14:15], v[26:27]
	v_add_f64 v[14:15], v[14:15], v[28:29]
	s_waitcnt lgkmcnt(1)
	v_add_f64 v[14:15], v[14:15], v[36:37]
	v_add_f64 v[14:15], v[14:15], v[38:39]
	;; [unrolled: 3-line block ×3, first 2 shown]
.LBB174_52:
	s_or_b64 exec, exec, s[0:1]
	s_lshl_b64 s[0:1], s[38:39], 3
	v_mov_b32_e32 v1, s1
	v_subrev_co_u32_e64 v20, s[0:1], s0, v4
	s_and_b64 vcc, exec, s[14:15]
	s_nop 0
	v_subb_co_u32_e64 v21, s[0:1], v5, v1, s[0:1]
	s_barrier
	s_cbranch_vccnz .LBB174_57
; %bb.53:
	s_lshl_b32 s0, s22, 3
	s_ashr_i32 s1, s0, 31
	s_ashr_i32 s23, s22, 31
	v_lshl_add_u64 v[4:5], s[0:1], 3, v[20:21]
	s_lshl_b64 s[0:1], s[22:23], 6
	v_lshl_add_u64 v[10:11], v[4:5], 0, s[0:1]
	v_lshl_add_u64 v[12:13], v[10:11], 0, s[0:1]
	flat_load_dwordx2 v[14:15], v[20:21]
	flat_load_dwordx2 v[26:27], v[4:5]
	;; [unrolled: 1-line block ×4, first 2 shown]
	s_movk_i32 s0, 0x108
	v_mov_b32_e32 v1, 0x840
	v_mov_b32_e32 v3, 0x1080
	;; [unrolled: 1-line block ×3, first 2 shown]
	v_mul_u32_u24_e32 v5, 0x108, v8
	v_add_u32_e32 v4, 8, v8
	v_add_u32_e32 v7, 16, v8
	;; [unrolled: 1-line block ×3, first 2 shown]
	v_mad_u32_u24 v25, v8, s0, v0
	v_mad_u32_u24 v10, v8, s0, v1
	;; [unrolled: 1-line block ×4, first 2 shown]
	v_add_u32_e32 v1, v0, v10
	v_add_u32_e32 v3, v0, v12
	;; [unrolled: 1-line block ×3, first 2 shown]
	s_waitcnt vmcnt(0) lgkmcnt(0)
	ds_write_b64 v25, v[14:15]
	ds_write_b64 v1, v[26:27]
	;; [unrolled: 1-line block ×4, first 2 shown]
	s_cbranch_execz .LBB174_58
	s_branch .LBB174_67
.LBB174_54:
	ds_read_b64 v[12:13], v1
	v_lshl_add_u32 v7, v9, 3, v23
	s_waitcnt lgkmcnt(0)
	ds_write_b64 v7, v[12:13]
	s_or_b64 exec, exec, s[0:1]
	v_add_u32_e32 v3, v0, v3
	s_and_saveexec_b64 s[0:1], s[8:9]
	s_cbranch_execz .LBB174_47
.LBB174_55:
	ds_read_b64 v[12:13], v3
	v_lshl_add_u32 v7, v9, 3, v23
	s_waitcnt lgkmcnt(0)
	ds_write_b64 v7, v[12:13] offset:8
	s_or_b64 exec, exec, s[0:1]
	s_and_saveexec_b64 s[0:1], s[10:11]
	s_cbranch_execz .LBB174_48
.LBB174_56:
	ds_read_b64 v[12:13], v3 offset:264
	v_lshl_add_u32 v7, v9, 3, v23
	s_waitcnt lgkmcnt(0)
	ds_write_b64 v7, v[12:13] offset:16
	s_or_b64 exec, exec, s[0:1]
	s_and_saveexec_b64 s[0:1], s[12:13]
	s_cbranch_execnz .LBB174_49
	s_branch .LBB174_50
.LBB174_57:
                                        ; implicit-def: $vgpr5
                                        ; implicit-def: $vgpr4
                                        ; implicit-def: $vgpr10
                                        ; implicit-def: $vgpr7
                                        ; implicit-def: $vgpr12
                                        ; implicit-def: $vgpr11
                                        ; implicit-def: $vgpr13
.LBB174_58:
	v_or_b32_e32 v1, 32, v2
	v_lshlrev_b32_e32 v2, 3, v1
	v_sub_co_u32_e32 v2, vcc, v20, v2
	s_ashr_i32 s25, s24, 31
	s_nop 0
	v_subbrev_co_u32_e32 v3, vcc, 0, v21, vcc
	v_lshl_add_u64 v[2:3], s[24:25], 3, v[2:3]
	v_lshl_add_u64 v[2:3], v[2:3], 0, -8
	v_cmp_gt_i32_e32 vcc, s24, v1
	v_cmp_gt_i32_e64 s[0:1], s24, v8
	v_mov_b64_e32 v[12:13], 0
	v_cndmask_b32_e32 v3, v3, v21, vcc
	v_cndmask_b32_e32 v2, v2, v20, vcc
	v_mov_b64_e32 v[10:11], 0
	s_and_saveexec_b64 s[8:9], s[0:1]
	s_cbranch_execz .LBB174_60
; %bb.59:
	flat_load_dwordx2 v[10:11], v[2:3]
.LBB174_60:
	s_or_b64 exec, exec, s[8:9]
	s_movk_i32 s0, 0x108
	v_add_u32_e32 v4, 8, v8
	v_mul_u32_u24_e32 v5, 0x108, v8
	v_mad_u32_u24 v1, v8, s0, v0
	v_cmp_gt_i32_e64 s[0:1], s24, v4
	s_waitcnt vmcnt(0) lgkmcnt(0)
	ds_write_b64 v1, v[10:11]
	s_and_saveexec_b64 s[8:9], s[0:1]
	s_cbranch_execz .LBB174_62
; %bb.61:
	s_lshl_b32 s0, s22, 3
	s_ashr_i32 s1, s0, 31
	v_lshl_add_u64 v[10:11], s[0:1], 3, v[2:3]
	flat_load_dwordx2 v[12:13], v[10:11]
.LBB174_62:
	s_or_b64 exec, exec, s[8:9]
	v_add_u32_e32 v10, 0x840, v5
	v_add_u32_e32 v7, 16, v8
	;; [unrolled: 1-line block ×3, first 2 shown]
	v_cmp_gt_i32_e64 s[0:1], s24, v7
	v_mov_b64_e32 v[14:15], 0
	v_mov_b64_e32 v[26:27], 0
	s_waitcnt vmcnt(0) lgkmcnt(0)
	ds_write_b64 v1, v[12:13]
	s_and_saveexec_b64 s[8:9], s[0:1]
	s_cbranch_execz .LBB174_64
; %bb.63:
	s_lshl_b32 s0, s22, 4
	s_ashr_i32 s1, s0, 31
	v_lshl_add_u64 v[12:13], s[0:1], 3, v[2:3]
	flat_load_dwordx2 v[26:27], v[12:13]
.LBB174_64:
	s_or_b64 exec, exec, s[8:9]
	v_add_u32_e32 v12, 0x840, v10
	v_add_u32_e32 v11, 24, v8
	v_add_u32_e32 v1, v0, v12
	v_cmp_gt_i32_e64 s[0:1], s24, v11
	s_waitcnt vmcnt(0) lgkmcnt(0)
	ds_write_b64 v1, v[26:27]
	s_and_saveexec_b64 s[8:9], s[0:1]
	s_cbranch_execz .LBB174_66
; %bb.65:
	s_mul_i32 s0, s22, 24
	s_ashr_i32 s1, s0, 31
	v_lshl_add_u64 v[14:15], s[0:1], 3, v[2:3]
	flat_load_dwordx2 v[14:15], v[14:15]
.LBB174_66:
	s_or_b64 exec, exec, s[8:9]
	v_add_u32_e32 v13, 0x840, v12
	v_add_u32_e32 v1, v0, v13
	s_waitcnt vmcnt(0) lgkmcnt(0)
	ds_write_b64 v1, v[14:15]
	v_mov_b32_e32 v1, 0
	v_lshl_add_u64 v[2:3], v[2:3], 0, v[0:1]
	s_lshl_b64 s[0:1], s[24:25], 3
	v_mov_b32_e32 v1, s1
	v_subrev_co_u32_e64 v2, s[0:1], s0, v2
	s_nop 1
	v_subb_co_u32_e64 v3, s[0:1], v3, v1, s[0:1]
	s_mov_b64 s[0:1], 0x108
	s_nop 0
	v_lshl_add_u64 v[2:3], v[2:3], 0, s[0:1]
	v_cndmask_b32_e32 v21, v3, v21, vcc
	v_cndmask_b32_e32 v20, v2, v20, vcc
.LBB174_67:
	v_add_u32_e32 v1, v0, v5
	v_lshlrev_b32_e32 v2, 3, v8
	v_add_u32_e32 v3, v0, v10
	v_lshlrev_b32_e32 v4, 3, v4
	s_waitcnt lgkmcnt(0)
	s_barrier
	ds_read_b64 v[26:27], v1
	ds_read_b64 v[28:29], v2 offset:9088
	ds_read_b64 v[30:31], v3
	ds_read_b64 v[38:39], v4 offset:9088
	v_add_u32_e32 v1, v0, v12
	v_lshlrev_b32_e32 v2, 3, v7
	v_add_u32_e32 v0, v0, v13
	v_lshlrev_b32_e32 v3, 3, v11
	v_lshl_add_u32 v4, v9, 3, v23
	ds_read_b64 v[40:41], v1
	ds_read_b64 v[42:43], v2 offset:9088
	ds_read_b64 v[44:45], v0
	ds_read_b64 v[46:47], v3 offset:9088
	ds_read_b128 v[8:11], v6 offset:256
	ds_read_b128 v[0:3], v6 offset:272
	ds_read2_b64 v[12:15], v4 offset1:1
	ds_read2_b64 v[4:7], v4 offset0:2 offset1:3
	s_waitcnt lgkmcnt(10)
	v_fma_f64 v[26:27], v[26:27], v[28:29], 0
	s_waitcnt lgkmcnt(8)
	v_fmac_f64_e32 v[26:27], v[30:31], v[38:39]
	s_waitcnt lgkmcnt(6)
	v_fmac_f64_e32 v[26:27], v[40:41], v[42:43]
	;; [unrolled: 2-line block ×3, first 2 shown]
	s_waitcnt lgkmcnt(0)
	s_barrier
	ds_write_b64 v24, v[26:27]
	s_waitcnt lgkmcnt(0)
	s_barrier
	s_and_saveexec_b64 s[0:1], s[6:7]
	s_cbranch_execz .LBB174_69
; %bb.68:
	ds_read2_b64 v[26:29], v23 offset1:1
	ds_read2_b64 v[38:41], v23 offset0:2 offset1:3
	ds_read2_b64 v[42:45], v23 offset0:4 offset1:5
	s_waitcnt lgkmcnt(2)
	v_add_f64 v[26:27], v[36:37], v[26:27]
	v_add_f64 v[30:31], v[26:27], v[28:29]
	ds_read2_b64 v[26:29], v23 offset0:6 offset1:7
	s_waitcnt lgkmcnt(2)
	v_add_f64 v[30:31], v[30:31], v[38:39]
	v_add_f64 v[30:31], v[30:31], v[40:41]
	s_waitcnt lgkmcnt(1)
	v_add_f64 v[30:31], v[30:31], v[42:43]
	v_add_f64 v[30:31], v[30:31], v[44:45]
	;; [unrolled: 3-line block ×3, first 2 shown]
.LBB174_69:
	s_or_b64 exec, exec, s[0:1]
	v_fma_f64 v[8:9], v[12:13], v[8:9], 0
	v_fmac_f64_e32 v[8:9], v[14:15], v[10:11]
	v_fmac_f64_e32 v[8:9], v[4:5], v[0:1]
	;; [unrolled: 1-line block ×3, first 2 shown]
	s_barrier
	ds_write_b64 v24, v[8:9]
	s_waitcnt lgkmcnt(0)
	s_barrier
	s_and_saveexec_b64 s[0:1], s[4:5]
	s_cbranch_execz .LBB174_71
; %bb.70:
	ds_read2_b64 v[0:3], v23 offset1:1
	ds_read2_b64 v[4:7], v23 offset0:2 offset1:3
	ds_read2_b64 v[8:11], v23 offset0:4 offset1:5
	s_waitcnt lgkmcnt(2)
	v_add_f64 v[0:1], v[36:37], v[0:1]
	v_add_f64 v[12:13], v[0:1], v[2:3]
	ds_read2_b64 v[0:3], v23 offset0:6 offset1:7
	s_waitcnt lgkmcnt(2)
	v_add_f64 v[4:5], v[12:13], v[4:5]
	v_add_f64 v[4:5], v[4:5], v[6:7]
	s_waitcnt lgkmcnt(1)
	v_add_f64 v[4:5], v[4:5], v[8:9]
	v_add_f64 v[4:5], v[4:5], v[10:11]
	;; [unrolled: 3-line block ×3, first 2 shown]
.LBB174_71:
	s_or_b64 exec, exec, s[0:1]
	s_mul_hi_u32 s0, s21, s20
	s_mul_i32 s40, s40, s20
	s_add_i32 s0, s0, s40
	s_mul_i32 s4, s21, s20
	s_mul_i32 s0, s0, s33
	s_mul_hi_u32 s1, s4, s33
	s_add_i32 s1, s1, s0
	s_mul_i32 s0, s4, s33
	s_lshl_b64 s[0:1], s[0:1], 3
	s_add_u32 s4, s28, s0
	s_mul_i32 s0, s21, s2
	s_addc_u32 s5, s29, s1
	s_ashr_i32 s1, s0, 31
	s_lshl_b64 s[0:1], s[0:1], 3
	s_add_u32 s6, s4, s0
	v_cmp_le_i32_e32 vcc, s24, v34
	s_addc_u32 s7, s5, s1
	s_and_b64 vcc, s[34:35], vcc
	s_cmp_lt_i32 s2, 1
	v_lshlrev_b32_e32 v74, 3, v34
	s_barrier
	s_cbranch_scc1 .LBB174_78
; %bb.72:
	s_mul_i32 s0, s3, s26
	s_ashr_i32 s1, s0, 31
	s_lshl_b64 s[0:1], s[0:1], 3
	v_mov_b32_e32 v0, s1
	v_subrev_co_u32_e64 v38, s[0:1], s0, v16
	v_lshlrev_b64 v[2:3], 3, v[18:19]
	s_nop 0
	v_subb_co_u32_e64 v39, s[0:1], v17, v0, s[0:1]
	s_lshl_b64 s[0:1], s[30:31], 3
	s_nop 0
	v_mov_b32_e32 v1, s1
	v_subrev_co_u32_e64 v0, s[0:1], s0, v20
	s_ashr_i32 s25, s24, 31
	s_nop 0
	v_subb_co_u32_e64 v1, s[0:1], v21, v1, s[0:1]
	s_movk_i32 s0, 0xff00
	s_mov_b32 s1, -1
	v_lshl_add_u64 v[0:1], v[0:1], 0, s[0:1]
	v_sub_co_u32_e64 v0, s[0:1], v0, v2
	v_mul_lo_u32 v2, v33, s22
	v_lshl_add_u32 v2, v2, 2, v34
	v_subb_co_u32_e64 v1, s[0:1], v1, v3, s[0:1]
	v_ashrrev_i32_e32 v3, 31, v2
	v_lshl_add_u64 v[0:1], v[2:3], 3, v[0:1]
	v_sub_co_u32_e64 v2, s[0:1], v0, v74
	v_lshrrev_b32_e32 v4, 4, v22
	s_nop 0
	v_subbrev_co_u32_e64 v3, s[0:1], 0, v1, s[0:1]
	v_lshl_add_u64 v[2:3], s[24:25], 3, v[2:3]
	v_lshl_add_u64 v[2:3], v[2:3], 0, -8
	v_cndmask_b32_e32 v41, v1, v3, vcc
	v_cndmask_b32_e32 v40, v0, v2, vcc
	v_mov_b32_e32 v0, 0x2180
	s_movk_i32 s0, 0x860
	v_and_b32_e32 v1, 48, v34
	v_and_b32_e32 v5, 15, v34
	v_lshl_add_u32 v76, v33, 5, v0
	v_mad_u32_u24 v78, v33, s0, v74
	v_lshlrev_b32_e32 v0, 5, v4
	s_movk_i32 s0, 0x218
	v_lshlrev_b32_e32 v1, 3, v1
	v_mad_u32_u24 v79, v5, s0, v0
	v_mul_i32_i24_e32 v0, 0xffffffe8, v4
	v_mad_u32_u24 v80, v5, s0, v1
	v_or_b32_e32 v1, 0x78, v74
	s_ashr_i32 s23, s22, 31
	v_mov_b32_e32 v35, 0
	s_lshl_b32 s3, s3, 6
	v_add_u32_e32 v75, 0x2180, v74
	v_add_u32_e32 v77, 0x2380, v74
	v_cmp_gt_u32_e64 s[4:5], 64, v22
	v_mad_u32_u24 v81, v5, s0, v1
	s_lshl_b64 s[0:1], s[22:23], 3
	s_lshl_b64 s[8:9], s[22:23], 4
	s_lshl_b64 s[10:11], s[22:23], 9
	s_mul_hi_i32 s13, s22, 24
	s_mul_i32 s12, s22, 24
	s_lshl_b64 s[14:15], s[22:23], 7
	s_mul_hi_i32 s21, s22, 0x90
	s_mul_i32 s20, s22, 0x90
	s_mul_hi_i32 s25, s22, 0x98
	s_mul_i32 s24, s22, 0x98
	s_lshl_b64 s[26:27], s[22:23], 8
	s_mul_hi_i32 s29, s22, 0x110
	s_mul_i32 s28, s22, 0x110
	s_mul_hi_i32 s31, s22, 0x118
	s_mul_i32 s30, s22, 0x118
	;; [unrolled: 2-line block ×7, first 2 shown]
	s_mul_hi_i32 s23, s22, 0x88
	s_mulk_i32 s22, 0x88
	s_mov_b32 s44, 0
	v_add_u32_e32 v82, v79, v0
	s_branch .LBB174_74
.LBB174_73:                             ;   in Loop: Header=BB174_74 Depth=1
	s_or_b64 exec, exec, s[46:47]
	v_fmac_f64_e32 v[36:37], v[48:49], v[4:5]
	v_fmac_f64_e32 v[36:37], v[46:47], v[6:7]
	;; [unrolled: 1-line block ×15, first 2 shown]
	s_add_i32 s2, s2, -1
	s_add_i32 s44, s44, s3
	v_fmac_f64_e32 v[36:37], v[66:67], v[26:27]
	v_lshl_add_u64 v[40:41], v[40:41], 0, s[10:11]
	s_cmp_eq_u32 s2, 0
	v_add_u32_e32 v34, 64, v34
	s_barrier
	s_cbranch_scc1 .LBB174_78
.LBB174_74:                             ; =>This Inner Loop Header: Depth=1
	s_and_saveexec_b64 s[46:47], s[18:19]
	s_cbranch_execz .LBB174_76
; %bb.75:                               ;   in Loop: Header=BB174_74 Depth=1
	s_ashr_i32 s45, s44, 31
	v_lshl_add_u64 v[0:1], s[44:45], 3, v[38:39]
	flat_load_dwordx2 v[0:1], v[0:1]
	s_waitcnt vmcnt(0) lgkmcnt(0)
	ds_write_b64 v75, v[0:1]
.LBB174_76:                             ;   in Loop: Header=BB174_74 Depth=1
	s_or_b64 exec, exec, s[46:47]
	s_waitcnt lgkmcnt(0)
	s_barrier
	v_lshl_add_u64 v[0:1], v[40:41], 0, s[0:1]
	v_lshl_add_u64 v[2:3], v[40:41], 0, s[8:9]
	;; [unrolled: 1-line block ×3, first 2 shown]
	flat_load_dwordx2 v[48:49], v[40:41]
	flat_load_dwordx2 v[46:47], v[0:1]
	;; [unrolled: 1-line block ×4, first 2 shown]
	ds_read_b64 v[8:9], v77
	ds_read_b128 v[4:7], v76
	ds_read_b128 v[0:3], v76 offset:16
	v_lshl_add_u64 v[10:11], v[40:41], 0, s[14:15]
	v_lshl_add_u64 v[12:13], v[40:41], 0, s[22:23]
	;; [unrolled: 1-line block ×9, first 2 shown]
	s_waitcnt vmcnt(0) lgkmcnt(0)
	v_mul_f64 v[18:19], v[48:49], v[8:9]
	v_mul_f64 v[20:21], v[46:47], v[8:9]
	;; [unrolled: 1-line block ×4, first 2 shown]
	ds_write2_b64 v78, v[18:19], v[20:21] offset1:67
	ds_write2_b64 v78, v[22:23], v[8:9] offset0:134 offset1:201
	s_waitcnt lgkmcnt(0)
	s_barrier
	ds_read2_b64 v[24:27], v79 offset1:1
	ds_read2_b64 v[28:31], v79 offset0:2 offset1:3
	s_waitcnt lgkmcnt(0)
	s_barrier
	flat_load_dwordx2 v[56:57], v[10:11]
	flat_load_dwordx2 v[54:55], v[12:13]
	;; [unrolled: 1-line block ×4, first 2 shown]
	ds_read_b64 v[20:21], v77
	v_lshl_add_u64 v[16:17], v[40:41], 0, s[26:27]
	v_lshl_add_u64 v[18:19], v[40:41], 0, s[42:43]
	;; [unrolled: 1-line block ×3, first 2 shown]
	ds_read_b128 v[12:15], v76 offset:128
	ds_read_b128 v[8:11], v76 offset:144
	v_add_f64 v[24:25], v[24:25], 0
	v_add_f64 v[24:25], v[24:25], v[26:27]
	;; [unrolled: 1-line block ×3, first 2 shown]
	s_waitcnt vmcnt(0) lgkmcnt(0)
	v_mul_f64 v[58:59], v[56:57], v[20:21]
	v_mul_f64 v[60:61], v[54:55], v[20:21]
	v_mul_f64 v[62:63], v[52:53], v[20:21]
	v_mul_f64 v[20:21], v[50:51], v[20:21]
	ds_write2_b64 v78, v[58:59], v[60:61] offset1:67
	ds_write2_b64 v78, v[62:63], v[20:21] offset0:134 offset1:201
	s_waitcnt lgkmcnt(0)
	s_barrier
	ds_read2_b64 v[84:87], v79 offset1:1
	ds_read2_b64 v[88:91], v79 offset0:2 offset1:3
	s_waitcnt lgkmcnt(0)
	s_barrier
	flat_load_dwordx2 v[64:65], v[16:17]
	flat_load_dwordx2 v[62:63], v[18:19]
	flat_load_dwordx2 v[60:61], v[22:23]
	flat_load_dwordx2 v[58:59], v[66:67]
	ds_read_b64 v[66:67], v77
	ds_read_b128 v[20:23], v76 offset:256
	ds_read_b128 v[16:19], v76 offset:272
	s_waitcnt vmcnt(0) lgkmcnt(0)
	v_mul_f64 v[68:69], v[64:65], v[66:67]
	v_mul_f64 v[70:71], v[62:63], v[66:67]
	;; [unrolled: 1-line block ×4, first 2 shown]
	ds_write2_b64 v78, v[68:69], v[70:71] offset1:67
	ds_write2_b64 v78, v[72:73], v[66:67] offset0:134 offset1:201
	s_waitcnt lgkmcnt(0)
	s_barrier
	ds_read2_b64 v[92:95], v79 offset1:1
	ds_read2_b64 v[96:99], v79 offset0:2 offset1:3
	s_waitcnt lgkmcnt(0)
	s_barrier
	flat_load_dwordx2 v[72:73], v[100:101]
	flat_load_dwordx2 v[70:71], v[102:103]
	;; [unrolled: 1-line block ×4, first 2 shown]
	v_add_f64 v[100:101], v[24:25], v[30:31]
	v_add_f64 v[24:25], v[84:85], 0
	;; [unrolled: 1-line block ×5, first 2 shown]
	ds_read_b64 v[84:85], v77
	ds_read_b128 v[28:31], v76 offset:384
	ds_read_b128 v[24:27], v76 offset:400
	v_add_f64 v[86:87], v[92:93], 0
	v_add_f64 v[86:87], v[86:87], v[94:95]
	;; [unrolled: 1-line block ×4, first 2 shown]
	s_waitcnt vmcnt(0) lgkmcnt(0)
	v_mul_f64 v[86:87], v[72:73], v[84:85]
	v_mul_f64 v[88:89], v[70:71], v[84:85]
	;; [unrolled: 1-line block ×4, first 2 shown]
	ds_write2_b64 v78, v[86:87], v[88:89] offset1:67
	ds_write2_b64 v78, v[90:91], v[84:85] offset0:134 offset1:201
	s_waitcnt lgkmcnt(0)
	s_barrier
	ds_read2_b64 v[84:87], v79 offset1:1
	ds_read2_b64 v[88:91], v79 offset0:2 offset1:3
	s_waitcnt lgkmcnt(0)
	s_barrier
	v_add_f64 v[84:85], v[84:85], 0
	v_add_f64 v[84:85], v[84:85], v[86:87]
	;; [unrolled: 1-line block ×4, first 2 shown]
	ds_write2_b64 v82, v[100:101], v[102:103] offset1:16
	ds_write2_b64 v82, v[92:93], v[84:85] offset0:32 offset1:48
	s_waitcnt lgkmcnt(0)
	s_barrier
	s_and_saveexec_b64 s[46:47], s[4:5]
	s_cbranch_execz .LBB174_73
; %bb.77:                               ;   in Loop: Header=BB174_74 Depth=1
	ds_read2_b64 v[84:87], v80 offset1:1
	ds_read2_b64 v[88:91], v80 offset0:2 offset1:3
	ds_read2_b64 v[92:95], v80 offset0:4 offset1:5
	;; [unrolled: 1-line block ×4, first 2 shown]
	s_waitcnt lgkmcnt(4)
	v_add_f64 v[84:85], v[84:85], v[86:87]
	s_waitcnt lgkmcnt(3)
	v_add_f64 v[84:85], v[84:85], v[88:89]
	v_add_f64 v[84:85], v[84:85], v[90:91]
	s_waitcnt lgkmcnt(2)
	v_add_f64 v[84:85], v[84:85], v[92:93]
	v_add_f64 v[84:85], v[84:85], v[94:95]
	s_waitcnt lgkmcnt(1)
	v_add_f64 v[88:89], v[84:85], v[96:97]
	ds_read2_b64 v[84:87], v80 offset0:10 offset1:11
	v_add_f64 v[88:89], v[88:89], v[98:99]
	s_waitcnt lgkmcnt(1)
	v_add_f64 v[88:89], v[88:89], v[100:101]
	v_add_f64 v[92:93], v[88:89], v[102:103]
	ds_read2_b64 v[88:91], v80 offset0:12 offset1:13
	s_waitcnt lgkmcnt(1)
	v_add_f64 v[84:85], v[92:93], v[84:85]
	ds_read_b64 v[92:93], v80 offset:112
	ds_read_b64 v[94:95], v81
	v_add_f64 v[84:85], v[84:85], v[86:87]
	v_lshl_add_u64 v[86:87], v[34:35], 3, s[6:7]
	s_waitcnt lgkmcnt(2)
	v_add_f64 v[84:85], v[84:85], v[88:89]
	v_add_f64 v[84:85], v[84:85], v[90:91]
	s_waitcnt lgkmcnt(1)
	v_add_f64 v[84:85], v[84:85], v[92:93]
	s_waitcnt lgkmcnt(0)
	v_add_f64 v[84:85], v[84:85], v[94:95]
	global_store_dwordx2 v[86:87], v[84:85], off
	s_branch .LBB174_73
.LBB174_78:
	s_movk_i32 s0, 0x218
	v_mad_u32_u24 v0, v33, s0, v74
	s_nor_b64 s[0:1], s[16:17], vcc
	ds_write_b64 v0, v[36:37]
	s_waitcnt lgkmcnt(0)
	s_barrier
	s_and_saveexec_b64 s[2:3], s[0:1]
	s_cbranch_execz .LBB174_80
; %bb.79:
	ds_read2_b64 v[0:3], v74 offset1:67
	ds_read2_b64 v[4:7], v74 offset0:134 offset1:201
	v_ashrrev_i32_e32 v33, 31, v32
	s_waitcnt lgkmcnt(1)
	v_add_f64 v[0:1], v[0:1], v[2:3]
	s_waitcnt lgkmcnt(0)
	v_add_f64 v[0:1], v[0:1], v[4:5]
	v_add_f64 v[0:1], v[0:1], v[6:7]
	v_lshl_add_u64 v[2:3], v[32:33], 3, s[6:7]
	global_store_dwordx2 v[2:3], v[0:1], off
.LBB174_80:
	s_endpgm
	.section	.rodata,"a",@progbits
	.p2align	6, 0x0
	.amdhsa_kernel _ZL26rocblas_hemvn_kernel_lowerILb0ELi64ELi4ELi33ELi32ELi16EiPKdPKS1_PdEviT6_lT7_lT5_lS6_lS7_lS5_lT8_i
		.amdhsa_group_segment_fixed_size 9600
		.amdhsa_private_segment_fixed_size 0
		.amdhsa_kernarg_size 376
		.amdhsa_user_sgpr_count 2
		.amdhsa_user_sgpr_dispatch_ptr 0
		.amdhsa_user_sgpr_queue_ptr 0
		.amdhsa_user_sgpr_kernarg_segment_ptr 1
		.amdhsa_user_sgpr_dispatch_id 0
		.amdhsa_user_sgpr_kernarg_preload_length 0
		.amdhsa_user_sgpr_kernarg_preload_offset 0
		.amdhsa_user_sgpr_private_segment_size 0
		.amdhsa_uses_dynamic_stack 0
		.amdhsa_enable_private_segment 0
		.amdhsa_system_sgpr_workgroup_id_x 1
		.amdhsa_system_sgpr_workgroup_id_y 0
		.amdhsa_system_sgpr_workgroup_id_z 1
		.amdhsa_system_sgpr_workgroup_info 0
		.amdhsa_system_vgpr_workitem_id 1
		.amdhsa_next_free_vgpr 108
		.amdhsa_next_free_sgpr 48
		.amdhsa_accum_offset 108
		.amdhsa_reserve_vcc 1
		.amdhsa_float_round_mode_32 0
		.amdhsa_float_round_mode_16_64 0
		.amdhsa_float_denorm_mode_32 3
		.amdhsa_float_denorm_mode_16_64 3
		.amdhsa_dx10_clamp 1
		.amdhsa_ieee_mode 1
		.amdhsa_fp16_overflow 0
		.amdhsa_tg_split 0
		.amdhsa_exception_fp_ieee_invalid_op 0
		.amdhsa_exception_fp_denorm_src 0
		.amdhsa_exception_fp_ieee_div_zero 0
		.amdhsa_exception_fp_ieee_overflow 0
		.amdhsa_exception_fp_ieee_underflow 0
		.amdhsa_exception_fp_ieee_inexact 0
		.amdhsa_exception_int_div_zero 0
	.end_amdhsa_kernel
	.section	.text._ZL26rocblas_hemvn_kernel_lowerILb0ELi64ELi4ELi33ELi32ELi16EiPKdPKS1_PdEviT6_lT7_lT5_lS6_lS7_lS5_lT8_i,"axG",@progbits,_ZL26rocblas_hemvn_kernel_lowerILb0ELi64ELi4ELi33ELi32ELi16EiPKdPKS1_PdEviT6_lT7_lT5_lS6_lS7_lS5_lT8_i,comdat
.Lfunc_end174:
	.size	_ZL26rocblas_hemvn_kernel_lowerILb0ELi64ELi4ELi33ELi32ELi16EiPKdPKS1_PdEviT6_lT7_lT5_lS6_lS7_lS5_lT8_i, .Lfunc_end174-_ZL26rocblas_hemvn_kernel_lowerILb0ELi64ELi4ELi33ELi32ELi16EiPKdPKS1_PdEviT6_lT7_lT5_lS6_lS7_lS5_lT8_i
                                        ; -- End function
	.set _ZL26rocblas_hemvn_kernel_lowerILb0ELi64ELi4ELi33ELi32ELi16EiPKdPKS1_PdEviT6_lT7_lT5_lS6_lS7_lS5_lT8_i.num_vgpr, 108
	.set _ZL26rocblas_hemvn_kernel_lowerILb0ELi64ELi4ELi33ELi32ELi16EiPKdPKS1_PdEviT6_lT7_lT5_lS6_lS7_lS5_lT8_i.num_agpr, 0
	.set _ZL26rocblas_hemvn_kernel_lowerILb0ELi64ELi4ELi33ELi32ELi16EiPKdPKS1_PdEviT6_lT7_lT5_lS6_lS7_lS5_lT8_i.numbered_sgpr, 48
	.set _ZL26rocblas_hemvn_kernel_lowerILb0ELi64ELi4ELi33ELi32ELi16EiPKdPKS1_PdEviT6_lT7_lT5_lS6_lS7_lS5_lT8_i.num_named_barrier, 0
	.set _ZL26rocblas_hemvn_kernel_lowerILb0ELi64ELi4ELi33ELi32ELi16EiPKdPKS1_PdEviT6_lT7_lT5_lS6_lS7_lS5_lT8_i.private_seg_size, 0
	.set _ZL26rocblas_hemvn_kernel_lowerILb0ELi64ELi4ELi33ELi32ELi16EiPKdPKS1_PdEviT6_lT7_lT5_lS6_lS7_lS5_lT8_i.uses_vcc, 1
	.set _ZL26rocblas_hemvn_kernel_lowerILb0ELi64ELi4ELi33ELi32ELi16EiPKdPKS1_PdEviT6_lT7_lT5_lS6_lS7_lS5_lT8_i.uses_flat_scratch, 0
	.set _ZL26rocblas_hemvn_kernel_lowerILb0ELi64ELi4ELi33ELi32ELi16EiPKdPKS1_PdEviT6_lT7_lT5_lS6_lS7_lS5_lT8_i.has_dyn_sized_stack, 0
	.set _ZL26rocblas_hemvn_kernel_lowerILb0ELi64ELi4ELi33ELi32ELi16EiPKdPKS1_PdEviT6_lT7_lT5_lS6_lS7_lS5_lT8_i.has_recursion, 0
	.set _ZL26rocblas_hemvn_kernel_lowerILb0ELi64ELi4ELi33ELi32ELi16EiPKdPKS1_PdEviT6_lT7_lT5_lS6_lS7_lS5_lT8_i.has_indirect_call, 0
	.section	.AMDGPU.csdata,"",@progbits
; Kernel info:
; codeLenInByte = 5824
; TotalNumSgprs: 54
; NumVgprs: 108
; NumAgprs: 0
; TotalNumVgprs: 108
; ScratchSize: 0
; MemoryBound: 0
; FloatMode: 240
; IeeeMode: 1
; LDSByteSize: 9600 bytes/workgroup (compile time only)
; SGPRBlocks: 6
; VGPRBlocks: 13
; NumSGPRsForWavesPerEU: 54
; NumVGPRsForWavesPerEU: 108
; AccumOffset: 108
; Occupancy: 4
; WaveLimiterHint : 1
; COMPUTE_PGM_RSRC2:SCRATCH_EN: 0
; COMPUTE_PGM_RSRC2:USER_SGPR: 2
; COMPUTE_PGM_RSRC2:TRAP_HANDLER: 0
; COMPUTE_PGM_RSRC2:TGID_X_EN: 1
; COMPUTE_PGM_RSRC2:TGID_Y_EN: 0
; COMPUTE_PGM_RSRC2:TGID_Z_EN: 1
; COMPUTE_PGM_RSRC2:TIDIG_COMP_CNT: 1
; COMPUTE_PGM_RSRC3_GFX90A:ACCUM_OFFSET: 26
; COMPUTE_PGM_RSRC3_GFX90A:TG_SPLIT: 0
	.section	.text._ZL36rocblas_hemvn_kernel_lower_block_sumILi64EiPKdPKPddEviT1_lS5_lT2_lT0_lPT3_i,"axG",@progbits,_ZL36rocblas_hemvn_kernel_lower_block_sumILi64EiPKdPKPddEviT1_lS5_lT2_lT0_lPT3_i,comdat
	.globl	_ZL36rocblas_hemvn_kernel_lower_block_sumILi64EiPKdPKPddEviT1_lS5_lT2_lT0_lPT3_i ; -- Begin function _ZL36rocblas_hemvn_kernel_lower_block_sumILi64EiPKdPKPddEviT1_lS5_lT2_lT0_lPT3_i
	.p2align	8
	.type	_ZL36rocblas_hemvn_kernel_lower_block_sumILi64EiPKdPKPddEviT1_lS5_lT2_lT0_lPT3_i,@function
_ZL36rocblas_hemvn_kernel_lower_block_sumILi64EiPKdPKPddEviT1_lS5_lT2_lT0_lPT3_i: ; @_ZL36rocblas_hemvn_kernel_lower_block_sumILi64EiPKdPKPddEviT1_lS5_lT2_lT0_lPT3_i
; %bb.0:
	s_load_dwordx8 s[4:11], s[0:1], 0x8
	s_mov_b32 s14, s3
	s_waitcnt lgkmcnt(0)
	s_mul_i32 s3, s7, s3
	s_mul_hi_u32 s7, s6, s14
	s_add_i32 s7, s7, s3
	s_mul_i32 s6, s6, s14
	s_lshl_b64 s[6:7], s[6:7], 3
	s_add_u32 s4, s4, s6
	s_addc_u32 s5, s5, s7
	s_load_dwordx2 s[6:7], s[4:5], 0x0
	s_mul_i32 s3, s11, s14
	s_mul_hi_u32 s4, s10, s14
	s_add_i32 s5, s4, s3
	s_mul_i32 s4, s10, s14
	s_lshl_b64 s[4:5], s[4:5], 3
	s_add_u32 s4, s8, s4
	s_addc_u32 s5, s9, s5
	s_load_dwordx2 s[10:11], s[4:5], 0x0
	s_waitcnt lgkmcnt(0)
	v_cmp_eq_f64_e64 s[4:5], s[6:7], 0
	v_cmp_eq_f64_e64 s[8:9], s[10:11], 1.0
	s_and_b64 s[4:5], s[4:5], s[8:9]
	s_and_b64 vcc, exec, s[4:5]
	s_cbranch_vccnz .LBB175_19
; %bb.1:
	s_load_dwordx4 s[20:23], s[0:1], 0x28
	s_mov_b32 s15, 0
	s_lshl_b64 s[4:5], s[14:15], 3
	s_load_dword s3, s[0:1], 0x38
	s_load_dword s16, s[0:1], 0x0
	v_lshl_or_b32 v6, s2, 6, v0
	s_waitcnt lgkmcnt(0)
	s_add_u32 s4, s20, s4
	s_addc_u32 s5, s21, s5
	s_load_dwordx2 s[4:5], s[4:5], 0x0
	s_lshl_b64 s[8:9], s[22:23], 3
	v_cmp_neq_f64_e64 s[18:19], s[6:7], 0
	s_mov_b64 s[12:13], 0
	s_waitcnt lgkmcnt(0)
	s_add_u32 s8, s4, s8
	s_addc_u32 s9, s5, s9
	s_and_b64 vcc, exec, s[18:19]
	v_cmp_gt_i32_e64 s[4:5], s16, v6
	s_cbranch_vccnz .LBB175_6
; %bb.2:
	s_mov_b64 s[18:19], 0
                                        ; implicit-def: $vgpr2_vgpr3
                                        ; implicit-def: $vgpr0_vgpr1
	s_and_saveexec_b64 s[20:21], s[4:5]
	s_cbranch_execz .LBB175_7
; %bb.3:
	v_cmp_eq_f64_e64 s[4:5], s[10:11], 0
	v_mul_lo_u32 v0, s3, v6
	v_mov_b64_e32 v[2:3], 0
	v_ashrrev_i32_e32 v1, 31, v0
	s_and_b64 vcc, exec, s[4:5]
	s_cbranch_vccnz .LBB175_5
; %bb.4:
	v_lshl_add_u64 v[2:3], v[0:1], 3, s[8:9]
	flat_load_dwordx2 v[2:3], v[2:3]
	s_waitcnt vmcnt(0) lgkmcnt(0)
	v_mul_f64 v[2:3], s[10:11], v[2:3]
.LBB175_5:
	s_mov_b64 s[12:13], exec
	s_or_b64 exec, exec, s[20:21]
	s_and_b64 vcc, exec, s[18:19]
	s_cbranch_vccnz .LBB175_8
	s_branch .LBB175_17
.LBB175_6:
                                        ; implicit-def: $vgpr2_vgpr3
                                        ; implicit-def: $vgpr0_vgpr1
	s_cbranch_execnz .LBB175_8
	s_branch .LBB175_17
.LBB175_7:
	s_or_b64 exec, exec, s[20:21]
	s_and_b64 vcc, exec, s[18:19]
	s_cbranch_vccz .LBB175_17
.LBB175_8:
	v_cmp_gt_i32_e32 vcc, s16, v6
                                        ; implicit-def: $vgpr2_vgpr3
                                        ; implicit-def: $vgpr0_vgpr1
	s_and_saveexec_b64 s[4:5], vcc
	s_cbranch_execz .LBB175_16
; %bb.9:
	s_load_dword s15, s[0:1], 0x58
	v_mov_b64_e32 v[4:5], 0
	s_waitcnt lgkmcnt(0)
	s_cmp_ge_i32 s2, s15
	s_cbranch_scc1 .LBB175_12
; %bb.10:
	s_ashr_i32 s17, s16, 31
	s_mul_i32 s18, s16, s2
	s_load_dwordx2 s[0:1], s[0:1], 0x48
	v_add_u32_e32 v0, s18, v6
	s_mul_hi_u32 s18, s16, s14
	s_mul_i32 s19, s17, s14
	s_add_i32 s18, s18, s19
	s_mul_i32 s14, s16, s14
	s_mul_i32 s18, s18, s15
	s_mul_hi_u32 s19, s14, s15
	s_add_i32 s19, s19, s18
	s_mul_i32 s18, s14, s15
	s_lshl_b64 s[18:19], s[18:19], 3
	s_waitcnt lgkmcnt(0)
	s_add_u32 s0, s0, s18
	v_ashrrev_i32_e32 v1, 31, v0
	s_addc_u32 s1, s1, s19
	v_lshl_add_u64 v[0:1], v[0:1], 3, s[0:1]
	s_lshl_b64 s[0:1], s[16:17], 3
	v_mov_b64_e32 v[4:5], 0
.LBB175_11:                             ; =>This Inner Loop Header: Depth=1
	global_load_dwordx2 v[2:3], v[0:1], off
	s_add_i32 s2, s2, 1
	v_lshl_add_u64 v[0:1], v[0:1], 0, s[0:1]
	s_cmp_ge_i32 s2, s15
	s_waitcnt vmcnt(0)
	v_add_f64 v[4:5], v[4:5], v[2:3]
	s_cbranch_scc0 .LBB175_11
.LBB175_12:
	v_cmp_eq_f64_e64 s[14:15], s[10:11], 0
	v_mul_lo_u32 v0, s3, v6
	s_mov_b64 s[0:1], 0
	s_and_b64 vcc, exec, s[14:15]
	v_ashrrev_i32_e32 v1, 31, v0
	s_cbranch_vccz .LBB175_20
; %bb.13:
	v_mul_f64 v[2:3], s[6:7], v[4:5]
	s_andn2_b64 vcc, exec, s[0:1]
	s_cbranch_vccnz .LBB175_15
.LBB175_14:
	v_lshl_add_u64 v[2:3], v[0:1], 3, s[8:9]
	flat_load_dwordx2 v[2:3], v[2:3]
	s_waitcnt vmcnt(0) lgkmcnt(0)
	v_mul_f64 v[2:3], s[10:11], v[2:3]
	v_fmac_f64_e32 v[2:3], s[6:7], v[4:5]
.LBB175_15:
	s_or_b64 s[12:13], s[12:13], exec
.LBB175_16:
	s_or_b64 exec, exec, s[4:5]
.LBB175_17:
	s_and_saveexec_b64 s[0:1], s[12:13]
	s_cbranch_execz .LBB175_19
; %bb.18:
	v_lshl_add_u64 v[0:1], v[0:1], 3, s[8:9]
	flat_store_dwordx2 v[0:1], v[2:3]
.LBB175_19:
	s_endpgm
.LBB175_20:
                                        ; implicit-def: $vgpr2_vgpr3
	s_branch .LBB175_14
	.section	.rodata,"a",@progbits
	.p2align	6, 0x0
	.amdhsa_kernel _ZL36rocblas_hemvn_kernel_lower_block_sumILi64EiPKdPKPddEviT1_lS5_lT2_lT0_lPT3_i
		.amdhsa_group_segment_fixed_size 0
		.amdhsa_private_segment_fixed_size 0
		.amdhsa_kernarg_size 344
		.amdhsa_user_sgpr_count 2
		.amdhsa_user_sgpr_dispatch_ptr 0
		.amdhsa_user_sgpr_queue_ptr 0
		.amdhsa_user_sgpr_kernarg_segment_ptr 1
		.amdhsa_user_sgpr_dispatch_id 0
		.amdhsa_user_sgpr_kernarg_preload_length 0
		.amdhsa_user_sgpr_kernarg_preload_offset 0
		.amdhsa_user_sgpr_private_segment_size 0
		.amdhsa_uses_dynamic_stack 0
		.amdhsa_enable_private_segment 0
		.amdhsa_system_sgpr_workgroup_id_x 1
		.amdhsa_system_sgpr_workgroup_id_y 0
		.amdhsa_system_sgpr_workgroup_id_z 1
		.amdhsa_system_sgpr_workgroup_info 0
		.amdhsa_system_vgpr_workitem_id 0
		.amdhsa_next_free_vgpr 7
		.amdhsa_next_free_sgpr 24
		.amdhsa_accum_offset 8
		.amdhsa_reserve_vcc 1
		.amdhsa_float_round_mode_32 0
		.amdhsa_float_round_mode_16_64 0
		.amdhsa_float_denorm_mode_32 3
		.amdhsa_float_denorm_mode_16_64 3
		.amdhsa_dx10_clamp 1
		.amdhsa_ieee_mode 1
		.amdhsa_fp16_overflow 0
		.amdhsa_tg_split 0
		.amdhsa_exception_fp_ieee_invalid_op 0
		.amdhsa_exception_fp_denorm_src 0
		.amdhsa_exception_fp_ieee_div_zero 0
		.amdhsa_exception_fp_ieee_overflow 0
		.amdhsa_exception_fp_ieee_underflow 0
		.amdhsa_exception_fp_ieee_inexact 0
		.amdhsa_exception_int_div_zero 0
	.end_amdhsa_kernel
	.section	.text._ZL36rocblas_hemvn_kernel_lower_block_sumILi64EiPKdPKPddEviT1_lS5_lT2_lT0_lPT3_i,"axG",@progbits,_ZL36rocblas_hemvn_kernel_lower_block_sumILi64EiPKdPKPddEviT1_lS5_lT2_lT0_lPT3_i,comdat
.Lfunc_end175:
	.size	_ZL36rocblas_hemvn_kernel_lower_block_sumILi64EiPKdPKPddEviT1_lS5_lT2_lT0_lPT3_i, .Lfunc_end175-_ZL36rocblas_hemvn_kernel_lower_block_sumILi64EiPKdPKPddEviT1_lS5_lT2_lT0_lPT3_i
                                        ; -- End function
	.set _ZL36rocblas_hemvn_kernel_lower_block_sumILi64EiPKdPKPddEviT1_lS5_lT2_lT0_lPT3_i.num_vgpr, 7
	.set _ZL36rocblas_hemvn_kernel_lower_block_sumILi64EiPKdPKPddEviT1_lS5_lT2_lT0_lPT3_i.num_agpr, 0
	.set _ZL36rocblas_hemvn_kernel_lower_block_sumILi64EiPKdPKPddEviT1_lS5_lT2_lT0_lPT3_i.numbered_sgpr, 24
	.set _ZL36rocblas_hemvn_kernel_lower_block_sumILi64EiPKdPKPddEviT1_lS5_lT2_lT0_lPT3_i.num_named_barrier, 0
	.set _ZL36rocblas_hemvn_kernel_lower_block_sumILi64EiPKdPKPddEviT1_lS5_lT2_lT0_lPT3_i.private_seg_size, 0
	.set _ZL36rocblas_hemvn_kernel_lower_block_sumILi64EiPKdPKPddEviT1_lS5_lT2_lT0_lPT3_i.uses_vcc, 1
	.set _ZL36rocblas_hemvn_kernel_lower_block_sumILi64EiPKdPKPddEviT1_lS5_lT2_lT0_lPT3_i.uses_flat_scratch, 0
	.set _ZL36rocblas_hemvn_kernel_lower_block_sumILi64EiPKdPKPddEviT1_lS5_lT2_lT0_lPT3_i.has_dyn_sized_stack, 0
	.set _ZL36rocblas_hemvn_kernel_lower_block_sumILi64EiPKdPKPddEviT1_lS5_lT2_lT0_lPT3_i.has_recursion, 0
	.set _ZL36rocblas_hemvn_kernel_lower_block_sumILi64EiPKdPKPddEviT1_lS5_lT2_lT0_lPT3_i.has_indirect_call, 0
	.section	.AMDGPU.csdata,"",@progbits
; Kernel info:
; codeLenInByte = 620
; TotalNumSgprs: 30
; NumVgprs: 7
; NumAgprs: 0
; TotalNumVgprs: 7
; ScratchSize: 0
; MemoryBound: 0
; FloatMode: 240
; IeeeMode: 1
; LDSByteSize: 0 bytes/workgroup (compile time only)
; SGPRBlocks: 3
; VGPRBlocks: 0
; NumSGPRsForWavesPerEU: 30
; NumVGPRsForWavesPerEU: 7
; AccumOffset: 8
; Occupancy: 8
; WaveLimiterHint : 1
; COMPUTE_PGM_RSRC2:SCRATCH_EN: 0
; COMPUTE_PGM_RSRC2:USER_SGPR: 2
; COMPUTE_PGM_RSRC2:TRAP_HANDLER: 0
; COMPUTE_PGM_RSRC2:TGID_X_EN: 1
; COMPUTE_PGM_RSRC2:TGID_Y_EN: 0
; COMPUTE_PGM_RSRC2:TGID_Z_EN: 1
; COMPUTE_PGM_RSRC2:TIDIG_COMP_CNT: 0
; COMPUTE_PGM_RSRC3_GFX90A:ACCUM_OFFSET: 1
; COMPUTE_PGM_RSRC3_GFX90A:TG_SPLIT: 0
	.section	.text._ZL26rocblas_hemvn_kernel_lowerILb0ELi64ELi4ELi33ELi32ELi16EldPKPKdPdEviT6_lT7_lT5_lS6_lS7_lS5_lT8_i,"axG",@progbits,_ZL26rocblas_hemvn_kernel_lowerILb0ELi64ELi4ELi33ELi32ELi16EldPKPKdPdEviT6_lT7_lT5_lS6_lS7_lS5_lT8_i,comdat
	.globl	_ZL26rocblas_hemvn_kernel_lowerILb0ELi64ELi4ELi33ELi32ELi16EldPKPKdPdEviT6_lT7_lT5_lS6_lS7_lS5_lT8_i ; -- Begin function _ZL26rocblas_hemvn_kernel_lowerILb0ELi64ELi4ELi33ELi32ELi16EldPKPKdPdEviT6_lT7_lT5_lS6_lS7_lS5_lT8_i
	.p2align	8
	.type	_ZL26rocblas_hemvn_kernel_lowerILb0ELi64ELi4ELi33ELi32ELi16EldPKPKdPdEviT6_lT7_lT5_lS6_lS7_lS5_lT8_i,@function
_ZL26rocblas_hemvn_kernel_lowerILb0ELi64ELi4ELi33ELi32ELi16EldPKPKdPdEviT6_lT7_lT5_lS6_lS7_lS5_lT8_i: ; @_ZL26rocblas_hemvn_kernel_lowerILb0ELi64ELi4ELi33ELi32ELi16EldPKPKdPdEviT6_lT7_lT5_lS6_lS7_lS5_lT8_i
; %bb.0:
	s_load_dwordx2 s[4:5], s[0:1], 0x84
	s_add_u32 s10, s0, 0x78
	s_mov_b32 s28, s3
	s_addc_u32 s11, s1, 0
	s_waitcnt lgkmcnt(0)
	s_and_b32 s3, s5, 0xffff
	s_lshr_b32 s5, s4, 16
	s_and_b32 s4, s4, 0xffff
	s_mul_i32 s4, s5, s4
	s_mul_i32 s4, s4, s3
	s_cmpk_lg_i32 s4, 0x100
	s_cbranch_scc1 .LBB176_80
; %bb.1:
	s_load_dwordx2 s[4:5], s[0:1], 0x8
	s_load_dwordx2 s[8:9], s[0:1], 0x58
	s_waitcnt lgkmcnt(0)
	v_cmp_eq_f64_e64 s[6:7], s[4:5], 0
	v_cmp_eq_f64_e64 s[4:5], s[8:9], 1.0
	s_and_b64 s[4:5], s[6:7], s[4:5]
	s_and_b64 vcc, exec, s[4:5]
	s_cbranch_vccnz .LBB176_80
; %bb.2:
	s_mov_b64 s[4:5], 0
	s_and_b64 vcc, exec, s[6:7]
	s_cbranch_vccnz .LBB176_4
; %bb.3:
	s_mov_b64 s[4:5], -1
.LBB176_4:
	s_andn2_b64 vcc, exec, s[4:5]
	s_cbranch_vccnz .LBB176_80
; %bb.5:
	s_load_dword s3, s[0:1], 0x0
	s_load_dwordx4 s[4:7], s[0:1], 0x18
	s_load_dwordx2 s[24:25], s[0:1], 0x28
	s_load_dwordx4 s[12:15], s[0:1], 0x38
	s_mov_b32 s29, 0
	s_lshl_b64 s[8:9], s[28:29], 3
	s_waitcnt lgkmcnt(0)
	s_add_u32 s4, s4, s8
	s_addc_u32 s5, s5, s9
	s_add_u32 s12, s12, s8
	s_addc_u32 s13, s13, s9
	s_load_dwordx2 s[16:17], s[12:13], 0x0
	s_load_dword s29, s[10:11], 0x0
	s_load_dwordx2 s[22:23], s[0:1], 0x48
	s_load_dwordx2 s[8:9], s[4:5], 0x0
	s_lshl_b64 s[4:5], s[14:15], 3
	s_waitcnt lgkmcnt(0)
	s_add_u32 s4, s16, s4
	s_addc_u32 s5, s17, s5
	s_ashr_i32 s33, s3, 31
	s_lshr_b32 s11, s33, 26
	s_add_i32 s11, s3, s11
	v_and_b32_e32 v77, 0x3ff, v0
	s_lshl_b32 s34, s2, 6
	s_andn2_b32 s11, s11, 63
	s_add_i32 s10, s29, -1
	s_sub_i32 s11, s3, s11
	v_add_u32_e32 v32, s34, v77
	s_cmp_eq_u32 s2, s10
	v_ashrrev_i32_e32 v33, 31, v32
	v_bfe_u32 v76, v0, 10, 10
	s_cselect_b32 s30, s11, 0
	v_mul_lo_u32 v2, s22, v33
	v_mul_lo_u32 v3, s23, v32
	v_mad_u64_u32 v[0:1], s[10:11], s22, v32, 0
	v_add3_u32 v1, v1, v2, v3
	v_lshl_add_u64 v[16:17], v[0:1], 3, s[4:5]
	v_cmp_ne_u32_e64 s[4:5], 0, v76
	v_cmp_eq_u32_e64 s[18:19], 0, v76
	s_and_saveexec_b64 s[10:11], s[18:19]
	s_cbranch_execz .LBB176_9
; %bb.6:
	s_cmp_eq_u32 s30, 0
	s_cselect_b64 s[12:13], -1, 0
	v_cmp_gt_i32_e32 vcc, s30, v77
	s_or_b64 s[14:15], s[12:13], vcc
	v_mov_b64_e32 v[0:1], 0
	s_and_saveexec_b64 s[12:13], s[14:15]
	s_cbranch_execz .LBB176_8
; %bb.7:
	flat_load_dwordx2 v[0:1], v[16:17]
.LBB176_8:
	s_or_b64 exec, exec, s[12:13]
	v_lshlrev_b32_e32 v2, 3, v77
	s_waitcnt vmcnt(0) lgkmcnt(0)
	ds_write_b64 v2, v[0:1] offset:9088
.LBB176_9:
	s_or_b64 exec, exec, s[10:11]
	s_lshl_b64 s[6:7], s[6:7], 3
	s_add_u32 s8, s8, s6
	s_addc_u32 s9, s9, s7
	s_ashr_i32 s35, s34, 31
	v_lshl_add_u32 v22, v76, 6, v77
	s_lshl_b64 s[6:7], s[34:35], 3
	v_and_b32_e32 v0, 31, v77
	v_lshrrev_b32_e32 v8, 5, v22
	s_add_u32 s6, s8, s6
	v_mov_b32_e32 v1, 0
	s_addc_u32 s7, s9, s7
	v_mad_u64_u32 v[18:19], s[8:9], s24, v8, v[0:1]
	v_mov_b32_e32 v2, v19
	v_mad_u64_u32 v[2:3], s[8:9], s25, v8, v[2:3]
	v_mov_b32_e32 v19, v2
	v_lshl_add_u64 v[2:3], v[18:19], 3, s[6:7]
	s_mul_hi_u32 s6, s24, s34
	s_mul_i32 s7, s24, s35
	s_add_i32 s6, s6, s7
	s_mul_i32 s7, s25, s34
	s_add_i32 s37, s6, s7
	s_cmp_lg_u32 s30, 0
	s_mul_i32 s36, s24, s34
	s_cselect_b64 s[38:39], -1, 0
	s_cmp_eq_u32 s30, 0
	v_lshl_add_u64 v[2:3], s[36:37], 3, v[2:3]
	s_cselect_b64 s[20:21], -1, 0
	s_mov_b64 s[6:7], -1
	s_and_b64 vcc, exec, s[38:39]
	s_cbranch_vccnz .LBB176_11
; %bb.10:
	s_lshl_b64 s[6:7], s[24:25], 6
	v_lshl_add_u64 v[4:5], v[2:3], 0, s[6:7]
	v_lshl_add_u64 v[6:7], v[4:5], 0, s[6:7]
	;; [unrolled: 1-line block ×3, first 2 shown]
	flat_load_dwordx2 v[12:13], v[2:3]
	flat_load_dwordx2 v[14:15], v[4:5]
	;; [unrolled: 1-line block ×4, first 2 shown]
	v_mul_u32_u24_e32 v1, 0x108, v8
	v_lshl_add_u32 v1, v0, 3, v1
	s_mov_b64 s[6:7], 0
	s_waitcnt vmcnt(0) lgkmcnt(0)
	ds_write_b64 v1, v[12:13]
	ds_write_b64 v1, v[14:15] offset:2112
	ds_write_b64 v1, v[20:21] offset:4224
	;; [unrolled: 1-line block ×3, first 2 shown]
.LBB176_11:
	s_andn2_b64 vcc, exec, s[6:7]
	s_cbranch_vccnz .LBB176_21
; %bb.12:
	v_lshlrev_b32_e32 v4, 3, v0
	v_sub_co_u32_e32 v6, vcc, v2, v4
	s_ashr_i32 s31, s30, 31
	s_nop 0
	v_subbrev_co_u32_e32 v7, vcc, 0, v3, vcc
	v_lshl_add_u64 v[6:7], s[30:31], 3, v[6:7]
	v_lshl_add_u64 v[6:7], v[6:7], 0, -8
	v_cmp_gt_i32_e32 vcc, s30, v0
	v_cmp_gt_i32_e64 s[6:7], s30, v8
	v_mov_b64_e32 v[10:11], 0
	v_cndmask_b32_e32 v7, v7, v3, vcc
	v_cndmask_b32_e32 v6, v6, v2, vcc
	v_mov_b64_e32 v[12:13], 0
	s_and_saveexec_b64 s[8:9], s[6:7]
	s_cbranch_execz .LBB176_14
; %bb.13:
	flat_load_dwordx2 v[12:13], v[6:7]
.LBB176_14:
	s_or_b64 exec, exec, s[8:9]
	v_lshlrev_b32_e32 v1, 3, v0
	s_movk_i32 s6, 0x108
	v_mad_u32_u24 v9, v8, s6, v1
	s_waitcnt vmcnt(0) lgkmcnt(0)
	ds_write_b64 v9, v[12:13]
	v_add_u32_e32 v9, 8, v8
	v_mul_u32_u24_e32 v5, 0x108, v8
	v_cmp_gt_i32_e64 s[6:7], s30, v9
	s_and_saveexec_b64 s[8:9], s[6:7]
	s_cbranch_execz .LBB176_16
; %bb.15:
	s_lshl_b64 s[6:7], s[24:25], 6
	v_lshl_add_u64 v[10:11], v[6:7], 0, s[6:7]
	flat_load_dwordx2 v[10:11], v[10:11]
.LBB176_16:
	s_or_b64 exec, exec, s[8:9]
	v_add_u32_e32 v1, v5, v1
	v_add_u32_e32 v5, 16, v8
	s_waitcnt vmcnt(0) lgkmcnt(0)
	ds_write_b64 v1, v[10:11] offset:2112
	v_cmp_gt_i32_e64 s[6:7], s30, v5
	v_mov_b64_e32 v[10:11], 0
	v_mov_b64_e32 v[12:13], 0
	s_and_saveexec_b64 s[8:9], s[6:7]
	s_cbranch_execz .LBB176_18
; %bb.17:
	s_lshl_b64 s[6:7], s[24:25], 7
	v_lshl_add_u64 v[12:13], v[6:7], 0, s[6:7]
	flat_load_dwordx2 v[12:13], v[12:13]
.LBB176_18:
	s_or_b64 exec, exec, s[8:9]
	v_add_u32_e32 v5, 24, v8
	v_cmp_gt_i32_e64 s[6:7], s30, v5
	s_waitcnt vmcnt(0) lgkmcnt(0)
	ds_write_b64 v1, v[12:13] offset:4224
	s_and_saveexec_b64 s[8:9], s[6:7]
	s_cbranch_execz .LBB176_20
; %bb.19:
	v_mov_b32_e32 v5, 0xc0
	v_mad_u64_u32 v[10:11], s[6:7], s24, v5, v[6:7]
	s_mul_i32 s6, s25, 0xc0
	s_nop 0
	v_add_u32_e32 v11, s6, v11
	flat_load_dwordx2 v[10:11], v[10:11]
.LBB176_20:
	s_or_b64 exec, exec, s[8:9]
	v_mov_b32_e32 v5, 0
	v_lshl_add_u64 v[4:5], v[6:7], 0, v[4:5]
	s_lshl_b64 s[6:7], s[30:31], 3
	s_waitcnt vmcnt(0) lgkmcnt(0)
	ds_write_b64 v1, v[10:11] offset:6336
	v_mov_b32_e32 v1, s7
	v_subrev_co_u32_e64 v4, s[6:7], s6, v4
	s_nop 1
	v_subb_co_u32_e64 v5, s[6:7], v5, v1, s[6:7]
	v_lshl_add_u64 v[4:5], v[4:5], 0, 8
	v_cndmask_b32_e32 v3, v5, v3, vcc
	v_cndmask_b32_e32 v2, v4, v2, vcc
.LBB176_21:
	v_lshlrev_b32_e32 v1, 2, v8
	v_lshlrev_b32_e32 v9, 3, v0
	v_lshl_or_b32 v4, v0, 8, v9
	v_cmp_lt_u32_e64 s[8:9], v1, v0
	s_waitcnt lgkmcnt(0)
	s_barrier
	s_and_saveexec_b64 s[6:7], s[8:9]
	s_cbranch_execz .LBB176_23
; %bb.22:
	s_movk_i32 s10, 0x420
	v_mad_u32_u24 v5, v8, s10, v9
	ds_read_b64 v[6:7], v5
	v_lshl_add_u32 v5, v1, 3, v4
	s_waitcnt lgkmcnt(0)
	ds_write_b64 v5, v[6:7]
.LBB176_23:
	s_or_b64 exec, exec, s[6:7]
	v_or_b32_e32 v10, 1, v1
	v_cmp_lt_u32_e64 s[10:11], v10, v0
	s_and_saveexec_b64 s[6:7], s[10:11]
	s_cbranch_execz .LBB176_25
; %bb.24:
	s_movk_i32 s12, 0x108
	v_mad_u32_u24 v5, v10, s12, v9
	ds_read_b64 v[6:7], v5
	v_lshl_add_u32 v5, v1, 3, v4
	s_waitcnt lgkmcnt(0)
	ds_write_b64 v5, v[6:7] offset:8
.LBB176_25:
	s_or_b64 exec, exec, s[6:7]
	v_or_b32_e32 v5, 2, v1
	v_cmp_lt_u32_e64 s[12:13], v5, v0
	s_and_saveexec_b64 s[6:7], s[12:13]
	s_cbranch_execz .LBB176_27
; %bb.26:
	s_movk_i32 s14, 0x108
	v_mad_u32_u24 v5, v5, s14, v9
	ds_read_b64 v[6:7], v5
	v_lshl_add_u32 v5, v1, 3, v4
	s_waitcnt lgkmcnt(0)
	ds_write_b64 v5, v[6:7] offset:16
.LBB176_27:
	s_or_b64 exec, exec, s[6:7]
	v_or_b32_e32 v6, 3, v1
	v_cmp_lt_u32_e64 s[14:15], v6, v0
	v_cmp_ge_u32_e32 vcc, v6, v0
                                        ; implicit-def: $vgpr5
	s_and_saveexec_b64 s[6:7], vcc
	s_xor_b64 s[6:7], exec, s[6:7]
; %bb.28:
	v_mul_u32_u24_e32 v5, 0x108, v6
                                        ; implicit-def: $vgpr4
                                        ; implicit-def: $vgpr6
; %bb.29:
	s_andn2_saveexec_b64 s[6:7], s[6:7]
	s_cbranch_execz .LBB176_31
; %bb.30:
	s_movk_i32 s16, 0x108
	v_mad_u32_u24 v5, v6, s16, v9
	ds_read_b64 v[12:13], v5
	v_lshl_add_u32 v4, v1, 3, v4
	v_mul_u32_u24_e32 v5, 0x108, v6
	s_waitcnt lgkmcnt(0)
	ds_write_b64 v4, v[12:13] offset:24
.LBB176_31:
	s_or_b64 exec, exec, s[6:7]
	s_movk_i32 s6, 0x420
	v_mad_u32_u24 v4, v8, s6, v9
	s_movk_i32 s6, 0x108
	s_waitcnt lgkmcnt(0)
	s_barrier
	v_lshlrev_b32_e32 v12, 3, v1
	ds_read_b64 v[14:15], v4
	ds_read_b128 v[24:27], v12 offset:9088
	v_mad_u32_u24 v4, v10, s6, v9
	ds_read2_b64 v[28:31], v4 offset1:33
	v_add_u32_e32 v11, v9, v5
	ds_read_b128 v[4:7], v12 offset:9104
	ds_read_b64 v[20:21], v11
	s_waitcnt lgkmcnt(3)
	v_fma_f64 v[14:15], v[14:15], v[24:25], 0
	v_mov_b64_e32 v[34:35], 0
	s_waitcnt lgkmcnt(2)
	v_fmac_f64_e32 v[14:15], v[28:29], v[26:27]
	s_waitcnt lgkmcnt(1)
	v_fmac_f64_e32 v[14:15], v[30:31], v[4:5]
	v_mul_u32_u24_e32 v4, 33, v0
	v_lshlrev_b32_e32 v23, 3, v4
	s_waitcnt lgkmcnt(0)
	v_fmac_f64_e32 v[14:15], v[20:21], v[6:7]
	v_lshl_add_u32 v24, v8, 3, v23
	v_cmp_gt_u32_e64 s[6:7], 32, v22
	s_barrier
	ds_write_b64 v24, v[14:15]
	s_waitcnt lgkmcnt(0)
	s_barrier
	s_and_saveexec_b64 s[16:17], s[6:7]
	s_cbranch_execz .LBB176_33
; %bb.32:
	ds_read2_b64 v[4:7], v23 offset1:1
	ds_read2_b64 v[26:29], v23 offset0:2 offset1:3
	ds_read2_b64 v[34:37], v23 offset0:4 offset1:5
	s_waitcnt lgkmcnt(2)
	v_add_f64 v[14:15], v[4:5], v[6:7]
	ds_read2_b64 v[4:7], v23 offset0:6 offset1:7
	s_waitcnt lgkmcnt(2)
	v_add_f64 v[14:15], v[14:15], v[26:27]
	v_add_f64 v[14:15], v[14:15], v[28:29]
	s_waitcnt lgkmcnt(1)
	v_add_f64 v[14:15], v[14:15], v[34:35]
	v_add_f64 v[14:15], v[14:15], v[36:37]
	;; [unrolled: 3-line block ×3, first 2 shown]
.LBB176_33:
	s_or_b64 exec, exec, s[16:17]
	s_lshl_b64 s[26:27], s[24:25], 8
	v_lshl_add_u64 v[6:7], v[2:3], 0, s[26:27]
	v_cndmask_b32_e64 v2, 0, 1, s[20:21]
	s_mov_b64 s[40:41], 0x100
	v_cmp_ne_u32_e64 s[16:17], 1, v2
	s_andn2_b64 vcc, exec, s[20:21]
	s_mov_b64 s[20:21], -1
	s_barrier
	s_cbranch_vccnz .LBB176_35
; %bb.34:
	s_lshl_b64 s[20:21], s[24:25], 6
	v_lshl_add_u64 v[2:3], v[6:7], 0, s[20:21]
	v_lshl_add_u64 v[4:5], v[2:3], 0, s[20:21]
	;; [unrolled: 1-line block ×3, first 2 shown]
	flat_load_dwordx2 v[20:21], v[6:7] offset:256
	flat_load_dwordx2 v[26:27], v[2:3] offset:256
	;; [unrolled: 1-line block ×4, first 2 shown]
	s_movk_i32 s20, 0x108
	v_mad_u32_u24 v2, v8, s20, v9
	s_mov_b64 s[20:21], 0
	s_waitcnt vmcnt(0) lgkmcnt(0)
	ds_write_b64 v2, v[20:21]
	ds_write_b64 v2, v[26:27] offset:2112
	ds_write_b64 v2, v[28:29] offset:4224
	;; [unrolled: 1-line block ×3, first 2 shown]
.LBB176_35:
	s_andn2_b64 vcc, exec, s[20:21]
	v_lshl_add_u64 v[2:3], v[6:7], 0, s[40:41]
	s_cbranch_vccnz .LBB176_45
; %bb.36:
	v_lshlrev_b32_e32 v4, 3, v0
	v_sub_co_u32_e32 v6, vcc, v6, v4
	s_ashr_i32 s31, s30, 31
	s_nop 0
	v_subbrev_co_u32_e32 v7, vcc, 0, v7, vcc
	v_or_b32_e32 v5, 32, v0
	v_lshl_add_u64 v[6:7], s[30:31], 3, v[6:7]
	v_lshl_add_u64 v[6:7], v[6:7], 0, -8
	v_cmp_gt_i32_e32 vcc, s30, v5
	s_sub_i32 s42, s30, 32
	v_cmp_gt_i32_e64 s[20:21], s42, v8
	v_cndmask_b32_e32 v7, v7, v3, vcc
	v_cndmask_b32_e32 v6, v6, v2, vcc
	v_mov_b64_e32 v[14:15], 0
	v_mov_b64_e32 v[20:21], 0
	s_and_saveexec_b64 s[40:41], s[20:21]
	s_cbranch_execz .LBB176_38
; %bb.37:
	flat_load_dwordx2 v[20:21], v[6:7]
.LBB176_38:
	s_or_b64 exec, exec, s[40:41]
	s_movk_i32 s20, 0x108
	v_mad_u32_u24 v13, v8, s20, v9
	s_waitcnt vmcnt(0) lgkmcnt(0)
	ds_write_b64 v13, v[20:21]
	v_add_u32_e32 v13, 8, v8
	v_mul_u32_u24_e32 v5, 0x108, v8
	v_cmp_gt_i32_e64 s[20:21], s42, v13
	s_and_saveexec_b64 s[40:41], s[20:21]
	s_cbranch_execz .LBB176_40
; %bb.39:
	s_lshl_b64 s[20:21], s[24:25], 6
	v_lshl_add_u64 v[14:15], v[6:7], 0, s[20:21]
	flat_load_dwordx2 v[14:15], v[14:15]
.LBB176_40:
	s_or_b64 exec, exec, s[40:41]
	v_add_u32_e32 v5, v5, v9
	v_add_u32_e32 v13, 16, v8
	s_waitcnt vmcnt(0) lgkmcnt(0)
	ds_write_b64 v5, v[14:15] offset:2112
	v_cmp_gt_i32_e64 s[20:21], s42, v13
	v_mov_b64_e32 v[14:15], 0
	v_mov_b64_e32 v[20:21], 0
	s_and_saveexec_b64 s[40:41], s[20:21]
	s_cbranch_execz .LBB176_42
; %bb.41:
	s_lshl_b64 s[20:21], s[24:25], 7
	v_lshl_add_u64 v[20:21], v[6:7], 0, s[20:21]
	flat_load_dwordx2 v[20:21], v[20:21]
.LBB176_42:
	s_or_b64 exec, exec, s[40:41]
	v_add_u32_e32 v13, 24, v8
	v_cmp_gt_i32_e64 s[20:21], s42, v13
	s_waitcnt vmcnt(0) lgkmcnt(0)
	ds_write_b64 v5, v[20:21] offset:4224
	s_and_saveexec_b64 s[40:41], s[20:21]
	s_cbranch_execz .LBB176_44
; %bb.43:
	v_mov_b32_e32 v13, 0xc0
	v_mad_u64_u32 v[14:15], s[20:21], s24, v13, v[6:7]
	s_mul_i32 s20, s25, 0xc0
	s_nop 0
	v_add_u32_e32 v15, s20, v15
	flat_load_dwordx2 v[14:15], v[14:15]
.LBB176_44:
	s_or_b64 exec, exec, s[40:41]
	s_waitcnt vmcnt(0) lgkmcnt(0)
	ds_write_b64 v5, v[14:15] offset:6336
	v_mov_b32_e32 v5, 0
	v_lshl_add_u64 v[4:5], v[6:7], 0, v[4:5]
	s_lshl_b64 s[20:21], s[30:31], 3
	v_mov_b32_e32 v6, s21
	v_subrev_co_u32_e64 v4, s[20:21], s20, v4
	s_nop 1
	v_subb_co_u32_e64 v5, s[20:21], v5, v6, s[20:21]
	s_mov_b64 s[20:21], 0x108
	s_nop 0
	v_lshl_add_u64 v[4:5], v[4:5], 0, s[20:21]
	v_cndmask_b32_e32 v3, v5, v3, vcc
	v_cndmask_b32_e32 v2, v4, v2, vcc
.LBB176_45:
	v_mul_u32_u24_e32 v5, 0x420, v8
	v_add_u32_e32 v4, 0x2380, v12
	v_mul_u32_u24_e32 v6, 0x108, v10
	s_lshl_b64 s[20:21], s[24:25], 5
	v_add_u32_e32 v5, v9, v5
	s_waitcnt lgkmcnt(0)
	s_barrier
	s_and_saveexec_b64 s[40:41], s[8:9]
	s_cbranch_execnz .LBB176_54
; %bb.46:
	s_or_b64 exec, exec, s[40:41]
	v_add_u32_e32 v6, v9, v6
	s_and_saveexec_b64 s[8:9], s[10:11]
	s_cbranch_execnz .LBB176_55
.LBB176_47:
	s_or_b64 exec, exec, s[8:9]
	s_and_saveexec_b64 s[8:9], s[12:13]
	s_cbranch_execnz .LBB176_56
.LBB176_48:
	s_or_b64 exec, exec, s[8:9]
	s_and_saveexec_b64 s[8:9], s[14:15]
	s_cbranch_execz .LBB176_50
.LBB176_49:
	ds_read_b64 v[12:13], v11
	v_lshl_add_u32 v7, v1, 3, v23
	s_waitcnt lgkmcnt(0)
	ds_write_b64 v7, v[12:13] offset:24
.LBB176_50:
	s_or_b64 exec, exec, s[8:9]
	s_waitcnt lgkmcnt(0)
	s_barrier
	ds_read_b64 v[20:21], v5
	ds_read_b128 v[12:15], v4 offset:256
	ds_read2_b64 v[26:29], v6 offset1:33
	ds_read_b128 v[36:39], v4 offset:272
	ds_read_b64 v[6:7], v11
	v_cmp_eq_u32_e64 s[8:9], 1, v8
	s_waitcnt lgkmcnt(3)
	v_fma_f64 v[10:11], v[20:21], v[12:13], 0
	s_waitcnt lgkmcnt(2)
	v_fmac_f64_e32 v[10:11], v[26:27], v[14:15]
	s_waitcnt lgkmcnt(1)
	v_fmac_f64_e32 v[10:11], v[28:29], v[36:37]
	;; [unrolled: 2-line block ×3, first 2 shown]
	s_barrier
	ds_write_b64 v24, v[10:11]
	s_waitcnt lgkmcnt(0)
	s_barrier
	s_and_saveexec_b64 s[10:11], s[8:9]
	s_cbranch_execz .LBB176_52
; %bb.51:
	ds_read2_b64 v[10:13], v23 offset1:1
	ds_read2_b64 v[26:29], v23 offset0:2 offset1:3
	ds_read2_b64 v[34:37], v23 offset0:4 offset1:5
	s_waitcnt lgkmcnt(2)
	v_add_f64 v[6:7], v[10:11], v[12:13]
	ds_read2_b64 v[10:13], v23 offset0:6 offset1:7
	s_waitcnt lgkmcnt(2)
	v_add_f64 v[6:7], v[6:7], v[26:27]
	v_add_f64 v[6:7], v[6:7], v[28:29]
	s_waitcnt lgkmcnt(1)
	v_add_f64 v[6:7], v[6:7], v[34:35]
	v_add_f64 v[6:7], v[6:7], v[36:37]
	;; [unrolled: 3-line block ×3, first 2 shown]
.LBB176_52:
	s_or_b64 exec, exec, s[10:11]
	s_lshl_b64 s[10:11], s[20:21], 3
	v_mov_b32_e32 v5, s11
	v_subrev_co_u32_e64 v20, s[10:11], s10, v2
	s_and_b64 vcc, exec, s[16:17]
	s_nop 0
	v_subb_co_u32_e64 v21, s[10:11], v3, v5, s[10:11]
	s_barrier
	s_cbranch_vccnz .LBB176_57
; %bb.53:
	s_lshl_b64 s[10:11], s[24:25], 6
	v_lshl_add_u64 v[2:3], v[20:21], 0, s[10:11]
	v_lshl_add_u64 v[6:7], v[2:3], 0, s[10:11]
	;; [unrolled: 1-line block ×3, first 2 shown]
	flat_load_dwordx2 v[14:15], v[20:21]
	flat_load_dwordx2 v[26:27], v[2:3]
	;; [unrolled: 1-line block ×4, first 2 shown]
	s_movk_i32 s10, 0x108
	v_mov_b32_e32 v2, 0x840
	v_mov_b32_e32 v3, 0x1080
	;; [unrolled: 1-line block ×3, first 2 shown]
	v_mul_u32_u24_e32 v6, 0x108, v8
	v_add_u32_e32 v5, 8, v8
	v_add_u32_e32 v7, 16, v8
	v_add_u32_e32 v11, 24, v8
	v_mad_u32_u24 v25, v8, s10, v9
	v_mad_u32_u24 v10, v8, s10, v2
	;; [unrolled: 1-line block ×4, first 2 shown]
	v_add_u32_e32 v2, v9, v10
	v_add_u32_e32 v3, v9, v12
	;; [unrolled: 1-line block ×3, first 2 shown]
	s_waitcnt vmcnt(0) lgkmcnt(0)
	ds_write_b64 v25, v[14:15]
	ds_write_b64 v2, v[26:27]
	;; [unrolled: 1-line block ×4, first 2 shown]
	s_cbranch_execz .LBB176_58
	s_branch .LBB176_67
.LBB176_54:
	ds_read_b64 v[12:13], v5
	v_lshl_add_u32 v7, v1, 3, v23
	s_waitcnt lgkmcnt(0)
	ds_write_b64 v7, v[12:13]
	s_or_b64 exec, exec, s[40:41]
	v_add_u32_e32 v6, v9, v6
	s_and_saveexec_b64 s[8:9], s[10:11]
	s_cbranch_execz .LBB176_47
.LBB176_55:
	ds_read_b64 v[12:13], v6
	v_lshl_add_u32 v7, v1, 3, v23
	s_waitcnt lgkmcnt(0)
	ds_write_b64 v7, v[12:13] offset:8
	s_or_b64 exec, exec, s[8:9]
	s_and_saveexec_b64 s[8:9], s[12:13]
	s_cbranch_execz .LBB176_48
.LBB176_56:
	ds_read_b64 v[12:13], v6 offset:264
	v_lshl_add_u32 v7, v1, 3, v23
	s_waitcnt lgkmcnt(0)
	ds_write_b64 v7, v[12:13] offset:16
	s_or_b64 exec, exec, s[8:9]
	s_and_saveexec_b64 s[8:9], s[14:15]
	s_cbranch_execnz .LBB176_49
	s_branch .LBB176_50
.LBB176_57:
                                        ; implicit-def: $vgpr6
                                        ; implicit-def: $vgpr5
                                        ; implicit-def: $vgpr10
                                        ; implicit-def: $vgpr7
                                        ; implicit-def: $vgpr12
                                        ; implicit-def: $vgpr11
                                        ; implicit-def: $vgpr13
.LBB176_58:
	v_or_b32_e32 v5, 32, v0
	v_lshlrev_b32_e32 v2, 3, v5
	v_sub_co_u32_e32 v2, vcc, v20, v2
	s_ashr_i32 s31, s30, 31
	s_nop 0
	v_subbrev_co_u32_e32 v3, vcc, 0, v21, vcc
	v_lshl_add_u64 v[2:3], s[30:31], 3, v[2:3]
	v_lshl_add_u64 v[2:3], v[2:3], 0, -8
	v_cmp_gt_i32_e32 vcc, s30, v5
	v_cmp_gt_i32_e64 s[10:11], s30, v8
	v_mov_b64_e32 v[12:13], 0
	v_cndmask_b32_e32 v3, v3, v21, vcc
	v_cndmask_b32_e32 v2, v2, v20, vcc
	v_mov_b64_e32 v[10:11], 0
	s_and_saveexec_b64 s[12:13], s[10:11]
	s_cbranch_execz .LBB176_60
; %bb.59:
	flat_load_dwordx2 v[10:11], v[2:3]
.LBB176_60:
	s_or_b64 exec, exec, s[12:13]
	s_movk_i32 s10, 0x108
	v_mad_u32_u24 v5, v8, s10, v9
	s_waitcnt vmcnt(0) lgkmcnt(0)
	ds_write_b64 v5, v[10:11]
	v_add_u32_e32 v5, 8, v8
	v_mul_u32_u24_e32 v6, 0x108, v8
	v_cmp_gt_i32_e64 s[10:11], s30, v5
	s_and_saveexec_b64 s[12:13], s[10:11]
	s_cbranch_execz .LBB176_62
; %bb.61:
	s_lshl_b64 s[10:11], s[24:25], 6
	v_lshl_add_u64 v[10:11], v[2:3], 0, s[10:11]
	flat_load_dwordx2 v[12:13], v[10:11]
.LBB176_62:
	s_or_b64 exec, exec, s[12:13]
	v_add_u32_e32 v10, 0x840, v6
	v_add_u32_e32 v7, v9, v10
	s_waitcnt vmcnt(0) lgkmcnt(0)
	ds_write_b64 v7, v[12:13]
	v_add_u32_e32 v7, 16, v8
	v_cmp_gt_i32_e64 s[10:11], s30, v7
	v_mov_b64_e32 v[14:15], 0
	v_mov_b64_e32 v[26:27], 0
	s_and_saveexec_b64 s[12:13], s[10:11]
	s_cbranch_execz .LBB176_64
; %bb.63:
	s_lshl_b64 s[10:11], s[24:25], 7
	v_lshl_add_u64 v[12:13], v[2:3], 0, s[10:11]
	flat_load_dwordx2 v[26:27], v[12:13]
.LBB176_64:
	s_or_b64 exec, exec, s[12:13]
	v_add_u32_e32 v12, 0x840, v10
	v_add_u32_e32 v11, v9, v12
	s_waitcnt vmcnt(0) lgkmcnt(0)
	ds_write_b64 v11, v[26:27]
	v_add_u32_e32 v11, 24, v8
	v_cmp_gt_i32_e64 s[10:11], s30, v11
	s_and_saveexec_b64 s[12:13], s[10:11]
	s_cbranch_execz .LBB176_66
; %bb.65:
	v_mov_b32_e32 v13, 0xc0
	v_mad_u64_u32 v[14:15], s[10:11], s24, v13, v[2:3]
	s_mul_i32 s10, s25, 0xc0
	s_nop 0
	v_add_u32_e32 v15, s10, v15
	flat_load_dwordx2 v[14:15], v[14:15]
.LBB176_66:
	s_or_b64 exec, exec, s[12:13]
	v_add_u32_e32 v13, 0x840, v12
	v_add_u32_e32 v25, v9, v13
	s_waitcnt vmcnt(0) lgkmcnt(0)
	ds_write_b64 v25, v[14:15]
	v_lshlrev_b32_e32 v14, 3, v0
	v_mov_b32_e32 v15, 0
	v_lshl_add_u64 v[2:3], v[2:3], 0, v[14:15]
	s_lshl_b64 s[10:11], s[30:31], 3
	v_mov_b32_e32 v0, s11
	v_subrev_co_u32_e64 v2, s[10:11], s10, v2
	s_nop 1
	v_subb_co_u32_e64 v3, s[10:11], v3, v0, s[10:11]
	s_mov_b64 s[10:11], 0x108
	s_nop 0
	v_lshl_add_u64 v[2:3], v[2:3], 0, s[10:11]
	v_cndmask_b32_e32 v21, v3, v21, vcc
	v_cndmask_b32_e32 v20, v2, v20, vcc
.LBB176_67:
	v_add_u32_e32 v0, v9, v6
	v_lshlrev_b32_e32 v5, 3, v5
	s_waitcnt lgkmcnt(0)
	s_barrier
	v_lshlrev_b32_e32 v2, 3, v8
	v_add_u32_e32 v3, v9, v10
	ds_read_b64 v[26:27], v0
	ds_read_b64 v[28:29], v2 offset:9088
	ds_read_b64 v[30:31], v3
	ds_read_b64 v[36:37], v5 offset:9088
	v_add_u32_e32 v0, v9, v12
	v_lshlrev_b32_e32 v5, 3, v11
	v_lshlrev_b32_e32 v2, 3, v7
	v_add_u32_e32 v3, v9, v13
	ds_read_b64 v[38:39], v0
	ds_read_b64 v[40:41], v2 offset:9088
	ds_read_b64 v[42:43], v3
	ds_read_b64 v[44:45], v5 offset:9088
	v_lshl_add_u32 v5, v1, 3, v23
	ds_read_b128 v[8:11], v4 offset:256
	ds_read_b128 v[0:3], v4 offset:272
	ds_read2_b64 v[12:15], v5 offset1:1
	ds_read2_b64 v[4:7], v5 offset0:2 offset1:3
	s_waitcnt lgkmcnt(10)
	v_fma_f64 v[26:27], v[26:27], v[28:29], 0
	s_waitcnt lgkmcnt(8)
	v_fmac_f64_e32 v[26:27], v[30:31], v[36:37]
	s_waitcnt lgkmcnt(6)
	v_fmac_f64_e32 v[26:27], v[38:39], v[40:41]
	;; [unrolled: 2-line block ×3, first 2 shown]
	s_waitcnt lgkmcnt(0)
	s_barrier
	ds_write_b64 v24, v[26:27]
	s_waitcnt lgkmcnt(0)
	s_barrier
	s_and_saveexec_b64 s[10:11], s[8:9]
	s_cbranch_execz .LBB176_69
; %bb.68:
	ds_read2_b64 v[26:29], v23 offset1:1
	ds_read2_b64 v[36:39], v23 offset0:2 offset1:3
	ds_read2_b64 v[40:43], v23 offset0:4 offset1:5
	s_waitcnt lgkmcnt(2)
	v_add_f64 v[26:27], v[34:35], v[26:27]
	v_add_f64 v[30:31], v[26:27], v[28:29]
	ds_read2_b64 v[26:29], v23 offset0:6 offset1:7
	s_waitcnt lgkmcnt(2)
	v_add_f64 v[30:31], v[30:31], v[36:37]
	v_add_f64 v[30:31], v[30:31], v[38:39]
	s_waitcnt lgkmcnt(1)
	v_add_f64 v[30:31], v[30:31], v[40:41]
	v_add_f64 v[30:31], v[30:31], v[42:43]
	s_waitcnt lgkmcnt(0)
	v_add_f64 v[26:27], v[30:31], v[26:27]
	v_add_f64 v[34:35], v[26:27], v[28:29]
.LBB176_69:
	s_or_b64 exec, exec, s[10:11]
	v_fma_f64 v[8:9], v[12:13], v[8:9], 0
	v_fmac_f64_e32 v[8:9], v[14:15], v[10:11]
	v_fmac_f64_e32 v[8:9], v[4:5], v[0:1]
	;; [unrolled: 1-line block ×3, first 2 shown]
	s_barrier
	ds_write_b64 v24, v[8:9]
	s_waitcnt lgkmcnt(0)
	s_barrier
	s_and_saveexec_b64 s[8:9], s[6:7]
	s_cbranch_execz .LBB176_71
; %bb.70:
	ds_read2_b64 v[0:3], v23 offset1:1
	ds_read2_b64 v[4:7], v23 offset0:2 offset1:3
	ds_read2_b64 v[8:11], v23 offset0:4 offset1:5
	s_waitcnt lgkmcnt(2)
	v_add_f64 v[0:1], v[34:35], v[0:1]
	v_add_f64 v[12:13], v[0:1], v[2:3]
	ds_read2_b64 v[0:3], v23 offset0:6 offset1:7
	s_waitcnt lgkmcnt(2)
	v_add_f64 v[4:5], v[12:13], v[4:5]
	v_add_f64 v[4:5], v[4:5], v[6:7]
	s_waitcnt lgkmcnt(1)
	v_add_f64 v[4:5], v[4:5], v[8:9]
	v_add_f64 v[4:5], v[4:5], v[10:11]
	;; [unrolled: 3-line block ×3, first 2 shown]
.LBB176_71:
	s_or_b64 exec, exec, s[8:9]
	s_load_dwordx2 s[0:1], s[0:1], 0x68
	s_mul_hi_u32 s6, s3, s28
	s_mul_i32 s33, s33, s28
	s_add_i32 s6, s6, s33
	s_mul_i32 s8, s3, s28
	s_mul_i32 s6, s6, s29
	s_mul_hi_u32 s7, s8, s29
	s_add_i32 s7, s7, s6
	s_mul_i32 s6, s8, s29
	s_lshl_b64 s[6:7], s[6:7], 3
	s_waitcnt lgkmcnt(0)
	s_add_u32 s6, s0, s6
	s_mul_i32 s0, s3, s2
	s_addc_u32 s7, s1, s7
	s_ashr_i32 s1, s0, 31
	s_lshl_b64 s[0:1], s[0:1], 3
	s_add_u32 s6, s6, s0
	v_cmp_le_i32_e32 vcc, s30, v77
	s_addc_u32 s7, s7, s1
	s_and_b64 vcc, s[38:39], vcc
	s_cmp_lt_i32 s2, 1
	v_lshlrev_b32_e32 v36, 3, v77
	s_barrier
	s_cbranch_scc1 .LBB176_78
; %bb.72:
	s_mul_i32 s0, s22, s35
	s_mul_hi_u32 s1, s22, s34
	s_add_i32 s0, s1, s0
	s_mul_i32 s1, s23, s34
	s_add_i32 s1, s0, s1
	s_mul_i32 s0, s22, s34
	s_lshl_b64 s[0:1], s[0:1], 3
	v_mov_b32_e32 v0, s1
	v_subrev_co_u32_e64 v38, s[0:1], s0, v16
	v_lshlrev_b64 v[2:3], 3, v[18:19]
	s_nop 0
	v_subb_co_u32_e64 v39, s[0:1], v17, v0, s[0:1]
	s_lshl_b64 s[0:1], s[36:37], 3
	s_nop 0
	v_mov_b32_e32 v1, s1
	v_subrev_co_u32_e64 v0, s[0:1], s0, v20
	v_lshlrev_b32_e32 v5, 2, v76
	s_nop 0
	v_subb_co_u32_e64 v1, s[0:1], v21, v1, s[0:1]
	s_movk_i32 s0, 0xff00
	s_mov_b32 s1, -1
	v_lshl_add_u64 v[0:1], v[0:1], 0, s[0:1]
	v_sub_co_u32_e64 v0, s[0:1], v0, v2
	s_ashr_i32 s31, s30, 31
	s_nop 0
	v_subb_co_u32_e64 v1, s[0:1], v1, v3, s[0:1]
	v_mad_u64_u32 v[2:3], s[0:1], s24, v5, 0
	v_mov_b32_e32 v4, v3
	v_mad_u64_u32 v[4:5], s[0:1], s25, v5, v[4:5]
	v_mov_b32_e32 v3, v4
	v_lshl_add_u64 v[0:1], v[2:3], 3, v[0:1]
	v_mov_b32_e32 v41, 0
	v_lshl_add_u64 v[2:3], s[30:31], 3, v[0:1]
	v_mov_b32_e32 v37, v41
	v_lshl_add_u64 v[2:3], v[2:3], 0, -8
	v_lshl_add_u64 v[0:1], v[0:1], 0, v[36:37]
	v_cndmask_b32_e32 v43, v1, v3, vcc
	v_and_b32_e32 v1, 48, v77
	v_lshrrev_b32_e32 v6, 4, v22
	v_and_b32_e32 v7, 15, v77
	v_cndmask_b32_e32 v42, v0, v2, vcc
	v_mov_b32_e32 v0, 0x2180
	s_movk_i32 s3, 0x218
	v_lshlrev_b32_e32 v1, 3, v1
	v_lshl_add_u32 v78, v76, 5, v0
	v_lshlrev_b32_e32 v0, 5, v6
	v_mad_u32_u24 v82, v7, s3, v1
	v_or_b32_e32 v1, 0x78, v36
	v_mad_u32_u24 v81, v7, s3, v0
	v_mad_u32_u24 v83, v7, s3, v1
	s_mul_i32 s3, s25, 24
	s_mul_hi_u32 s14, s24, 24
	s_add_i32 s15, s14, s3
	s_mul_i32 s3, s25, 0x90
	s_mul_hi_u32 s20, s24, 0x90
	s_add_i32 s21, s20, s3
	;; [unrolled: 3-line block ×9, first 2 shown]
	s_mul_i32 s3, s25, 0x108
	s_mul_hi_u32 s33, s24, 0x108
	s_movk_i32 s0, 0x860
	v_mul_i32_i24_e32 v0, 0xffffffe8, v6
	s_lshl_b64 s[8:9], s[24:25], 3
	s_lshl_b64 s[10:11], s[24:25], 4
	;; [unrolled: 1-line block ×4, first 2 shown]
	s_add_i32 s45, s33, s3
	s_mul_i32 s3, s25, 0x88
	s_mul_hi_u32 s25, s24, 0x88
	v_add_u32_e32 v37, 0x2180, v36
	v_add_u32_e32 v79, 0x2380, v36
	v_mad_u32_u24 v80, v76, s0, v36
	v_cmp_gt_u32_e64 s[0:1], 64, v22
	s_mul_i32 s14, s24, 24
	s_mul_i32 s20, s24, 0x90
	;; [unrolled: 1-line block ×10, first 2 shown]
	s_add_i32 s25, s25, s3
	s_mulk_i32 s24, 0x88
	s_mov_b32 s3, 0
	v_add_u32_e32 v84, v81, v0
	s_branch .LBB176_74
.LBB176_73:                             ;   in Loop: Header=BB176_74 Depth=1
	s_or_b64 exec, exec, s[46:47]
	v_fmac_f64_e32 v[34:35], v[50:51], v[4:5]
	v_fmac_f64_e32 v[34:35], v[48:49], v[6:7]
	;; [unrolled: 1-line block ×15, first 2 shown]
	s_add_i32 s3, s3, 64
	s_add_i32 s2, s2, -1
	v_fmac_f64_e32 v[34:35], v[68:69], v[26:27]
	s_cmp_eq_u32 s2, 0
	v_lshl_add_u64 v[42:43], v[42:43], 0, s[12:13]
	s_barrier
	s_cbranch_scc1 .LBB176_78
.LBB176_74:                             ; =>This Inner Loop Header: Depth=1
	s_and_saveexec_b64 s[46:47], s[18:19]
	s_cbranch_execz .LBB176_76
; %bb.75:                               ;   in Loop: Header=BB176_74 Depth=1
	s_mul_i32 s33, s23, s3
	s_mul_hi_u32 s48, s22, s3
	s_add_i32 s49, s48, s33
	s_mul_i32 s48, s22, s3
	v_lshl_add_u64 v[0:1], s[48:49], 3, v[38:39]
	flat_load_dwordx2 v[0:1], v[0:1]
	s_waitcnt vmcnt(0) lgkmcnt(0)
	ds_write_b64 v37, v[0:1]
.LBB176_76:                             ;   in Loop: Header=BB176_74 Depth=1
	s_or_b64 exec, exec, s[46:47]
	s_waitcnt lgkmcnt(0)
	s_barrier
	v_lshl_add_u64 v[0:1], v[42:43], 0, s[8:9]
	v_lshl_add_u64 v[2:3], v[42:43], 0, s[10:11]
	;; [unrolled: 1-line block ×3, first 2 shown]
	flat_load_dwordx2 v[50:51], v[42:43]
	flat_load_dwordx2 v[48:49], v[0:1]
	;; [unrolled: 1-line block ×4, first 2 shown]
	ds_read_b64 v[8:9], v79
	ds_read_b128 v[4:7], v78
	ds_read_b128 v[0:3], v78 offset:16
	v_lshl_add_u64 v[10:11], v[42:43], 0, s[16:17]
	v_lshl_add_u64 v[12:13], v[42:43], 0, s[24:25]
	;; [unrolled: 1-line block ×9, first 2 shown]
	s_waitcnt vmcnt(0) lgkmcnt(0)
	v_mul_f64 v[18:19], v[50:51], v[8:9]
	v_mul_f64 v[20:21], v[48:49], v[8:9]
	;; [unrolled: 1-line block ×4, first 2 shown]
	ds_write2_b64 v80, v[18:19], v[20:21] offset1:67
	ds_write2_b64 v80, v[22:23], v[8:9] offset0:134 offset1:201
	s_waitcnt lgkmcnt(0)
	s_barrier
	ds_read2_b64 v[24:27], v81 offset1:1
	ds_read2_b64 v[28:31], v81 offset0:2 offset1:3
	s_waitcnt lgkmcnt(0)
	s_barrier
	flat_load_dwordx2 v[58:59], v[10:11]
	flat_load_dwordx2 v[56:57], v[12:13]
	;; [unrolled: 1-line block ×4, first 2 shown]
	ds_read_b64 v[20:21], v79
	v_lshl_add_u64 v[16:17], v[42:43], 0, s[26:27]
	v_lshl_add_u64 v[18:19], v[42:43], 0, s[44:45]
	;; [unrolled: 1-line block ×3, first 2 shown]
	ds_read_b128 v[12:15], v78 offset:128
	ds_read_b128 v[8:11], v78 offset:144
	v_add_f64 v[24:25], v[24:25], 0
	v_add_f64 v[24:25], v[24:25], v[26:27]
	;; [unrolled: 1-line block ×3, first 2 shown]
	s_waitcnt vmcnt(0) lgkmcnt(0)
	v_mul_f64 v[60:61], v[58:59], v[20:21]
	v_mul_f64 v[62:63], v[56:57], v[20:21]
	;; [unrolled: 1-line block ×4, first 2 shown]
	ds_write2_b64 v80, v[60:61], v[62:63] offset1:67
	ds_write2_b64 v80, v[64:65], v[20:21] offset0:134 offset1:201
	s_waitcnt lgkmcnt(0)
	s_barrier
	ds_read2_b64 v[86:89], v81 offset1:1
	ds_read2_b64 v[90:93], v81 offset0:2 offset1:3
	s_waitcnt lgkmcnt(0)
	s_barrier
	flat_load_dwordx2 v[66:67], v[16:17]
	flat_load_dwordx2 v[64:65], v[18:19]
	;; [unrolled: 1-line block ×4, first 2 shown]
	ds_read_b64 v[68:69], v79
	ds_read_b128 v[20:23], v78 offset:256
	ds_read_b128 v[16:19], v78 offset:272
	s_waitcnt vmcnt(0) lgkmcnt(0)
	v_mul_f64 v[70:71], v[66:67], v[68:69]
	v_mul_f64 v[72:73], v[64:65], v[68:69]
	;; [unrolled: 1-line block ×4, first 2 shown]
	ds_write2_b64 v80, v[70:71], v[72:73] offset1:67
	ds_write2_b64 v80, v[74:75], v[68:69] offset0:134 offset1:201
	s_waitcnt lgkmcnt(0)
	s_barrier
	ds_read2_b64 v[94:97], v81 offset1:1
	ds_read2_b64 v[98:101], v81 offset0:2 offset1:3
	s_waitcnt lgkmcnt(0)
	s_barrier
	flat_load_dwordx2 v[74:75], v[102:103]
	flat_load_dwordx2 v[72:73], v[104:105]
	;; [unrolled: 1-line block ×4, first 2 shown]
	v_add_f64 v[102:103], v[24:25], v[30:31]
	v_add_f64 v[24:25], v[86:87], 0
	;; [unrolled: 1-line block ×5, first 2 shown]
	ds_read_b64 v[86:87], v79
	ds_read_b128 v[28:31], v78 offset:384
	ds_read_b128 v[24:27], v78 offset:400
	v_add_f64 v[88:89], v[94:95], 0
	v_add_f64 v[88:89], v[88:89], v[96:97]
	;; [unrolled: 1-line block ×4, first 2 shown]
	s_waitcnt vmcnt(0) lgkmcnt(0)
	v_mul_f64 v[88:89], v[74:75], v[86:87]
	v_mul_f64 v[90:91], v[72:73], v[86:87]
	;; [unrolled: 1-line block ×4, first 2 shown]
	ds_write2_b64 v80, v[88:89], v[90:91] offset1:67
	ds_write2_b64 v80, v[92:93], v[86:87] offset0:134 offset1:201
	s_waitcnt lgkmcnt(0)
	s_barrier
	ds_read2_b64 v[86:89], v81 offset1:1
	ds_read2_b64 v[90:93], v81 offset0:2 offset1:3
	s_waitcnt lgkmcnt(0)
	s_barrier
	v_add_f64 v[86:87], v[86:87], 0
	v_add_f64 v[86:87], v[86:87], v[88:89]
	;; [unrolled: 1-line block ×4, first 2 shown]
	ds_write2_b64 v84, v[102:103], v[104:105] offset1:16
	ds_write2_b64 v84, v[94:95], v[86:87] offset0:32 offset1:48
	s_waitcnt lgkmcnt(0)
	s_barrier
	s_and_saveexec_b64 s[46:47], s[0:1]
	s_cbranch_execz .LBB176_73
; %bb.77:                               ;   in Loop: Header=BB176_74 Depth=1
	ds_read2_b64 v[86:89], v82 offset1:1
	ds_read2_b64 v[90:93], v82 offset0:2 offset1:3
	ds_read2_b64 v[94:97], v82 offset0:4 offset1:5
	;; [unrolled: 1-line block ×4, first 2 shown]
	s_waitcnt lgkmcnt(4)
	v_add_f64 v[86:87], v[86:87], v[88:89]
	s_waitcnt lgkmcnt(3)
	v_add_f64 v[86:87], v[86:87], v[90:91]
	v_add_f64 v[86:87], v[86:87], v[92:93]
	s_waitcnt lgkmcnt(2)
	v_add_f64 v[86:87], v[86:87], v[94:95]
	;; [unrolled: 3-line block ×3, first 2 shown]
	ds_read2_b64 v[86:89], v82 offset0:10 offset1:11
	v_add_f64 v[90:91], v[90:91], v[100:101]
	s_waitcnt lgkmcnt(1)
	v_add_f64 v[90:91], v[90:91], v[102:103]
	v_add_f64 v[94:95], v[90:91], v[104:105]
	ds_read2_b64 v[90:93], v82 offset0:12 offset1:13
	s_waitcnt lgkmcnt(1)
	v_add_f64 v[86:87], v[94:95], v[86:87]
	ds_read_b64 v[94:95], v82 offset:112
	ds_read_b64 v[96:97], v83
	v_add_f64 v[86:87], v[86:87], v[88:89]
	v_add_u32_e32 v40, s3, v77
	s_waitcnt lgkmcnt(2)
	v_add_f64 v[86:87], v[86:87], v[90:91]
	v_add_f64 v[86:87], v[86:87], v[92:93]
	s_waitcnt lgkmcnt(1)
	v_add_f64 v[86:87], v[86:87], v[94:95]
	s_waitcnt lgkmcnt(0)
	v_add_f64 v[86:87], v[86:87], v[96:97]
	v_lshl_add_u64 v[88:89], v[40:41], 3, s[6:7]
	global_store_dwordx2 v[88:89], v[86:87], off
	s_branch .LBB176_73
.LBB176_78:
	s_movk_i32 s0, 0x218
	v_mad_u32_u24 v0, v76, s0, v36
	s_nor_b64 s[0:1], s[4:5], vcc
	ds_write_b64 v0, v[34:35]
	s_waitcnt lgkmcnt(0)
	s_barrier
	s_and_saveexec_b64 s[2:3], s[0:1]
	s_cbranch_execz .LBB176_80
; %bb.79:
	ds_read2_b64 v[0:3], v36 offset1:67
	ds_read2_b64 v[4:7], v36 offset0:134 offset1:201
	s_waitcnt lgkmcnt(1)
	v_add_f64 v[0:1], v[0:1], v[2:3]
	s_waitcnt lgkmcnt(0)
	v_add_f64 v[0:1], v[0:1], v[4:5]
	v_add_f64 v[0:1], v[0:1], v[6:7]
	v_lshl_add_u64 v[2:3], v[32:33], 3, s[6:7]
	global_store_dwordx2 v[2:3], v[0:1], off
.LBB176_80:
	s_endpgm
	.section	.rodata,"a",@progbits
	.p2align	6, 0x0
	.amdhsa_kernel _ZL26rocblas_hemvn_kernel_lowerILb0ELi64ELi4ELi33ELi32ELi16EldPKPKdPdEviT6_lT7_lT5_lS6_lS7_lS5_lT8_i
		.amdhsa_group_segment_fixed_size 9600
		.amdhsa_private_segment_fixed_size 0
		.amdhsa_kernarg_size 376
		.amdhsa_user_sgpr_count 2
		.amdhsa_user_sgpr_dispatch_ptr 0
		.amdhsa_user_sgpr_queue_ptr 0
		.amdhsa_user_sgpr_kernarg_segment_ptr 1
		.amdhsa_user_sgpr_dispatch_id 0
		.amdhsa_user_sgpr_kernarg_preload_length 0
		.amdhsa_user_sgpr_kernarg_preload_offset 0
		.amdhsa_user_sgpr_private_segment_size 0
		.amdhsa_uses_dynamic_stack 0
		.amdhsa_enable_private_segment 0
		.amdhsa_system_sgpr_workgroup_id_x 1
		.amdhsa_system_sgpr_workgroup_id_y 0
		.amdhsa_system_sgpr_workgroup_id_z 1
		.amdhsa_system_sgpr_workgroup_info 0
		.amdhsa_system_vgpr_workitem_id 1
		.amdhsa_next_free_vgpr 110
		.amdhsa_next_free_sgpr 50
		.amdhsa_accum_offset 112
		.amdhsa_reserve_vcc 1
		.amdhsa_float_round_mode_32 0
		.amdhsa_float_round_mode_16_64 0
		.amdhsa_float_denorm_mode_32 3
		.amdhsa_float_denorm_mode_16_64 3
		.amdhsa_dx10_clamp 1
		.amdhsa_ieee_mode 1
		.amdhsa_fp16_overflow 0
		.amdhsa_tg_split 0
		.amdhsa_exception_fp_ieee_invalid_op 0
		.amdhsa_exception_fp_denorm_src 0
		.amdhsa_exception_fp_ieee_div_zero 0
		.amdhsa_exception_fp_ieee_overflow 0
		.amdhsa_exception_fp_ieee_underflow 0
		.amdhsa_exception_fp_ieee_inexact 0
		.amdhsa_exception_int_div_zero 0
	.end_amdhsa_kernel
	.section	.text._ZL26rocblas_hemvn_kernel_lowerILb0ELi64ELi4ELi33ELi32ELi16EldPKPKdPdEviT6_lT7_lT5_lS6_lS7_lS5_lT8_i,"axG",@progbits,_ZL26rocblas_hemvn_kernel_lowerILb0ELi64ELi4ELi33ELi32ELi16EldPKPKdPdEviT6_lT7_lT5_lS6_lS7_lS5_lT8_i,comdat
.Lfunc_end176:
	.size	_ZL26rocblas_hemvn_kernel_lowerILb0ELi64ELi4ELi33ELi32ELi16EldPKPKdPdEviT6_lT7_lT5_lS6_lS7_lS5_lT8_i, .Lfunc_end176-_ZL26rocblas_hemvn_kernel_lowerILb0ELi64ELi4ELi33ELi32ELi16EldPKPKdPdEviT6_lT7_lT5_lS6_lS7_lS5_lT8_i
                                        ; -- End function
	.set _ZL26rocblas_hemvn_kernel_lowerILb0ELi64ELi4ELi33ELi32ELi16EldPKPKdPdEviT6_lT7_lT5_lS6_lS7_lS5_lT8_i.num_vgpr, 110
	.set _ZL26rocblas_hemvn_kernel_lowerILb0ELi64ELi4ELi33ELi32ELi16EldPKPKdPdEviT6_lT7_lT5_lS6_lS7_lS5_lT8_i.num_agpr, 0
	.set _ZL26rocblas_hemvn_kernel_lowerILb0ELi64ELi4ELi33ELi32ELi16EldPKPKdPdEviT6_lT7_lT5_lS6_lS7_lS5_lT8_i.numbered_sgpr, 50
	.set _ZL26rocblas_hemvn_kernel_lowerILb0ELi64ELi4ELi33ELi32ELi16EldPKPKdPdEviT6_lT7_lT5_lS6_lS7_lS5_lT8_i.num_named_barrier, 0
	.set _ZL26rocblas_hemvn_kernel_lowerILb0ELi64ELi4ELi33ELi32ELi16EldPKPKdPdEviT6_lT7_lT5_lS6_lS7_lS5_lT8_i.private_seg_size, 0
	.set _ZL26rocblas_hemvn_kernel_lowerILb0ELi64ELi4ELi33ELi32ELi16EldPKPKdPdEviT6_lT7_lT5_lS6_lS7_lS5_lT8_i.uses_vcc, 1
	.set _ZL26rocblas_hemvn_kernel_lowerILb0ELi64ELi4ELi33ELi32ELi16EldPKPKdPdEviT6_lT7_lT5_lS6_lS7_lS5_lT8_i.uses_flat_scratch, 0
	.set _ZL26rocblas_hemvn_kernel_lowerILb0ELi64ELi4ELi33ELi32ELi16EldPKPKdPdEviT6_lT7_lT5_lS6_lS7_lS5_lT8_i.has_dyn_sized_stack, 0
	.set _ZL26rocblas_hemvn_kernel_lowerILb0ELi64ELi4ELi33ELi32ELi16EldPKPKdPdEviT6_lT7_lT5_lS6_lS7_lS5_lT8_i.has_recursion, 0
	.set _ZL26rocblas_hemvn_kernel_lowerILb0ELi64ELi4ELi33ELi32ELi16EldPKPKdPdEviT6_lT7_lT5_lS6_lS7_lS5_lT8_i.has_indirect_call, 0
	.section	.AMDGPU.csdata,"",@progbits
; Kernel info:
; codeLenInByte = 5956
; TotalNumSgprs: 56
; NumVgprs: 110
; NumAgprs: 0
; TotalNumVgprs: 110
; ScratchSize: 0
; MemoryBound: 0
; FloatMode: 240
; IeeeMode: 1
; LDSByteSize: 9600 bytes/workgroup (compile time only)
; SGPRBlocks: 6
; VGPRBlocks: 13
; NumSGPRsForWavesPerEU: 56
; NumVGPRsForWavesPerEU: 110
; AccumOffset: 112
; Occupancy: 4
; WaveLimiterHint : 1
; COMPUTE_PGM_RSRC2:SCRATCH_EN: 0
; COMPUTE_PGM_RSRC2:USER_SGPR: 2
; COMPUTE_PGM_RSRC2:TRAP_HANDLER: 0
; COMPUTE_PGM_RSRC2:TGID_X_EN: 1
; COMPUTE_PGM_RSRC2:TGID_Y_EN: 0
; COMPUTE_PGM_RSRC2:TGID_Z_EN: 1
; COMPUTE_PGM_RSRC2:TIDIG_COMP_CNT: 1
; COMPUTE_PGM_RSRC3_GFX90A:ACCUM_OFFSET: 27
; COMPUTE_PGM_RSRC3_GFX90A:TG_SPLIT: 0
	.section	.text._ZL36rocblas_hemvn_kernel_lower_block_sumILi64EldPKPddEviT1_lS3_lT2_lT0_lPT3_i,"axG",@progbits,_ZL36rocblas_hemvn_kernel_lower_block_sumILi64EldPKPddEviT1_lS3_lT2_lT0_lPT3_i,comdat
	.globl	_ZL36rocblas_hemvn_kernel_lower_block_sumILi64EldPKPddEviT1_lS3_lT2_lT0_lPT3_i ; -- Begin function _ZL36rocblas_hemvn_kernel_lower_block_sumILi64EldPKPddEviT1_lS3_lT2_lT0_lPT3_i
	.p2align	8
	.type	_ZL36rocblas_hemvn_kernel_lower_block_sumILi64EldPKPddEviT1_lS3_lT2_lT0_lPT3_i,@function
_ZL36rocblas_hemvn_kernel_lower_block_sumILi64EldPKPddEviT1_lS3_lT2_lT0_lPT3_i: ; @_ZL36rocblas_hemvn_kernel_lower_block_sumILi64EldPKPddEviT1_lS3_lT2_lT0_lPT3_i
; %bb.0:
	s_load_dwordx2 s[10:11], s[0:1], 0x8
	s_load_dwordx2 s[12:13], s[0:1], 0x18
	s_waitcnt lgkmcnt(0)
	v_cmp_eq_f64_e64 s[4:5], s[10:11], 0
	v_cmp_eq_f64_e64 s[6:7], s[12:13], 1.0
	s_and_b64 s[4:5], s[4:5], s[6:7]
	s_and_b64 vcc, exec, s[4:5]
	s_cbranch_vccnz .LBB177_19
; %bb.1:
	s_load_dwordx2 s[8:9], s[0:1], 0x28
	s_load_dword s18, s[0:1], 0x0
	s_load_dwordx4 s[4:7], s[0:1], 0x30
	s_mov_b32 s16, s3
	s_mov_b32 s17, 0
	s_lshl_b64 s[14:15], s[16:17], 3
	s_waitcnt lgkmcnt(0)
	s_add_u32 s8, s8, s14
	s_addc_u32 s9, s9, s15
	s_load_dwordx2 s[8:9], s[8:9], 0x0
	s_lshl_b64 s[4:5], s[4:5], 3
	v_lshl_or_b32 v6, s2, 6, v0
	v_cmp_neq_f64_e64 s[20:21], s[10:11], 0
	s_mov_b64 s[14:15], 0
	s_waitcnt lgkmcnt(0)
	s_add_u32 s8, s8, s4
	s_addc_u32 s9, s9, s5
	s_and_b64 vcc, exec, s[20:21]
	v_cmp_gt_i32_e64 s[4:5], s18, v6
	s_cbranch_vccnz .LBB177_6
; %bb.2:
	s_mov_b64 s[20:21], 0
                                        ; implicit-def: $vgpr0_vgpr1
                                        ; implicit-def: $vgpr2_vgpr3
	s_and_saveexec_b64 s[22:23], s[4:5]
	s_cbranch_execz .LBB177_7
; %bb.3:
	v_ashrrev_i32_e32 v2, 31, v6
	v_cmp_eq_f64_e64 s[4:5], s[12:13], 0
	v_mul_lo_u32 v4, s7, v6
	v_mul_lo_u32 v5, s6, v2
	v_mad_u64_u32 v[2:3], s[14:15], s6, v6, 0
	v_mov_b64_e32 v[0:1], 0
	v_add3_u32 v3, v3, v5, v4
	s_and_b64 vcc, exec, s[4:5]
	s_cbranch_vccnz .LBB177_5
; %bb.4:
	v_lshl_add_u64 v[0:1], v[2:3], 3, s[8:9]
	flat_load_dwordx2 v[0:1], v[0:1]
	s_waitcnt vmcnt(0) lgkmcnt(0)
	v_mul_f64 v[0:1], s[12:13], v[0:1]
.LBB177_5:
	s_mov_b64 s[14:15], exec
	s_or_b64 exec, exec, s[22:23]
	s_and_b64 vcc, exec, s[20:21]
	s_cbranch_vccnz .LBB177_8
	s_branch .LBB177_17
.LBB177_6:
                                        ; implicit-def: $vgpr0_vgpr1
                                        ; implicit-def: $vgpr2_vgpr3
	s_cbranch_execnz .LBB177_8
	s_branch .LBB177_17
.LBB177_7:
	s_or_b64 exec, exec, s[22:23]
	s_and_b64 vcc, exec, s[20:21]
	s_cbranch_vccz .LBB177_17
.LBB177_8:
	v_cmp_gt_i32_e32 vcc, s18, v6
                                        ; implicit-def: $vgpr0_vgpr1
                                        ; implicit-def: $vgpr2_vgpr3
	s_and_saveexec_b64 s[4:5], vcc
	s_cbranch_execz .LBB177_16
; %bb.9:
	s_load_dword s3, s[0:1], 0x58
	v_mov_b64_e32 v[4:5], 0
	s_waitcnt lgkmcnt(0)
	s_cmp_ge_i32 s2, s3
	s_cbranch_scc1 .LBB177_12
; %bb.10:
	s_ashr_i32 s19, s18, 31
	s_mul_i32 s17, s18, s2
	s_load_dwordx2 s[0:1], s[0:1], 0x48
	v_add_u32_e32 v0, s17, v6
	s_mul_hi_u32 s17, s18, s16
	s_mul_i32 s20, s19, s16
	s_add_i32 s17, s17, s20
	s_mul_i32 s16, s18, s16
	s_mul_i32 s17, s17, s3
	s_mul_hi_u32 s20, s16, s3
	s_add_i32 s17, s20, s17
	s_mul_i32 s16, s16, s3
	s_lshl_b64 s[16:17], s[16:17], 3
	s_waitcnt lgkmcnt(0)
	s_add_u32 s0, s0, s16
	v_ashrrev_i32_e32 v1, 31, v0
	s_addc_u32 s1, s1, s17
	v_lshl_add_u64 v[0:1], v[0:1], 3, s[0:1]
	s_lshl_b64 s[0:1], s[18:19], 3
	v_mov_b64_e32 v[4:5], 0
.LBB177_11:                             ; =>This Inner Loop Header: Depth=1
	global_load_dwordx2 v[2:3], v[0:1], off
	s_add_i32 s2, s2, 1
	v_lshl_add_u64 v[0:1], v[0:1], 0, s[0:1]
	s_cmp_ge_i32 s2, s3
	s_waitcnt vmcnt(0)
	v_add_f64 v[4:5], v[4:5], v[2:3]
	s_cbranch_scc0 .LBB177_11
.LBB177_12:
	v_cmp_eq_f64_e64 s[2:3], s[12:13], 0
	v_ashrrev_i32_e32 v0, 31, v6
	s_mov_b64 s[0:1], 0
	s_and_b64 vcc, exec, s[2:3]
	v_mul_lo_u32 v7, s7, v6
	v_mul_lo_u32 v8, s6, v0
	s_cbranch_vccz .LBB177_20
; %bb.13:
	v_mad_u64_u32 v[2:3], s[2:3], s6, v6, 0
	v_mul_f64 v[0:1], s[10:11], v[4:5]
	v_add3_u32 v3, v3, v8, v7
	s_andn2_b64 vcc, exec, s[0:1]
	s_cbranch_vccnz .LBB177_15
.LBB177_14:
	v_mad_u64_u32 v[2:3], s[0:1], s6, v6, 0
	v_add3_u32 v3, v3, v8, v7
	v_lshl_add_u64 v[0:1], v[2:3], 3, s[8:9]
	flat_load_dwordx2 v[0:1], v[0:1]
	s_waitcnt vmcnt(0) lgkmcnt(0)
	v_mul_f64 v[0:1], s[12:13], v[0:1]
	v_fmac_f64_e32 v[0:1], s[10:11], v[4:5]
.LBB177_15:
	s_or_b64 s[14:15], s[14:15], exec
.LBB177_16:
	s_or_b64 exec, exec, s[4:5]
.LBB177_17:
	s_and_saveexec_b64 s[0:1], s[14:15]
	s_cbranch_execz .LBB177_19
; %bb.18:
	v_lshl_add_u64 v[2:3], v[2:3], 3, s[8:9]
	flat_store_dwordx2 v[2:3], v[0:1]
.LBB177_19:
	s_endpgm
.LBB177_20:
                                        ; implicit-def: $vgpr0_vgpr1
                                        ; implicit-def: $vgpr2_vgpr3
	s_branch .LBB177_14
	.section	.rodata,"a",@progbits
	.p2align	6, 0x0
	.amdhsa_kernel _ZL36rocblas_hemvn_kernel_lower_block_sumILi64EldPKPddEviT1_lS3_lT2_lT0_lPT3_i
		.amdhsa_group_segment_fixed_size 0
		.amdhsa_private_segment_fixed_size 0
		.amdhsa_kernarg_size 344
		.amdhsa_user_sgpr_count 2
		.amdhsa_user_sgpr_dispatch_ptr 0
		.amdhsa_user_sgpr_queue_ptr 0
		.amdhsa_user_sgpr_kernarg_segment_ptr 1
		.amdhsa_user_sgpr_dispatch_id 0
		.amdhsa_user_sgpr_kernarg_preload_length 0
		.amdhsa_user_sgpr_kernarg_preload_offset 0
		.amdhsa_user_sgpr_private_segment_size 0
		.amdhsa_uses_dynamic_stack 0
		.amdhsa_enable_private_segment 0
		.amdhsa_system_sgpr_workgroup_id_x 1
		.amdhsa_system_sgpr_workgroup_id_y 0
		.amdhsa_system_sgpr_workgroup_id_z 1
		.amdhsa_system_sgpr_workgroup_info 0
		.amdhsa_system_vgpr_workitem_id 0
		.amdhsa_next_free_vgpr 9
		.amdhsa_next_free_sgpr 24
		.amdhsa_accum_offset 12
		.amdhsa_reserve_vcc 1
		.amdhsa_float_round_mode_32 0
		.amdhsa_float_round_mode_16_64 0
		.amdhsa_float_denorm_mode_32 3
		.amdhsa_float_denorm_mode_16_64 3
		.amdhsa_dx10_clamp 1
		.amdhsa_ieee_mode 1
		.amdhsa_fp16_overflow 0
		.amdhsa_tg_split 0
		.amdhsa_exception_fp_ieee_invalid_op 0
		.amdhsa_exception_fp_denorm_src 0
		.amdhsa_exception_fp_ieee_div_zero 0
		.amdhsa_exception_fp_ieee_overflow 0
		.amdhsa_exception_fp_ieee_underflow 0
		.amdhsa_exception_fp_ieee_inexact 0
		.amdhsa_exception_int_div_zero 0
	.end_amdhsa_kernel
	.section	.text._ZL36rocblas_hemvn_kernel_lower_block_sumILi64EldPKPddEviT1_lS3_lT2_lT0_lPT3_i,"axG",@progbits,_ZL36rocblas_hemvn_kernel_lower_block_sumILi64EldPKPddEviT1_lS3_lT2_lT0_lPT3_i,comdat
.Lfunc_end177:
	.size	_ZL36rocblas_hemvn_kernel_lower_block_sumILi64EldPKPddEviT1_lS3_lT2_lT0_lPT3_i, .Lfunc_end177-_ZL36rocblas_hemvn_kernel_lower_block_sumILi64EldPKPddEviT1_lS3_lT2_lT0_lPT3_i
                                        ; -- End function
	.set _ZL36rocblas_hemvn_kernel_lower_block_sumILi64EldPKPddEviT1_lS3_lT2_lT0_lPT3_i.num_vgpr, 9
	.set _ZL36rocblas_hemvn_kernel_lower_block_sumILi64EldPKPddEviT1_lS3_lT2_lT0_lPT3_i.num_agpr, 0
	.set _ZL36rocblas_hemvn_kernel_lower_block_sumILi64EldPKPddEviT1_lS3_lT2_lT0_lPT3_i.numbered_sgpr, 24
	.set _ZL36rocblas_hemvn_kernel_lower_block_sumILi64EldPKPddEviT1_lS3_lT2_lT0_lPT3_i.num_named_barrier, 0
	.set _ZL36rocblas_hemvn_kernel_lower_block_sumILi64EldPKPddEviT1_lS3_lT2_lT0_lPT3_i.private_seg_size, 0
	.set _ZL36rocblas_hemvn_kernel_lower_block_sumILi64EldPKPddEviT1_lS3_lT2_lT0_lPT3_i.uses_vcc, 1
	.set _ZL36rocblas_hemvn_kernel_lower_block_sumILi64EldPKPddEviT1_lS3_lT2_lT0_lPT3_i.uses_flat_scratch, 0
	.set _ZL36rocblas_hemvn_kernel_lower_block_sumILi64EldPKPddEviT1_lS3_lT2_lT0_lPT3_i.has_dyn_sized_stack, 0
	.set _ZL36rocblas_hemvn_kernel_lower_block_sumILi64EldPKPddEviT1_lS3_lT2_lT0_lPT3_i.has_recursion, 0
	.set _ZL36rocblas_hemvn_kernel_lower_block_sumILi64EldPKPddEviT1_lS3_lT2_lT0_lPT3_i.has_indirect_call, 0
	.section	.AMDGPU.csdata,"",@progbits
; Kernel info:
; codeLenInByte = 616
; TotalNumSgprs: 30
; NumVgprs: 9
; NumAgprs: 0
; TotalNumVgprs: 9
; ScratchSize: 0
; MemoryBound: 0
; FloatMode: 240
; IeeeMode: 1
; LDSByteSize: 0 bytes/workgroup (compile time only)
; SGPRBlocks: 3
; VGPRBlocks: 1
; NumSGPRsForWavesPerEU: 30
; NumVGPRsForWavesPerEU: 9
; AccumOffset: 12
; Occupancy: 8
; WaveLimiterHint : 1
; COMPUTE_PGM_RSRC2:SCRATCH_EN: 0
; COMPUTE_PGM_RSRC2:USER_SGPR: 2
; COMPUTE_PGM_RSRC2:TRAP_HANDLER: 0
; COMPUTE_PGM_RSRC2:TGID_X_EN: 1
; COMPUTE_PGM_RSRC2:TGID_Y_EN: 0
; COMPUTE_PGM_RSRC2:TGID_Z_EN: 1
; COMPUTE_PGM_RSRC2:TIDIG_COMP_CNT: 0
; COMPUTE_PGM_RSRC3_GFX90A:ACCUM_OFFSET: 2
; COMPUTE_PGM_RSRC3_GFX90A:TG_SPLIT: 0
	.section	.text._ZL26rocblas_hemvn_kernel_lowerILb0ELi64ELi4ELi33ELi32ELi16EidPKPKdPdEviT6_lT7_lT5_lS6_lS7_lS5_lT8_i,"axG",@progbits,_ZL26rocblas_hemvn_kernel_lowerILb0ELi64ELi4ELi33ELi32ELi16EidPKPKdPdEviT6_lT7_lT5_lS6_lS7_lS5_lT8_i,comdat
	.globl	_ZL26rocblas_hemvn_kernel_lowerILb0ELi64ELi4ELi33ELi32ELi16EidPKPKdPdEviT6_lT7_lT5_lS6_lS7_lS5_lT8_i ; -- Begin function _ZL26rocblas_hemvn_kernel_lowerILb0ELi64ELi4ELi33ELi32ELi16EidPKPKdPdEviT6_lT7_lT5_lS6_lS7_lS5_lT8_i
	.p2align	8
	.type	_ZL26rocblas_hemvn_kernel_lowerILb0ELi64ELi4ELi33ELi32ELi16EidPKPKdPdEviT6_lT7_lT5_lS6_lS7_lS5_lT8_i,@function
_ZL26rocblas_hemvn_kernel_lowerILb0ELi64ELi4ELi33ELi32ELi16EidPKPKdPdEviT6_lT7_lT5_lS6_lS7_lS5_lT8_i: ; @_ZL26rocblas_hemvn_kernel_lowerILb0ELi64ELi4ELi33ELi32ELi16EidPKPKdPdEviT6_lT7_lT5_lS6_lS7_lS5_lT8_i
; %bb.0:
	s_load_dwordx2 s[4:5], s[0:1], 0x84
	s_add_u32 s8, s0, 0x78
	s_mov_b32 s24, s3
	s_addc_u32 s9, s1, 0
	s_waitcnt lgkmcnt(0)
	s_and_b32 s3, s5, 0xffff
	s_lshr_b32 s5, s4, 16
	s_and_b32 s4, s4, 0xffff
	s_mul_i32 s4, s5, s4
	s_mul_i32 s4, s4, s3
	s_cmpk_lg_i32 s4, 0x100
	s_cbranch_scc1 .LBB178_80
; %bb.1:
	s_load_dwordx2 s[4:5], s[0:1], 0x8
	s_load_dwordx2 s[10:11], s[0:1], 0x58
	s_waitcnt lgkmcnt(0)
	v_cmp_eq_f64_e64 s[6:7], s[4:5], 0
	v_cmp_eq_f64_e64 s[4:5], s[10:11], 1.0
	s_and_b64 s[4:5], s[6:7], s[4:5]
	s_and_b64 vcc, exec, s[4:5]
	s_cbranch_vccnz .LBB178_80
; %bb.2:
	s_mov_b64 s[4:5], 0
	s_and_b64 vcc, exec, s[6:7]
	s_cbranch_vccnz .LBB178_4
; %bb.3:
	s_mov_b64 s[4:5], -1
.LBB178_4:
	s_andn2_b64 vcc, exec, s[4:5]
	s_cbranch_vccnz .LBB178_80
; %bb.5:
	s_load_dwordx4 s[4:7], s[0:1], 0x18
	s_load_dwordx4 s[12:15], s[0:1], 0x38
	s_load_dword s3, s[0:1], 0x48
	s_mov_b32 s25, 0
	s_lshl_b64 s[10:11], s[24:25], 3
	s_waitcnt lgkmcnt(0)
	s_add_u32 s4, s4, s10
	s_addc_u32 s5, s5, s11
	s_add_u32 s12, s12, s10
	s_addc_u32 s13, s13, s11
	s_load_dwordx2 s[16:17], s[12:13], 0x0
	s_load_dword s25, s[0:1], 0x0
	s_load_dword s33, s[8:9], 0x0
	s_load_dwordx2 s[10:11], s[4:5], 0x0
	s_lshl_b64 s[4:5], s[14:15], 3
	s_waitcnt lgkmcnt(0)
	s_add_u32 s4, s16, s4
	s_addc_u32 s5, s17, s5
	s_ashr_i32 s40, s25, 31
	s_lshr_b32 s9, s40, 26
	v_and_b32_e32 v34, 0x3ff, v0
	s_lshl_b32 s28, s2, 6
	s_add_i32 s9, s25, s9
	s_andn2_b32 s9, s9, 63
	v_add_u32_e32 v32, s28, v34
	v_bfe_u32 v33, v0, 10, 10
	s_add_i32 s8, s33, -1
	s_sub_i32 s9, s25, s9
	v_mul_lo_u32 v0, s3, v32
	s_cmp_eq_u32 s2, s8
	v_ashrrev_i32_e32 v1, 31, v0
	s_cselect_b32 s26, s9, 0
	v_lshl_add_u64 v[16:17], v[0:1], 3, s[4:5]
	v_cmp_ne_u32_e64 s[4:5], 0, v33
	v_cmp_eq_u32_e64 s[18:19], 0, v33
	s_and_saveexec_b64 s[8:9], s[18:19]
	s_cbranch_execz .LBB178_9
; %bb.6:
	s_cmp_eq_u32 s26, 0
	s_cselect_b64 s[12:13], -1, 0
	v_cmp_gt_i32_e32 vcc, s26, v34
	s_or_b64 s[14:15], s[12:13], vcc
	v_mov_b64_e32 v[0:1], 0
	s_and_saveexec_b64 s[12:13], s[14:15]
	s_cbranch_execz .LBB178_8
; %bb.7:
	flat_load_dwordx2 v[0:1], v[16:17]
.LBB178_8:
	s_or_b64 exec, exec, s[12:13]
	v_lshlrev_b32_e32 v2, 3, v34
	s_waitcnt vmcnt(0) lgkmcnt(0)
	ds_write_b64 v2, v[0:1] offset:9088
.LBB178_9:
	s_or_b64 exec, exec, s[8:9]
	s_load_dword s22, s[0:1], 0x28
	s_lshl_b64 s[6:7], s[6:7], 3
	s_add_u32 s8, s10, s6
	s_addc_u32 s9, s11, s7
	s_ashr_i32 s29, s28, 31
	v_lshl_add_u32 v22, v33, 6, v34
	s_lshl_b64 s[6:7], s[28:29], 3
	v_and_b32_e32 v2, 31, v34
	v_lshrrev_b32_e32 v8, 5, v22
	s_add_u32 s6, s8, s6
	s_waitcnt lgkmcnt(0)
	s_mul_i32 s30, s22, s28
	s_addc_u32 s7, s9, s7
	v_mad_u64_u32 v[18:19], s[8:9], s22, v8, v[2:3]
	s_ashr_i32 s31, s30, 31
	v_ashrrev_i32_e32 v19, 31, v18
	s_cmp_lg_u32 s26, 0
	v_lshl_add_u64 v[0:1], v[18:19], 3, s[6:7]
	s_cselect_b64 s[34:35], -1, 0
	s_cmp_eq_u32 s26, 0
	v_lshl_add_u64 v[4:5], s[30:31], 3, v[0:1]
	s_cselect_b64 s[20:21], -1, 0
	s_mov_b64 s[6:7], -1
	s_and_b64 vcc, exec, s[34:35]
	s_cbranch_vccnz .LBB178_11
; %bb.10:
	s_lshl_b32 s6, s22, 3
	s_ashr_i32 s7, s6, 31
	s_ashr_i32 s23, s22, 31
	v_lshl_add_u64 v[0:1], s[6:7], 3, v[4:5]
	s_lshl_b64 s[6:7], s[22:23], 6
	v_lshl_add_u64 v[6:7], v[0:1], 0, s[6:7]
	v_lshl_add_u64 v[10:11], v[6:7], 0, s[6:7]
	flat_load_dwordx2 v[12:13], v[4:5]
	flat_load_dwordx2 v[14:15], v[0:1]
	;; [unrolled: 1-line block ×4, first 2 shown]
	v_mul_u32_u24_e32 v0, 0x108, v8
	v_lshl_add_u32 v0, v2, 3, v0
	s_mov_b64 s[6:7], 0
	s_waitcnt vmcnt(0) lgkmcnt(0)
	ds_write_b64 v0, v[12:13]
	ds_write_b64 v0, v[14:15] offset:2112
	ds_write_b64 v0, v[20:21] offset:4224
	;; [unrolled: 1-line block ×3, first 2 shown]
.LBB178_11:
	s_andn2_b64 vcc, exec, s[6:7]
	v_lshlrev_b32_e32 v0, 3, v2
	s_cbranch_vccnz .LBB178_21
; %bb.12:
	v_sub_co_u32_e32 v6, vcc, v4, v0
	s_ashr_i32 s27, s26, 31
	s_nop 0
	v_subbrev_co_u32_e32 v7, vcc, 0, v5, vcc
	v_lshl_add_u64 v[6:7], s[26:27], 3, v[6:7]
	v_lshl_add_u64 v[6:7], v[6:7], 0, -8
	v_cmp_gt_i32_e32 vcc, s26, v2
	v_cmp_gt_i32_e64 s[6:7], s26, v8
	v_mov_b64_e32 v[10:11], 0
	v_cndmask_b32_e32 v7, v7, v5, vcc
	v_cndmask_b32_e32 v6, v6, v4, vcc
	v_mov_b64_e32 v[12:13], 0
	s_and_saveexec_b64 s[8:9], s[6:7]
	s_cbranch_execz .LBB178_14
; %bb.13:
	flat_load_dwordx2 v[12:13], v[6:7]
.LBB178_14:
	s_or_b64 exec, exec, s[8:9]
	s_movk_i32 s6, 0x108
	v_mad_u32_u24 v3, v8, s6, v0
	s_waitcnt vmcnt(0) lgkmcnt(0)
	ds_write_b64 v3, v[12:13]
	v_add_u32_e32 v3, 8, v8
	v_mul_u32_u24_e32 v1, 0x108, v8
	v_cmp_gt_i32_e64 s[6:7], s26, v3
	s_and_saveexec_b64 s[8:9], s[6:7]
	s_cbranch_execz .LBB178_16
; %bb.15:
	s_lshl_b32 s6, s22, 3
	s_ashr_i32 s7, s6, 31
	v_lshl_add_u64 v[10:11], s[6:7], 3, v[6:7]
	flat_load_dwordx2 v[10:11], v[10:11]
.LBB178_16:
	s_or_b64 exec, exec, s[8:9]
	v_add_u32_e32 v1, v1, v0
	v_add_u32_e32 v3, 16, v8
	s_waitcnt vmcnt(0) lgkmcnt(0)
	ds_write_b64 v1, v[10:11] offset:2112
	v_cmp_gt_i32_e64 s[6:7], s26, v3
	v_mov_b64_e32 v[10:11], 0
	v_mov_b64_e32 v[12:13], 0
	s_and_saveexec_b64 s[8:9], s[6:7]
	s_cbranch_execz .LBB178_18
; %bb.17:
	s_lshl_b32 s6, s22, 4
	s_ashr_i32 s7, s6, 31
	v_lshl_add_u64 v[12:13], s[6:7], 3, v[6:7]
	flat_load_dwordx2 v[12:13], v[12:13]
.LBB178_18:
	s_or_b64 exec, exec, s[8:9]
	v_add_u32_e32 v3, 24, v8
	v_cmp_gt_i32_e64 s[6:7], s26, v3
	s_waitcnt vmcnt(0) lgkmcnt(0)
	ds_write_b64 v1, v[12:13] offset:4224
	s_and_saveexec_b64 s[8:9], s[6:7]
	s_cbranch_execz .LBB178_20
; %bb.19:
	s_mul_i32 s6, s22, 24
	s_ashr_i32 s7, s6, 31
	v_lshl_add_u64 v[10:11], s[6:7], 3, v[6:7]
	flat_load_dwordx2 v[10:11], v[10:11]
.LBB178_20:
	s_or_b64 exec, exec, s[8:9]
	s_waitcnt vmcnt(0) lgkmcnt(0)
	ds_write_b64 v1, v[10:11] offset:6336
	v_mov_b32_e32 v1, 0
	v_lshl_add_u64 v[6:7], v[6:7], 0, v[0:1]
	s_lshl_b64 s[6:7], s[26:27], 3
	v_mov_b32_e32 v1, s7
	v_subrev_co_u32_e64 v6, s[6:7], s6, v6
	s_nop 1
	v_subb_co_u32_e64 v7, s[6:7], v7, v1, s[6:7]
	v_lshl_add_u64 v[6:7], v[6:7], 0, 8
	v_cndmask_b32_e32 v5, v7, v5, vcc
	v_cndmask_b32_e32 v4, v6, v4, vcc
.LBB178_21:
	v_lshlrev_b32_e32 v9, 2, v8
	v_lshl_or_b32 v1, v2, 8, v0
	v_cmp_lt_u32_e64 s[8:9], v9, v2
	s_waitcnt lgkmcnt(0)
	s_barrier
	s_and_saveexec_b64 s[6:7], s[8:9]
	s_cbranch_execz .LBB178_23
; %bb.22:
	s_movk_i32 s10, 0x420
	v_mad_u32_u24 v3, v8, s10, v0
	ds_read_b64 v[6:7], v3
	v_lshl_add_u32 v3, v9, 3, v1
	s_waitcnt lgkmcnt(0)
	ds_write_b64 v3, v[6:7]
.LBB178_23:
	s_or_b64 exec, exec, s[6:7]
	v_or_b32_e32 v3, 1, v9
	v_cmp_lt_u32_e64 s[10:11], v3, v2
	s_and_saveexec_b64 s[6:7], s[10:11]
	s_cbranch_execz .LBB178_25
; %bb.24:
	s_movk_i32 s12, 0x108
	v_mad_u32_u24 v6, v3, s12, v0
	ds_read_b64 v[6:7], v6
	v_lshl_add_u32 v10, v9, 3, v1
	s_waitcnt lgkmcnt(0)
	ds_write_b64 v10, v[6:7] offset:8
.LBB178_25:
	s_or_b64 exec, exec, s[6:7]
	v_or_b32_e32 v6, 2, v9
	v_cmp_lt_u32_e64 s[12:13], v6, v2
	s_and_saveexec_b64 s[6:7], s[12:13]
	s_cbranch_execz .LBB178_27
; %bb.26:
	s_movk_i32 s14, 0x108
	v_mad_u32_u24 v6, v6, s14, v0
	ds_read_b64 v[6:7], v6
	v_lshl_add_u32 v10, v9, 3, v1
	s_waitcnt lgkmcnt(0)
	ds_write_b64 v10, v[6:7] offset:16
.LBB178_27:
	s_or_b64 exec, exec, s[6:7]
	v_or_b32_e32 v7, 3, v9
	v_cmp_lt_u32_e64 s[14:15], v7, v2
	v_cmp_ge_u32_e32 vcc, v7, v2
                                        ; implicit-def: $vgpr6
	s_and_saveexec_b64 s[6:7], vcc
	s_xor_b64 s[6:7], exec, s[6:7]
; %bb.28:
	v_mul_u32_u24_e32 v6, 0x108, v7
                                        ; implicit-def: $vgpr1
                                        ; implicit-def: $vgpr7
; %bb.29:
	s_andn2_saveexec_b64 s[6:7], s[6:7]
	s_cbranch_execz .LBB178_31
; %bb.30:
	s_movk_i32 s16, 0x108
	v_mad_u32_u24 v6, v7, s16, v0
	ds_read_b64 v[10:11], v6
	v_lshl_add_u32 v1, v9, 3, v1
	v_mul_u32_u24_e32 v6, 0x108, v7
	s_waitcnt lgkmcnt(0)
	ds_write_b64 v1, v[10:11] offset:24
.LBB178_31:
	s_or_b64 exec, exec, s[6:7]
	s_movk_i32 s6, 0x420
	v_mad_u32_u24 v1, v8, s6, v0
	s_movk_i32 s6, 0x108
	s_waitcnt lgkmcnt(0)
	s_barrier
	v_lshlrev_b32_e32 v11, 3, v9
	ds_read_b64 v[20:21], v1
	ds_read_b128 v[12:15], v11 offset:9088
	v_mad_u32_u24 v1, v3, s6, v0
	ds_read2_b64 v[24:27], v1 offset1:33
	v_add_u32_e32 v10, v0, v6
	ds_read_b128 v[28:31], v11 offset:9104
	ds_read_b64 v[6:7], v10
	s_waitcnt lgkmcnt(3)
	v_fma_f64 v[12:13], v[20:21], v[12:13], 0
	v_mul_u32_u24_e32 v1, 33, v2
	s_waitcnt lgkmcnt(2)
	v_fmac_f64_e32 v[12:13], v[24:25], v[14:15]
	s_waitcnt lgkmcnt(1)
	v_fmac_f64_e32 v[12:13], v[26:27], v[28:29]
	v_lshlrev_b32_e32 v23, 3, v1
	v_mov_b64_e32 v[36:37], 0
	s_waitcnt lgkmcnt(0)
	v_fmac_f64_e32 v[12:13], v[6:7], v[30:31]
	v_lshl_add_u32 v24, v8, 3, v23
	v_cmp_gt_u32_e64 s[6:7], 32, v22
	s_barrier
	ds_write_b64 v24, v[12:13]
	s_waitcnt lgkmcnt(0)
	s_barrier
	s_and_saveexec_b64 s[16:17], s[6:7]
	s_cbranch_execz .LBB178_33
; %bb.32:
	ds_read2_b64 v[12:15], v23 offset1:1
	ds_read2_b64 v[26:29], v23 offset0:2 offset1:3
	ds_read2_b64 v[36:39], v23 offset0:4 offset1:5
	s_waitcnt lgkmcnt(2)
	v_add_f64 v[6:7], v[12:13], v[14:15]
	ds_read2_b64 v[12:15], v23 offset0:6 offset1:7
	s_waitcnt lgkmcnt(2)
	v_add_f64 v[6:7], v[6:7], v[26:27]
	v_add_f64 v[6:7], v[6:7], v[28:29]
	s_waitcnt lgkmcnt(1)
	v_add_f64 v[6:7], v[6:7], v[36:37]
	v_add_f64 v[6:7], v[6:7], v[38:39]
	;; [unrolled: 3-line block ×3, first 2 shown]
.LBB178_33:
	s_or_b64 exec, exec, s[16:17]
	s_lshl_b32 s36, s22, 5
	s_ashr_i32 s37, s36, 31
	v_cndmask_b32_e64 v1, 0, 1, s[20:21]
	v_lshl_add_u64 v[6:7], s[36:37], 3, v[4:5]
	s_mov_b64 s[38:39], 0x100
	v_cmp_ne_u32_e64 s[16:17], 1, v1
	s_andn2_b64 vcc, exec, s[20:21]
	s_mov_b64 s[20:21], -1
	s_barrier
	s_cbranch_vccnz .LBB178_35
; %bb.34:
	s_lshl_b32 s20, s22, 3
	s_ashr_i32 s21, s20, 31
	s_ashr_i32 s23, s22, 31
	v_lshl_add_u64 v[4:5], s[20:21], 3, v[6:7]
	s_lshl_b64 s[20:21], s[22:23], 6
	v_lshl_add_u64 v[12:13], v[4:5], 0, s[20:21]
	v_lshl_add_u64 v[14:15], v[12:13], 0, s[20:21]
	flat_load_dwordx2 v[20:21], v[6:7] offset:256
	flat_load_dwordx2 v[26:27], v[4:5] offset:256
	;; [unrolled: 1-line block ×4, first 2 shown]
	s_movk_i32 s20, 0x108
	v_mad_u32_u24 v1, v8, s20, v0
	s_mov_b64 s[20:21], 0
	s_waitcnt vmcnt(0) lgkmcnt(0)
	ds_write_b64 v1, v[20:21]
	ds_write_b64 v1, v[26:27] offset:2112
	ds_write_b64 v1, v[28:29] offset:4224
	;; [unrolled: 1-line block ×3, first 2 shown]
.LBB178_35:
	s_andn2_b64 vcc, exec, s[20:21]
	v_lshl_add_u64 v[4:5], v[6:7], 0, s[38:39]
	s_cbranch_vccnz .LBB178_45
; %bb.36:
	v_sub_co_u32_e32 v6, vcc, v6, v0
	s_ashr_i32 s27, s26, 31
	s_nop 0
	v_subbrev_co_u32_e32 v7, vcc, 0, v7, vcc
	v_or_b32_e32 v1, 32, v2
	v_lshl_add_u64 v[6:7], s[26:27], 3, v[6:7]
	v_lshl_add_u64 v[6:7], v[6:7], 0, -8
	v_cmp_gt_i32_e32 vcc, s26, v1
	s_sub_i32 s23, s26, 32
	v_cmp_gt_i32_e64 s[20:21], s23, v8
	v_cndmask_b32_e32 v7, v7, v5, vcc
	v_cndmask_b32_e32 v6, v6, v4, vcc
	v_mov_b64_e32 v[12:13], 0
	v_mov_b64_e32 v[14:15], 0
	s_and_saveexec_b64 s[38:39], s[20:21]
	s_cbranch_execz .LBB178_38
; %bb.37:
	flat_load_dwordx2 v[14:15], v[6:7]
.LBB178_38:
	s_or_b64 exec, exec, s[38:39]
	s_movk_i32 s20, 0x108
	v_mad_u32_u24 v20, v8, s20, v0
	s_waitcnt vmcnt(0) lgkmcnt(0)
	ds_write_b64 v20, v[14:15]
	v_add_u32_e32 v14, 8, v8
	v_mul_u32_u24_e32 v1, 0x108, v8
	v_cmp_gt_i32_e64 s[20:21], s23, v14
	s_and_saveexec_b64 s[38:39], s[20:21]
	s_cbranch_execz .LBB178_40
; %bb.39:
	s_lshl_b32 s20, s22, 3
	s_ashr_i32 s21, s20, 31
	v_lshl_add_u64 v[12:13], s[20:21], 3, v[6:7]
	flat_load_dwordx2 v[12:13], v[12:13]
.LBB178_40:
	s_or_b64 exec, exec, s[38:39]
	v_add_u32_e32 v1, v1, v0
	s_waitcnt vmcnt(0) lgkmcnt(0)
	ds_write_b64 v1, v[12:13] offset:2112
	v_add_u32_e32 v12, 16, v8
	v_cmp_gt_i32_e64 s[20:21], s23, v12
	v_mov_b64_e32 v[12:13], 0
	v_mov_b64_e32 v[14:15], 0
	s_and_saveexec_b64 s[38:39], s[20:21]
	s_cbranch_execz .LBB178_42
; %bb.41:
	s_lshl_b32 s20, s22, 4
	s_ashr_i32 s21, s20, 31
	v_lshl_add_u64 v[14:15], s[20:21], 3, v[6:7]
	flat_load_dwordx2 v[14:15], v[14:15]
.LBB178_42:
	s_or_b64 exec, exec, s[38:39]
	s_waitcnt vmcnt(0) lgkmcnt(0)
	ds_write_b64 v1, v[14:15] offset:4224
	v_add_u32_e32 v14, 24, v8
	v_cmp_gt_i32_e64 s[20:21], s23, v14
	s_and_saveexec_b64 s[38:39], s[20:21]
	s_cbranch_execz .LBB178_44
; %bb.43:
	s_mul_i32 s20, s22, 24
	s_ashr_i32 s21, s20, 31
	v_lshl_add_u64 v[12:13], s[20:21], 3, v[6:7]
	flat_load_dwordx2 v[12:13], v[12:13]
.LBB178_44:
	s_or_b64 exec, exec, s[38:39]
	s_waitcnt vmcnt(0) lgkmcnt(0)
	ds_write_b64 v1, v[12:13] offset:6336
	v_mov_b32_e32 v1, 0
	v_lshl_add_u64 v[6:7], v[6:7], 0, v[0:1]
	s_lshl_b64 s[20:21], s[26:27], 3
	v_mov_b32_e32 v1, s21
	v_subrev_co_u32_e64 v6, s[20:21], s20, v6
	s_nop 1
	v_subb_co_u32_e64 v7, s[20:21], v7, v1, s[20:21]
	s_mov_b64 s[20:21], 0x108
	s_nop 0
	v_lshl_add_u64 v[6:7], v[6:7], 0, s[20:21]
	v_cndmask_b32_e32 v5, v7, v5, vcc
	v_cndmask_b32_e32 v4, v6, v4, vcc
.LBB178_45:
	v_mul_u32_u24_e32 v1, 0x420, v8
	v_add_u32_e32 v6, 0x2380, v11
	v_mul_u32_u24_e32 v3, 0x108, v3
	v_add_u32_e32 v1, v0, v1
	s_waitcnt lgkmcnt(0)
	s_barrier
	s_and_saveexec_b64 s[20:21], s[8:9]
	s_cbranch_execnz .LBB178_54
; %bb.46:
	s_or_b64 exec, exec, s[20:21]
	v_add_u32_e32 v3, v0, v3
	s_and_saveexec_b64 s[8:9], s[10:11]
	s_cbranch_execnz .LBB178_55
.LBB178_47:
	s_or_b64 exec, exec, s[8:9]
	s_and_saveexec_b64 s[8:9], s[12:13]
	s_cbranch_execnz .LBB178_56
.LBB178_48:
	s_or_b64 exec, exec, s[8:9]
	s_and_saveexec_b64 s[8:9], s[14:15]
	s_cbranch_execz .LBB178_50
.LBB178_49:
	ds_read_b64 v[12:13], v10
	v_lshl_add_u32 v7, v9, 3, v23
	s_waitcnt lgkmcnt(0)
	ds_write_b64 v7, v[12:13] offset:24
.LBB178_50:
	s_or_b64 exec, exec, s[8:9]
	s_waitcnt lgkmcnt(0)
	s_barrier
	ds_read_b64 v[20:21], v1
	ds_read_b128 v[12:15], v6 offset:256
	ds_read2_b64 v[26:29], v3 offset1:33
	ds_read_b128 v[38:41], v6 offset:272
	ds_read_b64 v[10:11], v10
	v_cmp_eq_u32_e64 s[8:9], 1, v8
	s_waitcnt lgkmcnt(3)
	v_fma_f64 v[12:13], v[20:21], v[12:13], 0
	s_waitcnt lgkmcnt(2)
	v_fmac_f64_e32 v[12:13], v[26:27], v[14:15]
	s_waitcnt lgkmcnt(1)
	v_fmac_f64_e32 v[12:13], v[28:29], v[38:39]
	;; [unrolled: 2-line block ×3, first 2 shown]
	s_barrier
	ds_write_b64 v24, v[12:13]
	s_waitcnt lgkmcnt(0)
	s_barrier
	s_and_saveexec_b64 s[10:11], s[8:9]
	s_cbranch_execz .LBB178_52
; %bb.51:
	ds_read2_b64 v[10:13], v23 offset1:1
	ds_read2_b64 v[26:29], v23 offset0:2 offset1:3
	ds_read2_b64 v[36:39], v23 offset0:4 offset1:5
	s_waitcnt lgkmcnt(2)
	v_add_f64 v[14:15], v[10:11], v[12:13]
	ds_read2_b64 v[10:13], v23 offset0:6 offset1:7
	s_waitcnt lgkmcnt(2)
	v_add_f64 v[14:15], v[14:15], v[26:27]
	v_add_f64 v[14:15], v[14:15], v[28:29]
	s_waitcnt lgkmcnt(1)
	v_add_f64 v[14:15], v[14:15], v[36:37]
	v_add_f64 v[14:15], v[14:15], v[38:39]
	;; [unrolled: 3-line block ×3, first 2 shown]
.LBB178_52:
	s_or_b64 exec, exec, s[10:11]
	s_lshl_b64 s[10:11], s[36:37], 3
	v_mov_b32_e32 v1, s11
	v_subrev_co_u32_e64 v20, s[10:11], s10, v4
	s_and_b64 vcc, exec, s[16:17]
	s_nop 0
	v_subb_co_u32_e64 v21, s[10:11], v5, v1, s[10:11]
	s_barrier
	s_cbranch_vccnz .LBB178_57
; %bb.53:
	s_lshl_b32 s10, s22, 3
	s_ashr_i32 s11, s10, 31
	s_ashr_i32 s23, s22, 31
	v_lshl_add_u64 v[4:5], s[10:11], 3, v[20:21]
	s_lshl_b64 s[10:11], s[22:23], 6
	v_lshl_add_u64 v[10:11], v[4:5], 0, s[10:11]
	v_lshl_add_u64 v[12:13], v[10:11], 0, s[10:11]
	flat_load_dwordx2 v[14:15], v[20:21]
	flat_load_dwordx2 v[26:27], v[4:5]
	;; [unrolled: 1-line block ×4, first 2 shown]
	s_movk_i32 s10, 0x108
	v_mov_b32_e32 v1, 0x840
	v_mov_b32_e32 v3, 0x1080
	;; [unrolled: 1-line block ×3, first 2 shown]
	v_mul_u32_u24_e32 v5, 0x108, v8
	v_add_u32_e32 v4, 8, v8
	v_add_u32_e32 v7, 16, v8
	;; [unrolled: 1-line block ×3, first 2 shown]
	v_mad_u32_u24 v25, v8, s10, v0
	v_mad_u32_u24 v10, v8, s10, v1
	;; [unrolled: 1-line block ×4, first 2 shown]
	v_add_u32_e32 v1, v0, v10
	v_add_u32_e32 v3, v0, v12
	;; [unrolled: 1-line block ×3, first 2 shown]
	s_waitcnt vmcnt(0) lgkmcnt(0)
	ds_write_b64 v25, v[14:15]
	ds_write_b64 v1, v[26:27]
	;; [unrolled: 1-line block ×4, first 2 shown]
	s_cbranch_execz .LBB178_58
	s_branch .LBB178_67
.LBB178_54:
	ds_read_b64 v[12:13], v1
	v_lshl_add_u32 v7, v9, 3, v23
	s_waitcnt lgkmcnt(0)
	ds_write_b64 v7, v[12:13]
	s_or_b64 exec, exec, s[20:21]
	v_add_u32_e32 v3, v0, v3
	s_and_saveexec_b64 s[8:9], s[10:11]
	s_cbranch_execz .LBB178_47
.LBB178_55:
	ds_read_b64 v[12:13], v3
	v_lshl_add_u32 v7, v9, 3, v23
	s_waitcnt lgkmcnt(0)
	ds_write_b64 v7, v[12:13] offset:8
	s_or_b64 exec, exec, s[8:9]
	s_and_saveexec_b64 s[8:9], s[12:13]
	s_cbranch_execz .LBB178_48
.LBB178_56:
	ds_read_b64 v[12:13], v3 offset:264
	v_lshl_add_u32 v7, v9, 3, v23
	s_waitcnt lgkmcnt(0)
	ds_write_b64 v7, v[12:13] offset:16
	s_or_b64 exec, exec, s[8:9]
	s_and_saveexec_b64 s[8:9], s[14:15]
	s_cbranch_execnz .LBB178_49
	s_branch .LBB178_50
.LBB178_57:
                                        ; implicit-def: $vgpr5
                                        ; implicit-def: $vgpr4
                                        ; implicit-def: $vgpr10
                                        ; implicit-def: $vgpr7
                                        ; implicit-def: $vgpr12
                                        ; implicit-def: $vgpr11
                                        ; implicit-def: $vgpr13
.LBB178_58:
	v_or_b32_e32 v1, 32, v2
	v_lshlrev_b32_e32 v2, 3, v1
	v_sub_co_u32_e32 v2, vcc, v20, v2
	s_ashr_i32 s27, s26, 31
	s_nop 0
	v_subbrev_co_u32_e32 v3, vcc, 0, v21, vcc
	v_lshl_add_u64 v[2:3], s[26:27], 3, v[2:3]
	v_lshl_add_u64 v[2:3], v[2:3], 0, -8
	v_cmp_gt_i32_e32 vcc, s26, v1
	v_cmp_gt_i32_e64 s[10:11], s26, v8
	v_mov_b64_e32 v[12:13], 0
	v_cndmask_b32_e32 v3, v3, v21, vcc
	v_cndmask_b32_e32 v2, v2, v20, vcc
	v_mov_b64_e32 v[10:11], 0
	s_and_saveexec_b64 s[12:13], s[10:11]
	s_cbranch_execz .LBB178_60
; %bb.59:
	flat_load_dwordx2 v[10:11], v[2:3]
.LBB178_60:
	s_or_b64 exec, exec, s[12:13]
	s_movk_i32 s10, 0x108
	v_add_u32_e32 v4, 8, v8
	v_mul_u32_u24_e32 v5, 0x108, v8
	v_mad_u32_u24 v1, v8, s10, v0
	v_cmp_gt_i32_e64 s[10:11], s26, v4
	s_waitcnt vmcnt(0) lgkmcnt(0)
	ds_write_b64 v1, v[10:11]
	s_and_saveexec_b64 s[12:13], s[10:11]
	s_cbranch_execz .LBB178_62
; %bb.61:
	s_lshl_b32 s10, s22, 3
	s_ashr_i32 s11, s10, 31
	v_lshl_add_u64 v[10:11], s[10:11], 3, v[2:3]
	flat_load_dwordx2 v[12:13], v[10:11]
.LBB178_62:
	s_or_b64 exec, exec, s[12:13]
	v_add_u32_e32 v10, 0x840, v5
	v_add_u32_e32 v7, 16, v8
	;; [unrolled: 1-line block ×3, first 2 shown]
	v_cmp_gt_i32_e64 s[10:11], s26, v7
	v_mov_b64_e32 v[14:15], 0
	v_mov_b64_e32 v[26:27], 0
	s_waitcnt vmcnt(0) lgkmcnt(0)
	ds_write_b64 v1, v[12:13]
	s_and_saveexec_b64 s[12:13], s[10:11]
	s_cbranch_execz .LBB178_64
; %bb.63:
	s_lshl_b32 s10, s22, 4
	s_ashr_i32 s11, s10, 31
	v_lshl_add_u64 v[12:13], s[10:11], 3, v[2:3]
	flat_load_dwordx2 v[26:27], v[12:13]
.LBB178_64:
	s_or_b64 exec, exec, s[12:13]
	v_add_u32_e32 v12, 0x840, v10
	v_add_u32_e32 v11, 24, v8
	;; [unrolled: 1-line block ×3, first 2 shown]
	v_cmp_gt_i32_e64 s[10:11], s26, v11
	s_waitcnt vmcnt(0) lgkmcnt(0)
	ds_write_b64 v1, v[26:27]
	s_and_saveexec_b64 s[12:13], s[10:11]
	s_cbranch_execz .LBB178_66
; %bb.65:
	s_mul_i32 s10, s22, 24
	s_ashr_i32 s11, s10, 31
	v_lshl_add_u64 v[14:15], s[10:11], 3, v[2:3]
	flat_load_dwordx2 v[14:15], v[14:15]
.LBB178_66:
	s_or_b64 exec, exec, s[12:13]
	v_add_u32_e32 v13, 0x840, v12
	v_add_u32_e32 v1, v0, v13
	s_waitcnt vmcnt(0) lgkmcnt(0)
	ds_write_b64 v1, v[14:15]
	v_mov_b32_e32 v1, 0
	v_lshl_add_u64 v[2:3], v[2:3], 0, v[0:1]
	s_lshl_b64 s[10:11], s[26:27], 3
	v_mov_b32_e32 v1, s11
	v_subrev_co_u32_e64 v2, s[10:11], s10, v2
	s_nop 1
	v_subb_co_u32_e64 v3, s[10:11], v3, v1, s[10:11]
	s_mov_b64 s[10:11], 0x108
	s_nop 0
	v_lshl_add_u64 v[2:3], v[2:3], 0, s[10:11]
	v_cndmask_b32_e32 v21, v3, v21, vcc
	v_cndmask_b32_e32 v20, v2, v20, vcc
.LBB178_67:
	v_add_u32_e32 v1, v0, v5
	v_lshlrev_b32_e32 v2, 3, v8
	v_add_u32_e32 v3, v0, v10
	v_lshlrev_b32_e32 v4, 3, v4
	s_waitcnt lgkmcnt(0)
	s_barrier
	ds_read_b64 v[26:27], v1
	ds_read_b64 v[28:29], v2 offset:9088
	ds_read_b64 v[30:31], v3
	ds_read_b64 v[38:39], v4 offset:9088
	v_add_u32_e32 v1, v0, v12
	v_lshlrev_b32_e32 v2, 3, v7
	v_add_u32_e32 v0, v0, v13
	v_lshlrev_b32_e32 v3, 3, v11
	v_lshl_add_u32 v4, v9, 3, v23
	ds_read_b64 v[40:41], v1
	ds_read_b64 v[42:43], v2 offset:9088
	ds_read_b64 v[44:45], v0
	ds_read_b64 v[46:47], v3 offset:9088
	ds_read_b128 v[8:11], v6 offset:256
	ds_read_b128 v[0:3], v6 offset:272
	ds_read2_b64 v[12:15], v4 offset1:1
	ds_read2_b64 v[4:7], v4 offset0:2 offset1:3
	s_waitcnt lgkmcnt(10)
	v_fma_f64 v[26:27], v[26:27], v[28:29], 0
	s_waitcnt lgkmcnt(8)
	v_fmac_f64_e32 v[26:27], v[30:31], v[38:39]
	s_waitcnt lgkmcnt(6)
	v_fmac_f64_e32 v[26:27], v[40:41], v[42:43]
	;; [unrolled: 2-line block ×3, first 2 shown]
	s_waitcnt lgkmcnt(0)
	s_barrier
	ds_write_b64 v24, v[26:27]
	s_waitcnt lgkmcnt(0)
	s_barrier
	s_and_saveexec_b64 s[10:11], s[8:9]
	s_cbranch_execz .LBB178_69
; %bb.68:
	ds_read2_b64 v[26:29], v23 offset1:1
	ds_read2_b64 v[38:41], v23 offset0:2 offset1:3
	ds_read2_b64 v[42:45], v23 offset0:4 offset1:5
	s_waitcnt lgkmcnt(2)
	v_add_f64 v[26:27], v[36:37], v[26:27]
	v_add_f64 v[30:31], v[26:27], v[28:29]
	ds_read2_b64 v[26:29], v23 offset0:6 offset1:7
	s_waitcnt lgkmcnt(2)
	v_add_f64 v[30:31], v[30:31], v[38:39]
	v_add_f64 v[30:31], v[30:31], v[40:41]
	s_waitcnt lgkmcnt(1)
	v_add_f64 v[30:31], v[30:31], v[42:43]
	v_add_f64 v[30:31], v[30:31], v[44:45]
	;; [unrolled: 3-line block ×3, first 2 shown]
.LBB178_69:
	s_or_b64 exec, exec, s[10:11]
	v_fma_f64 v[8:9], v[12:13], v[8:9], 0
	v_fmac_f64_e32 v[8:9], v[14:15], v[10:11]
	v_fmac_f64_e32 v[8:9], v[4:5], v[0:1]
	;; [unrolled: 1-line block ×3, first 2 shown]
	s_barrier
	ds_write_b64 v24, v[8:9]
	s_waitcnt lgkmcnt(0)
	s_barrier
	s_and_saveexec_b64 s[8:9], s[6:7]
	s_cbranch_execz .LBB178_71
; %bb.70:
	ds_read2_b64 v[0:3], v23 offset1:1
	ds_read2_b64 v[4:7], v23 offset0:2 offset1:3
	ds_read2_b64 v[8:11], v23 offset0:4 offset1:5
	s_waitcnt lgkmcnt(2)
	v_add_f64 v[0:1], v[36:37], v[0:1]
	v_add_f64 v[12:13], v[0:1], v[2:3]
	ds_read2_b64 v[0:3], v23 offset0:6 offset1:7
	s_waitcnt lgkmcnt(2)
	v_add_f64 v[4:5], v[12:13], v[4:5]
	v_add_f64 v[4:5], v[4:5], v[6:7]
	s_waitcnt lgkmcnt(1)
	v_add_f64 v[4:5], v[4:5], v[8:9]
	v_add_f64 v[4:5], v[4:5], v[10:11]
	;; [unrolled: 3-line block ×3, first 2 shown]
.LBB178_71:
	s_or_b64 exec, exec, s[8:9]
	s_load_dwordx2 s[0:1], s[0:1], 0x68
	s_mul_hi_u32 s6, s25, s24
	s_mul_i32 s40, s40, s24
	s_add_i32 s6, s6, s40
	s_mul_i32 s8, s25, s24
	s_mul_i32 s6, s6, s33
	s_mul_hi_u32 s7, s8, s33
	s_add_i32 s7, s7, s6
	s_mul_i32 s6, s8, s33
	s_lshl_b64 s[6:7], s[6:7], 3
	s_waitcnt lgkmcnt(0)
	s_add_u32 s6, s0, s6
	s_mul_i32 s0, s25, s2
	s_addc_u32 s7, s1, s7
	s_ashr_i32 s1, s0, 31
	s_lshl_b64 s[0:1], s[0:1], 3
	s_add_u32 s6, s6, s0
	v_cmp_le_i32_e32 vcc, s26, v34
	s_addc_u32 s7, s7, s1
	s_and_b64 vcc, s[34:35], vcc
	s_cmp_lt_i32 s2, 1
	v_lshlrev_b32_e32 v74, 3, v34
	s_barrier
	s_cbranch_scc1 .LBB178_78
; %bb.72:
	s_mul_i32 s0, s3, s28
	s_ashr_i32 s1, s0, 31
	s_lshl_b64 s[0:1], s[0:1], 3
	v_mov_b32_e32 v0, s1
	v_subrev_co_u32_e64 v38, s[0:1], s0, v16
	v_lshlrev_b64 v[2:3], 3, v[18:19]
	s_nop 0
	v_subb_co_u32_e64 v39, s[0:1], v17, v0, s[0:1]
	s_lshl_b64 s[0:1], s[30:31], 3
	s_nop 0
	v_mov_b32_e32 v1, s1
	v_subrev_co_u32_e64 v0, s[0:1], s0, v20
	s_ashr_i32 s27, s26, 31
	s_nop 0
	v_subb_co_u32_e64 v1, s[0:1], v21, v1, s[0:1]
	s_movk_i32 s0, 0xff00
	s_mov_b32 s1, -1
	v_lshl_add_u64 v[0:1], v[0:1], 0, s[0:1]
	v_sub_co_u32_e64 v0, s[0:1], v0, v2
	v_mul_lo_u32 v2, v33, s22
	v_lshl_add_u32 v2, v2, 2, v34
	v_subb_co_u32_e64 v1, s[0:1], v1, v3, s[0:1]
	v_ashrrev_i32_e32 v3, 31, v2
	v_lshl_add_u64 v[0:1], v[2:3], 3, v[0:1]
	v_sub_co_u32_e64 v2, s[0:1], v0, v74
	v_lshrrev_b32_e32 v4, 4, v22
	s_nop 0
	v_subbrev_co_u32_e64 v3, s[0:1], 0, v1, s[0:1]
	v_lshl_add_u64 v[2:3], s[26:27], 3, v[2:3]
	v_lshl_add_u64 v[2:3], v[2:3], 0, -8
	v_cndmask_b32_e32 v41, v1, v3, vcc
	v_cndmask_b32_e32 v40, v0, v2, vcc
	v_mov_b32_e32 v0, 0x2180
	v_and_b32_e32 v1, 48, v34
	v_and_b32_e32 v5, 15, v34
	v_lshl_add_u32 v76, v33, 5, v0
	v_lshlrev_b32_e32 v0, 5, v4
	s_movk_i32 s8, 0x218
	v_lshlrev_b32_e32 v1, 3, v1
	s_movk_i32 s0, 0x860
	v_mad_u32_u24 v79, v5, s8, v0
	v_mul_i32_i24_e32 v0, 0xffffffe8, v4
	v_mad_u32_u24 v80, v5, s8, v1
	v_or_b32_e32 v1, 0x78, v74
	s_ashr_i32 s23, s22, 31
	v_mov_b32_e32 v35, 0
	s_lshl_b32 s3, s3, 6
	v_add_u32_e32 v75, 0x2180, v74
	v_add_u32_e32 v77, 0x2380, v74
	v_mad_u32_u24 v78, v33, s0, v74
	v_cmp_gt_u32_e64 s[0:1], 64, v22
	v_mad_u32_u24 v81, v5, s8, v1
	s_lshl_b64 s[8:9], s[22:23], 3
	s_lshl_b64 s[10:11], s[22:23], 4
	s_lshl_b64 s[12:13], s[22:23], 9
	s_mul_hi_i32 s15, s22, 24
	s_mul_i32 s14, s22, 24
	s_lshl_b64 s[16:17], s[22:23], 7
	s_mul_hi_i32 s21, s22, 0x90
	s_mul_i32 s20, s22, 0x90
	s_mul_hi_i32 s25, s22, 0x98
	s_mul_i32 s24, s22, 0x98
	s_lshl_b64 s[26:27], s[22:23], 8
	s_mul_hi_i32 s29, s22, 0x110
	s_mul_i32 s28, s22, 0x110
	s_mul_hi_i32 s31, s22, 0x118
	s_mul_i32 s30, s22, 0x118
	;; [unrolled: 2-line block ×7, first 2 shown]
	s_mul_hi_i32 s23, s22, 0x88
	s_mulk_i32 s22, 0x88
	s_mov_b32 s44, 0
	v_add_u32_e32 v82, v79, v0
	s_branch .LBB178_74
.LBB178_73:                             ;   in Loop: Header=BB178_74 Depth=1
	s_or_b64 exec, exec, s[46:47]
	v_fmac_f64_e32 v[36:37], v[48:49], v[4:5]
	v_fmac_f64_e32 v[36:37], v[46:47], v[6:7]
	;; [unrolled: 1-line block ×15, first 2 shown]
	s_add_i32 s2, s2, -1
	s_add_i32 s44, s44, s3
	v_fmac_f64_e32 v[36:37], v[66:67], v[26:27]
	v_lshl_add_u64 v[40:41], v[40:41], 0, s[12:13]
	s_cmp_eq_u32 s2, 0
	v_add_u32_e32 v34, 64, v34
	s_barrier
	s_cbranch_scc1 .LBB178_78
.LBB178_74:                             ; =>This Inner Loop Header: Depth=1
	s_and_saveexec_b64 s[46:47], s[18:19]
	s_cbranch_execz .LBB178_76
; %bb.75:                               ;   in Loop: Header=BB178_74 Depth=1
	s_ashr_i32 s45, s44, 31
	v_lshl_add_u64 v[0:1], s[44:45], 3, v[38:39]
	flat_load_dwordx2 v[0:1], v[0:1]
	s_waitcnt vmcnt(0) lgkmcnt(0)
	ds_write_b64 v75, v[0:1]
.LBB178_76:                             ;   in Loop: Header=BB178_74 Depth=1
	s_or_b64 exec, exec, s[46:47]
	s_waitcnt lgkmcnt(0)
	s_barrier
	v_lshl_add_u64 v[0:1], v[40:41], 0, s[8:9]
	v_lshl_add_u64 v[2:3], v[40:41], 0, s[10:11]
	;; [unrolled: 1-line block ×3, first 2 shown]
	flat_load_dwordx2 v[48:49], v[40:41]
	flat_load_dwordx2 v[46:47], v[0:1]
	;; [unrolled: 1-line block ×4, first 2 shown]
	ds_read_b64 v[8:9], v77
	ds_read_b128 v[4:7], v76
	ds_read_b128 v[0:3], v76 offset:16
	v_lshl_add_u64 v[10:11], v[40:41], 0, s[16:17]
	v_lshl_add_u64 v[12:13], v[40:41], 0, s[22:23]
	;; [unrolled: 1-line block ×9, first 2 shown]
	s_waitcnt vmcnt(0) lgkmcnt(0)
	v_mul_f64 v[18:19], v[48:49], v[8:9]
	v_mul_f64 v[20:21], v[46:47], v[8:9]
	;; [unrolled: 1-line block ×4, first 2 shown]
	ds_write2_b64 v78, v[18:19], v[20:21] offset1:67
	ds_write2_b64 v78, v[22:23], v[8:9] offset0:134 offset1:201
	s_waitcnt lgkmcnt(0)
	s_barrier
	ds_read2_b64 v[24:27], v79 offset1:1
	ds_read2_b64 v[28:31], v79 offset0:2 offset1:3
	s_waitcnt lgkmcnt(0)
	s_barrier
	flat_load_dwordx2 v[56:57], v[10:11]
	flat_load_dwordx2 v[54:55], v[12:13]
	;; [unrolled: 1-line block ×4, first 2 shown]
	ds_read_b64 v[20:21], v77
	v_lshl_add_u64 v[16:17], v[40:41], 0, s[26:27]
	v_lshl_add_u64 v[18:19], v[40:41], 0, s[42:43]
	;; [unrolled: 1-line block ×3, first 2 shown]
	ds_read_b128 v[12:15], v76 offset:128
	ds_read_b128 v[8:11], v76 offset:144
	v_add_f64 v[24:25], v[24:25], 0
	v_add_f64 v[24:25], v[24:25], v[26:27]
	;; [unrolled: 1-line block ×3, first 2 shown]
	s_waitcnt vmcnt(0) lgkmcnt(0)
	v_mul_f64 v[58:59], v[56:57], v[20:21]
	v_mul_f64 v[60:61], v[54:55], v[20:21]
	;; [unrolled: 1-line block ×4, first 2 shown]
	ds_write2_b64 v78, v[58:59], v[60:61] offset1:67
	ds_write2_b64 v78, v[62:63], v[20:21] offset0:134 offset1:201
	s_waitcnt lgkmcnt(0)
	s_barrier
	ds_read2_b64 v[84:87], v79 offset1:1
	ds_read2_b64 v[88:91], v79 offset0:2 offset1:3
	s_waitcnt lgkmcnt(0)
	s_barrier
	flat_load_dwordx2 v[64:65], v[16:17]
	flat_load_dwordx2 v[62:63], v[18:19]
	flat_load_dwordx2 v[60:61], v[22:23]
	flat_load_dwordx2 v[58:59], v[66:67]
	ds_read_b64 v[66:67], v77
	ds_read_b128 v[20:23], v76 offset:256
	ds_read_b128 v[16:19], v76 offset:272
	s_waitcnt vmcnt(0) lgkmcnt(0)
	v_mul_f64 v[68:69], v[64:65], v[66:67]
	v_mul_f64 v[70:71], v[62:63], v[66:67]
	;; [unrolled: 1-line block ×4, first 2 shown]
	ds_write2_b64 v78, v[68:69], v[70:71] offset1:67
	ds_write2_b64 v78, v[72:73], v[66:67] offset0:134 offset1:201
	s_waitcnt lgkmcnt(0)
	s_barrier
	ds_read2_b64 v[92:95], v79 offset1:1
	ds_read2_b64 v[96:99], v79 offset0:2 offset1:3
	s_waitcnt lgkmcnt(0)
	s_barrier
	flat_load_dwordx2 v[72:73], v[100:101]
	flat_load_dwordx2 v[70:71], v[102:103]
	;; [unrolled: 1-line block ×4, first 2 shown]
	v_add_f64 v[100:101], v[24:25], v[30:31]
	v_add_f64 v[24:25], v[84:85], 0
	;; [unrolled: 1-line block ×5, first 2 shown]
	ds_read_b64 v[84:85], v77
	ds_read_b128 v[28:31], v76 offset:384
	ds_read_b128 v[24:27], v76 offset:400
	v_add_f64 v[86:87], v[92:93], 0
	v_add_f64 v[86:87], v[86:87], v[94:95]
	;; [unrolled: 1-line block ×4, first 2 shown]
	s_waitcnt vmcnt(0) lgkmcnt(0)
	v_mul_f64 v[86:87], v[72:73], v[84:85]
	v_mul_f64 v[88:89], v[70:71], v[84:85]
	;; [unrolled: 1-line block ×4, first 2 shown]
	ds_write2_b64 v78, v[86:87], v[88:89] offset1:67
	ds_write2_b64 v78, v[90:91], v[84:85] offset0:134 offset1:201
	s_waitcnt lgkmcnt(0)
	s_barrier
	ds_read2_b64 v[84:87], v79 offset1:1
	ds_read2_b64 v[88:91], v79 offset0:2 offset1:3
	s_waitcnt lgkmcnt(0)
	s_barrier
	v_add_f64 v[84:85], v[84:85], 0
	v_add_f64 v[84:85], v[84:85], v[86:87]
	;; [unrolled: 1-line block ×4, first 2 shown]
	ds_write2_b64 v82, v[100:101], v[102:103] offset1:16
	ds_write2_b64 v82, v[92:93], v[84:85] offset0:32 offset1:48
	s_waitcnt lgkmcnt(0)
	s_barrier
	s_and_saveexec_b64 s[46:47], s[0:1]
	s_cbranch_execz .LBB178_73
; %bb.77:                               ;   in Loop: Header=BB178_74 Depth=1
	ds_read2_b64 v[84:87], v80 offset1:1
	ds_read2_b64 v[88:91], v80 offset0:2 offset1:3
	ds_read2_b64 v[92:95], v80 offset0:4 offset1:5
	;; [unrolled: 1-line block ×4, first 2 shown]
	s_waitcnt lgkmcnt(4)
	v_add_f64 v[84:85], v[84:85], v[86:87]
	s_waitcnt lgkmcnt(3)
	v_add_f64 v[84:85], v[84:85], v[88:89]
	v_add_f64 v[84:85], v[84:85], v[90:91]
	s_waitcnt lgkmcnt(2)
	v_add_f64 v[84:85], v[84:85], v[92:93]
	;; [unrolled: 3-line block ×3, first 2 shown]
	ds_read2_b64 v[84:87], v80 offset0:10 offset1:11
	v_add_f64 v[88:89], v[88:89], v[98:99]
	s_waitcnt lgkmcnt(1)
	v_add_f64 v[88:89], v[88:89], v[100:101]
	v_add_f64 v[92:93], v[88:89], v[102:103]
	ds_read2_b64 v[88:91], v80 offset0:12 offset1:13
	s_waitcnt lgkmcnt(1)
	v_add_f64 v[84:85], v[92:93], v[84:85]
	ds_read_b64 v[92:93], v80 offset:112
	ds_read_b64 v[94:95], v81
	v_add_f64 v[84:85], v[84:85], v[86:87]
	v_lshl_add_u64 v[86:87], v[34:35], 3, s[6:7]
	s_waitcnt lgkmcnt(2)
	v_add_f64 v[84:85], v[84:85], v[88:89]
	v_add_f64 v[84:85], v[84:85], v[90:91]
	s_waitcnt lgkmcnt(1)
	v_add_f64 v[84:85], v[84:85], v[92:93]
	s_waitcnt lgkmcnt(0)
	v_add_f64 v[84:85], v[84:85], v[94:95]
	global_store_dwordx2 v[86:87], v[84:85], off
	s_branch .LBB178_73
.LBB178_78:
	s_movk_i32 s0, 0x218
	v_mad_u32_u24 v0, v33, s0, v74
	s_nor_b64 s[0:1], s[4:5], vcc
	ds_write_b64 v0, v[36:37]
	s_waitcnt lgkmcnt(0)
	s_barrier
	s_and_saveexec_b64 s[2:3], s[0:1]
	s_cbranch_execz .LBB178_80
; %bb.79:
	ds_read2_b64 v[0:3], v74 offset1:67
	ds_read2_b64 v[4:7], v74 offset0:134 offset1:201
	v_ashrrev_i32_e32 v33, 31, v32
	s_waitcnt lgkmcnt(1)
	v_add_f64 v[0:1], v[0:1], v[2:3]
	s_waitcnt lgkmcnt(0)
	v_add_f64 v[0:1], v[0:1], v[4:5]
	v_add_f64 v[0:1], v[0:1], v[6:7]
	v_lshl_add_u64 v[2:3], v[32:33], 3, s[6:7]
	global_store_dwordx2 v[2:3], v[0:1], off
.LBB178_80:
	s_endpgm
	.section	.rodata,"a",@progbits
	.p2align	6, 0x0
	.amdhsa_kernel _ZL26rocblas_hemvn_kernel_lowerILb0ELi64ELi4ELi33ELi32ELi16EidPKPKdPdEviT6_lT7_lT5_lS6_lS7_lS5_lT8_i
		.amdhsa_group_segment_fixed_size 9600
		.amdhsa_private_segment_fixed_size 0
		.amdhsa_kernarg_size 376
		.amdhsa_user_sgpr_count 2
		.amdhsa_user_sgpr_dispatch_ptr 0
		.amdhsa_user_sgpr_queue_ptr 0
		.amdhsa_user_sgpr_kernarg_segment_ptr 1
		.amdhsa_user_sgpr_dispatch_id 0
		.amdhsa_user_sgpr_kernarg_preload_length 0
		.amdhsa_user_sgpr_kernarg_preload_offset 0
		.amdhsa_user_sgpr_private_segment_size 0
		.amdhsa_uses_dynamic_stack 0
		.amdhsa_enable_private_segment 0
		.amdhsa_system_sgpr_workgroup_id_x 1
		.amdhsa_system_sgpr_workgroup_id_y 0
		.amdhsa_system_sgpr_workgroup_id_z 1
		.amdhsa_system_sgpr_workgroup_info 0
		.amdhsa_system_vgpr_workitem_id 1
		.amdhsa_next_free_vgpr 108
		.amdhsa_next_free_sgpr 48
		.amdhsa_accum_offset 108
		.amdhsa_reserve_vcc 1
		.amdhsa_float_round_mode_32 0
		.amdhsa_float_round_mode_16_64 0
		.amdhsa_float_denorm_mode_32 3
		.amdhsa_float_denorm_mode_16_64 3
		.amdhsa_dx10_clamp 1
		.amdhsa_ieee_mode 1
		.amdhsa_fp16_overflow 0
		.amdhsa_tg_split 0
		.amdhsa_exception_fp_ieee_invalid_op 0
		.amdhsa_exception_fp_denorm_src 0
		.amdhsa_exception_fp_ieee_div_zero 0
		.amdhsa_exception_fp_ieee_overflow 0
		.amdhsa_exception_fp_ieee_underflow 0
		.amdhsa_exception_fp_ieee_inexact 0
		.amdhsa_exception_int_div_zero 0
	.end_amdhsa_kernel
	.section	.text._ZL26rocblas_hemvn_kernel_lowerILb0ELi64ELi4ELi33ELi32ELi16EidPKPKdPdEviT6_lT7_lT5_lS6_lS7_lS5_lT8_i,"axG",@progbits,_ZL26rocblas_hemvn_kernel_lowerILb0ELi64ELi4ELi33ELi32ELi16EidPKPKdPdEviT6_lT7_lT5_lS6_lS7_lS5_lT8_i,comdat
.Lfunc_end178:
	.size	_ZL26rocblas_hemvn_kernel_lowerILb0ELi64ELi4ELi33ELi32ELi16EidPKPKdPdEviT6_lT7_lT5_lS6_lS7_lS5_lT8_i, .Lfunc_end178-_ZL26rocblas_hemvn_kernel_lowerILb0ELi64ELi4ELi33ELi32ELi16EidPKPKdPdEviT6_lT7_lT5_lS6_lS7_lS5_lT8_i
                                        ; -- End function
	.set _ZL26rocblas_hemvn_kernel_lowerILb0ELi64ELi4ELi33ELi32ELi16EidPKPKdPdEviT6_lT7_lT5_lS6_lS7_lS5_lT8_i.num_vgpr, 108
	.set _ZL26rocblas_hemvn_kernel_lowerILb0ELi64ELi4ELi33ELi32ELi16EidPKPKdPdEviT6_lT7_lT5_lS6_lS7_lS5_lT8_i.num_agpr, 0
	.set _ZL26rocblas_hemvn_kernel_lowerILb0ELi64ELi4ELi33ELi32ELi16EidPKPKdPdEviT6_lT7_lT5_lS6_lS7_lS5_lT8_i.numbered_sgpr, 48
	.set _ZL26rocblas_hemvn_kernel_lowerILb0ELi64ELi4ELi33ELi32ELi16EidPKPKdPdEviT6_lT7_lT5_lS6_lS7_lS5_lT8_i.num_named_barrier, 0
	.set _ZL26rocblas_hemvn_kernel_lowerILb0ELi64ELi4ELi33ELi32ELi16EidPKPKdPdEviT6_lT7_lT5_lS6_lS7_lS5_lT8_i.private_seg_size, 0
	.set _ZL26rocblas_hemvn_kernel_lowerILb0ELi64ELi4ELi33ELi32ELi16EidPKPKdPdEviT6_lT7_lT5_lS6_lS7_lS5_lT8_i.uses_vcc, 1
	.set _ZL26rocblas_hemvn_kernel_lowerILb0ELi64ELi4ELi33ELi32ELi16EidPKPKdPdEviT6_lT7_lT5_lS6_lS7_lS5_lT8_i.uses_flat_scratch, 0
	.set _ZL26rocblas_hemvn_kernel_lowerILb0ELi64ELi4ELi33ELi32ELi16EidPKPKdPdEviT6_lT7_lT5_lS6_lS7_lS5_lT8_i.has_dyn_sized_stack, 0
	.set _ZL26rocblas_hemvn_kernel_lowerILb0ELi64ELi4ELi33ELi32ELi16EidPKPKdPdEviT6_lT7_lT5_lS6_lS7_lS5_lT8_i.has_recursion, 0
	.set _ZL26rocblas_hemvn_kernel_lowerILb0ELi64ELi4ELi33ELi32ELi16EidPKPKdPdEviT6_lT7_lT5_lS6_lS7_lS5_lT8_i.has_indirect_call, 0
	.section	.AMDGPU.csdata,"",@progbits
; Kernel info:
; codeLenInByte = 5756
; TotalNumSgprs: 54
; NumVgprs: 108
; NumAgprs: 0
; TotalNumVgprs: 108
; ScratchSize: 0
; MemoryBound: 0
; FloatMode: 240
; IeeeMode: 1
; LDSByteSize: 9600 bytes/workgroup (compile time only)
; SGPRBlocks: 6
; VGPRBlocks: 13
; NumSGPRsForWavesPerEU: 54
; NumVGPRsForWavesPerEU: 108
; AccumOffset: 108
; Occupancy: 4
; WaveLimiterHint : 1
; COMPUTE_PGM_RSRC2:SCRATCH_EN: 0
; COMPUTE_PGM_RSRC2:USER_SGPR: 2
; COMPUTE_PGM_RSRC2:TRAP_HANDLER: 0
; COMPUTE_PGM_RSRC2:TGID_X_EN: 1
; COMPUTE_PGM_RSRC2:TGID_Y_EN: 0
; COMPUTE_PGM_RSRC2:TGID_Z_EN: 1
; COMPUTE_PGM_RSRC2:TIDIG_COMP_CNT: 1
; COMPUTE_PGM_RSRC3_GFX90A:ACCUM_OFFSET: 26
; COMPUTE_PGM_RSRC3_GFX90A:TG_SPLIT: 0
	.section	.text._ZL36rocblas_hemvn_kernel_lower_block_sumILi64EidPKPddEviT1_lS3_lT2_lT0_lPT3_i,"axG",@progbits,_ZL36rocblas_hemvn_kernel_lower_block_sumILi64EidPKPddEviT1_lS3_lT2_lT0_lPT3_i,comdat
	.globl	_ZL36rocblas_hemvn_kernel_lower_block_sumILi64EidPKPddEviT1_lS3_lT2_lT0_lPT3_i ; -- Begin function _ZL36rocblas_hemvn_kernel_lower_block_sumILi64EidPKPddEviT1_lS3_lT2_lT0_lPT3_i
	.p2align	8
	.type	_ZL36rocblas_hemvn_kernel_lower_block_sumILi64EidPKPddEviT1_lS3_lT2_lT0_lPT3_i,@function
_ZL36rocblas_hemvn_kernel_lower_block_sumILi64EidPKPddEviT1_lS3_lT2_lT0_lPT3_i: ; @_ZL36rocblas_hemvn_kernel_lower_block_sumILi64EidPKPddEviT1_lS3_lT2_lT0_lPT3_i
; %bb.0:
	s_load_dwordx2 s[8:9], s[0:1], 0x8
	s_load_dwordx2 s[10:11], s[0:1], 0x18
	s_waitcnt lgkmcnt(0)
	v_cmp_eq_f64_e64 s[4:5], s[8:9], 0
	v_cmp_eq_f64_e64 s[6:7], s[10:11], 1.0
	s_and_b64 s[4:5], s[4:5], s[6:7]
	s_and_b64 vcc, exec, s[4:5]
	s_cbranch_vccnz .LBB179_19
; %bb.1:
	s_mov_b32 s14, s3
	s_load_dwordx4 s[4:7], s[0:1], 0x28
	s_load_dword s3, s[0:1], 0x38
	s_load_dword s16, s[0:1], 0x0
	s_mov_b32 s15, 0
	s_lshl_b64 s[12:13], s[14:15], 3
	s_waitcnt lgkmcnt(0)
	s_add_u32 s4, s4, s12
	s_addc_u32 s5, s5, s13
	s_load_dwordx2 s[4:5], s[4:5], 0x0
	s_lshl_b64 s[6:7], s[6:7], 3
	v_lshl_or_b32 v6, s2, 6, v0
	v_cmp_neq_f64_e64 s[18:19], s[8:9], 0
	s_mov_b64 s[12:13], 0
	s_waitcnt lgkmcnt(0)
	s_add_u32 s6, s4, s6
	s_addc_u32 s7, s5, s7
	s_and_b64 vcc, exec, s[18:19]
	v_cmp_gt_i32_e64 s[4:5], s16, v6
	s_cbranch_vccnz .LBB179_6
; %bb.2:
	s_mov_b64 s[18:19], 0
                                        ; implicit-def: $vgpr2_vgpr3
                                        ; implicit-def: $vgpr0_vgpr1
	s_and_saveexec_b64 s[20:21], s[4:5]
	s_cbranch_execz .LBB179_7
; %bb.3:
	v_cmp_eq_f64_e64 s[4:5], s[10:11], 0
	v_mul_lo_u32 v0, s3, v6
	v_mov_b64_e32 v[2:3], 0
	v_ashrrev_i32_e32 v1, 31, v0
	s_and_b64 vcc, exec, s[4:5]
	s_cbranch_vccnz .LBB179_5
; %bb.4:
	v_lshl_add_u64 v[2:3], v[0:1], 3, s[6:7]
	flat_load_dwordx2 v[2:3], v[2:3]
	s_waitcnt vmcnt(0) lgkmcnt(0)
	v_mul_f64 v[2:3], s[10:11], v[2:3]
.LBB179_5:
	s_mov_b64 s[12:13], exec
	s_or_b64 exec, exec, s[20:21]
	s_and_b64 vcc, exec, s[18:19]
	s_cbranch_vccnz .LBB179_8
	s_branch .LBB179_17
.LBB179_6:
                                        ; implicit-def: $vgpr2_vgpr3
                                        ; implicit-def: $vgpr0_vgpr1
	s_cbranch_execnz .LBB179_8
	s_branch .LBB179_17
.LBB179_7:
	s_or_b64 exec, exec, s[20:21]
	s_and_b64 vcc, exec, s[18:19]
	s_cbranch_vccz .LBB179_17
.LBB179_8:
	v_cmp_gt_i32_e32 vcc, s16, v6
                                        ; implicit-def: $vgpr2_vgpr3
                                        ; implicit-def: $vgpr0_vgpr1
	s_and_saveexec_b64 s[4:5], vcc
	s_cbranch_execz .LBB179_16
; %bb.9:
	s_load_dword s15, s[0:1], 0x58
	v_mov_b64_e32 v[4:5], 0
	s_waitcnt lgkmcnt(0)
	s_cmp_ge_i32 s2, s15
	s_cbranch_scc1 .LBB179_12
; %bb.10:
	s_ashr_i32 s17, s16, 31
	s_mul_i32 s18, s16, s2
	s_load_dwordx2 s[0:1], s[0:1], 0x48
	v_add_u32_e32 v0, s18, v6
	s_mul_hi_u32 s18, s16, s14
	s_mul_i32 s19, s17, s14
	s_add_i32 s18, s18, s19
	s_mul_i32 s14, s16, s14
	s_mul_i32 s18, s18, s15
	s_mul_hi_u32 s19, s14, s15
	s_add_i32 s19, s19, s18
	s_mul_i32 s18, s14, s15
	s_lshl_b64 s[18:19], s[18:19], 3
	s_waitcnt lgkmcnt(0)
	s_add_u32 s0, s0, s18
	v_ashrrev_i32_e32 v1, 31, v0
	s_addc_u32 s1, s1, s19
	v_lshl_add_u64 v[0:1], v[0:1], 3, s[0:1]
	s_lshl_b64 s[0:1], s[16:17], 3
	v_mov_b64_e32 v[4:5], 0
.LBB179_11:                             ; =>This Inner Loop Header: Depth=1
	global_load_dwordx2 v[2:3], v[0:1], off
	s_add_i32 s2, s2, 1
	v_lshl_add_u64 v[0:1], v[0:1], 0, s[0:1]
	s_cmp_ge_i32 s2, s15
	s_waitcnt vmcnt(0)
	v_add_f64 v[4:5], v[4:5], v[2:3]
	s_cbranch_scc0 .LBB179_11
.LBB179_12:
	v_cmp_eq_f64_e64 s[14:15], s[10:11], 0
	v_mul_lo_u32 v0, s3, v6
	s_mov_b64 s[0:1], 0
	s_and_b64 vcc, exec, s[14:15]
	v_ashrrev_i32_e32 v1, 31, v0
	s_cbranch_vccz .LBB179_20
; %bb.13:
	v_mul_f64 v[2:3], s[8:9], v[4:5]
	s_andn2_b64 vcc, exec, s[0:1]
	s_cbranch_vccnz .LBB179_15
.LBB179_14:
	v_lshl_add_u64 v[2:3], v[0:1], 3, s[6:7]
	flat_load_dwordx2 v[2:3], v[2:3]
	s_waitcnt vmcnt(0) lgkmcnt(0)
	v_mul_f64 v[2:3], s[10:11], v[2:3]
	v_fmac_f64_e32 v[2:3], s[8:9], v[4:5]
.LBB179_15:
	s_or_b64 s[12:13], s[12:13], exec
.LBB179_16:
	s_or_b64 exec, exec, s[4:5]
.LBB179_17:
	s_and_saveexec_b64 s[0:1], s[12:13]
	s_cbranch_execz .LBB179_19
; %bb.18:
	v_lshl_add_u64 v[0:1], v[0:1], 3, s[6:7]
	flat_store_dwordx2 v[0:1], v[2:3]
.LBB179_19:
	s_endpgm
.LBB179_20:
                                        ; implicit-def: $vgpr2_vgpr3
	s_branch .LBB179_14
	.section	.rodata,"a",@progbits
	.p2align	6, 0x0
	.amdhsa_kernel _ZL36rocblas_hemvn_kernel_lower_block_sumILi64EidPKPddEviT1_lS3_lT2_lT0_lPT3_i
		.amdhsa_group_segment_fixed_size 0
		.amdhsa_private_segment_fixed_size 0
		.amdhsa_kernarg_size 344
		.amdhsa_user_sgpr_count 2
		.amdhsa_user_sgpr_dispatch_ptr 0
		.amdhsa_user_sgpr_queue_ptr 0
		.amdhsa_user_sgpr_kernarg_segment_ptr 1
		.amdhsa_user_sgpr_dispatch_id 0
		.amdhsa_user_sgpr_kernarg_preload_length 0
		.amdhsa_user_sgpr_kernarg_preload_offset 0
		.amdhsa_user_sgpr_private_segment_size 0
		.amdhsa_uses_dynamic_stack 0
		.amdhsa_enable_private_segment 0
		.amdhsa_system_sgpr_workgroup_id_x 1
		.amdhsa_system_sgpr_workgroup_id_y 0
		.amdhsa_system_sgpr_workgroup_id_z 1
		.amdhsa_system_sgpr_workgroup_info 0
		.amdhsa_system_vgpr_workitem_id 0
		.amdhsa_next_free_vgpr 7
		.amdhsa_next_free_sgpr 22
		.amdhsa_accum_offset 8
		.amdhsa_reserve_vcc 1
		.amdhsa_float_round_mode_32 0
		.amdhsa_float_round_mode_16_64 0
		.amdhsa_float_denorm_mode_32 3
		.amdhsa_float_denorm_mode_16_64 3
		.amdhsa_dx10_clamp 1
		.amdhsa_ieee_mode 1
		.amdhsa_fp16_overflow 0
		.amdhsa_tg_split 0
		.amdhsa_exception_fp_ieee_invalid_op 0
		.amdhsa_exception_fp_denorm_src 0
		.amdhsa_exception_fp_ieee_div_zero 0
		.amdhsa_exception_fp_ieee_overflow 0
		.amdhsa_exception_fp_ieee_underflow 0
		.amdhsa_exception_fp_ieee_inexact 0
		.amdhsa_exception_int_div_zero 0
	.end_amdhsa_kernel
	.section	.text._ZL36rocblas_hemvn_kernel_lower_block_sumILi64EidPKPddEviT1_lS3_lT2_lT0_lPT3_i,"axG",@progbits,_ZL36rocblas_hemvn_kernel_lower_block_sumILi64EidPKPddEviT1_lS3_lT2_lT0_lPT3_i,comdat
.Lfunc_end179:
	.size	_ZL36rocblas_hemvn_kernel_lower_block_sumILi64EidPKPddEviT1_lS3_lT2_lT0_lPT3_i, .Lfunc_end179-_ZL36rocblas_hemvn_kernel_lower_block_sumILi64EidPKPddEviT1_lS3_lT2_lT0_lPT3_i
                                        ; -- End function
	.set _ZL36rocblas_hemvn_kernel_lower_block_sumILi64EidPKPddEviT1_lS3_lT2_lT0_lPT3_i.num_vgpr, 7
	.set _ZL36rocblas_hemvn_kernel_lower_block_sumILi64EidPKPddEviT1_lS3_lT2_lT0_lPT3_i.num_agpr, 0
	.set _ZL36rocblas_hemvn_kernel_lower_block_sumILi64EidPKPddEviT1_lS3_lT2_lT0_lPT3_i.numbered_sgpr, 22
	.set _ZL36rocblas_hemvn_kernel_lower_block_sumILi64EidPKPddEviT1_lS3_lT2_lT0_lPT3_i.num_named_barrier, 0
	.set _ZL36rocblas_hemvn_kernel_lower_block_sumILi64EidPKPddEviT1_lS3_lT2_lT0_lPT3_i.private_seg_size, 0
	.set _ZL36rocblas_hemvn_kernel_lower_block_sumILi64EidPKPddEviT1_lS3_lT2_lT0_lPT3_i.uses_vcc, 1
	.set _ZL36rocblas_hemvn_kernel_lower_block_sumILi64EidPKPddEviT1_lS3_lT2_lT0_lPT3_i.uses_flat_scratch, 0
	.set _ZL36rocblas_hemvn_kernel_lower_block_sumILi64EidPKPddEviT1_lS3_lT2_lT0_lPT3_i.has_dyn_sized_stack, 0
	.set _ZL36rocblas_hemvn_kernel_lower_block_sumILi64EidPKPddEviT1_lS3_lT2_lT0_lPT3_i.has_recursion, 0
	.set _ZL36rocblas_hemvn_kernel_lower_block_sumILi64EidPKPddEviT1_lS3_lT2_lT0_lPT3_i.has_indirect_call, 0
	.section	.AMDGPU.csdata,"",@progbits
; Kernel info:
; codeLenInByte = 552
; TotalNumSgprs: 28
; NumVgprs: 7
; NumAgprs: 0
; TotalNumVgprs: 7
; ScratchSize: 0
; MemoryBound: 0
; FloatMode: 240
; IeeeMode: 1
; LDSByteSize: 0 bytes/workgroup (compile time only)
; SGPRBlocks: 3
; VGPRBlocks: 0
; NumSGPRsForWavesPerEU: 28
; NumVGPRsForWavesPerEU: 7
; AccumOffset: 8
; Occupancy: 8
; WaveLimiterHint : 1
; COMPUTE_PGM_RSRC2:SCRATCH_EN: 0
; COMPUTE_PGM_RSRC2:USER_SGPR: 2
; COMPUTE_PGM_RSRC2:TRAP_HANDLER: 0
; COMPUTE_PGM_RSRC2:TGID_X_EN: 1
; COMPUTE_PGM_RSRC2:TGID_Y_EN: 0
; COMPUTE_PGM_RSRC2:TGID_Z_EN: 1
; COMPUTE_PGM_RSRC2:TIDIG_COMP_CNT: 0
; COMPUTE_PGM_RSRC3_GFX90A:ACCUM_OFFSET: 1
; COMPUTE_PGM_RSRC3_GFX90A:TG_SPLIT: 0
	.section	.text._ZL26rocblas_hemvn_kernel_upperILb0ELi64ELi4ELi33ELi32ELi16ElPK19rocblas_complex_numIfEPKS3_PS1_EviT6_lT7_lT5_lS8_lS9_lS7_lT8_i,"axG",@progbits,_ZL26rocblas_hemvn_kernel_upperILb0ELi64ELi4ELi33ELi32ELi16ElPK19rocblas_complex_numIfEPKS3_PS1_EviT6_lT7_lT5_lS8_lS9_lS7_lT8_i,comdat
	.globl	_ZL26rocblas_hemvn_kernel_upperILb0ELi64ELi4ELi33ELi32ELi16ElPK19rocblas_complex_numIfEPKS3_PS1_EviT6_lT7_lT5_lS8_lS9_lS7_lT8_i ; -- Begin function _ZL26rocblas_hemvn_kernel_upperILb0ELi64ELi4ELi33ELi32ELi16ElPK19rocblas_complex_numIfEPKS3_PS1_EviT6_lT7_lT5_lS8_lS9_lS7_lT8_i
	.p2align	8
	.type	_ZL26rocblas_hemvn_kernel_upperILb0ELi64ELi4ELi33ELi32ELi16ElPK19rocblas_complex_numIfEPKS3_PS1_EviT6_lT7_lT5_lS8_lS9_lS7_lT8_i,@function
_ZL26rocblas_hemvn_kernel_upperILb0ELi64ELi4ELi33ELi32ELi16ElPK19rocblas_complex_numIfEPKS3_PS1_EviT6_lT7_lT5_lS8_lS9_lS7_lT8_i: ; @_ZL26rocblas_hemvn_kernel_upperILb0ELi64ELi4ELi33ELi32ELi16ElPK19rocblas_complex_numIfEPKS3_PS1_EviT6_lT7_lT5_lS8_lS9_lS7_lT8_i
; %bb.0:
	s_load_dwordx2 s[4:5], s[0:1], 0x84
	s_add_u32 s12, s0, 0x78
	s_mov_b32 s26, s3
	s_addc_u32 s13, s1, 0
	s_waitcnt lgkmcnt(0)
	s_and_b32 s3, s5, 0xffff
	s_lshr_b32 s5, s4, 16
	s_and_b32 s4, s4, 0xffff
	s_mul_i32 s4, s5, s4
	s_mul_i32 s4, s4, s3
	s_cmpk_lg_i32 s4, 0x100
	s_cbranch_scc1 .LBB180_149
; %bb.1:
	s_load_dwordx8 s[4:11], s[0:1], 0x8
	s_mov_b32 s27, 0
	s_waitcnt lgkmcnt(0)
	s_mul_i32 s3, s7, s26
	s_mul_hi_u32 s7, s6, s26
	s_add_i32 s7, s7, s3
	s_mul_i32 s6, s6, s26
	s_lshl_b64 s[6:7], s[6:7], 3
	s_add_u32 s14, s4, s6
	s_addc_u32 s15, s5, s7
	s_load_dwordx2 s[16:17], s[14:15], 0x0
	s_load_dwordx2 s[28:29], s[0:1], 0x68
	s_load_dwordx4 s[4:7], s[0:1], 0x58
	s_mov_b64 s[14:15], -1
	s_waitcnt lgkmcnt(0)
	s_or_b32 s3, s16, s17
	s_bitset0_b32 s3, 31
	s_cmp_lg_u32 s3, 0
	s_cbranch_scc1 .LBB180_3
; %bb.2:
	s_mul_i32 s3, s7, s26
	s_mul_hi_u32 s7, s6, s26
	s_add_i32 s7, s7, s3
	s_mul_i32 s6, s6, s26
	s_lshl_b64 s[6:7], s[6:7], 3
	s_add_u32 s4, s4, s6
	s_addc_u32 s5, s5, s7
	s_load_dwordx2 s[6:7], s[4:5], 0x0
	s_mov_b64 s[14:15], 0
	s_waitcnt lgkmcnt(0)
	v_cmp_eq_f32_e64 s[4:5], s6, 1.0
	v_cmp_eq_f32_e64 s[6:7], s7, 0
	s_and_b64 s[4:5], s[4:5], s[6:7]
	s_andn2_b64 vcc, exec, s[4:5]
.LBB180_3:
	s_andn2_b64 vcc, exec, s[14:15]
	s_cbranch_vccnz .LBB180_149
; %bb.4:
	s_load_dword s3, s[12:13], 0x0
	s_load_dwordx4 s[4:7], s[0:1], 0x38
	s_load_dwordx2 s[16:17], s[0:1], 0x48
	s_lshl_b64 s[12:13], s[26:27], 3
	s_add_u32 s8, s8, s12
	s_addc_u32 s9, s9, s13
	s_waitcnt lgkmcnt(0)
	s_add_u32 s12, s4, s12
	s_addc_u32 s13, s5, s13
	s_load_dwordx2 s[14:15], s[12:13], 0x0
	s_load_dwordx2 s[22:23], s[0:1], 0x28
	s_load_dword s33, s[0:1], 0x0
	s_load_dwordx2 s[4:5], s[8:9], 0x0
	s_lshl_b64 s[0:1], s[6:7], 3
	s_waitcnt lgkmcnt(0)
	s_add_u32 s0, s14, s0
	s_addc_u32 s1, s15, s1
	s_ashr_i32 s36, s33, 31
	s_lshr_b32 s7, s36, 26
	v_and_b32_e32 v120, 0x3ff, v0
	s_lshl_b32 s24, s2, 6
	s_add_i32 s7, s33, s7
	s_andn2_b32 s7, s7, 63
	v_add_u32_e32 v48, s24, v120
	s_add_i32 s6, s3, -1
	s_sub_i32 s27, s33, s7
	v_ashrrev_i32_e32 v49, 31, v48
	v_bfe_u32 v121, v0, 10, 10
	s_cmp_eq_u32 s2, s6
	v_mul_lo_u32 v2, s16, v49
	v_mul_lo_u32 v3, s17, v48
	v_mad_u64_u32 v[0:1], s[6:7], s16, v48, 0
	v_add3_u32 v1, v1, v2, v3
	s_cselect_b32 s18, s27, 0
	v_lshl_add_u64 v[12:13], v[0:1], 3, s[0:1]
	v_cmp_eq_u32_e64 s[0:1], 0, v121
	s_and_saveexec_b64 s[6:7], s[0:1]
	s_cbranch_execz .LBB180_9
; %bb.5:
	s_cmp_lg_u32 s18, 0
	s_cselect_b64 s[8:9], -1, 0
	v_cmp_le_i32_e32 vcc, s18, v120
	v_mov_b32_e32 v0, 0x2380
	s_and_b64 s[8:9], s[8:9], vcc
	v_lshl_add_u32 v0, v120, 3, v0
	s_and_saveexec_b64 s[12:13], s[8:9]
	s_xor_b64 s[8:9], exec, s[12:13]
; %bb.6:
	v_mov_b32_e32 v2, 0
	v_mov_b32_e32 v3, v2
	ds_write_b64 v0, v[2:3]
                                        ; implicit-def: $vgpr0
; %bb.7:
	s_andn2_saveexec_b64 s[8:9], s[8:9]
	s_cbranch_execz .LBB180_9
; %bb.8:
	flat_load_dwordx2 v[2:3], v[12:13]
	s_waitcnt vmcnt(0) lgkmcnt(0)
	ds_write_b64 v0, v[2:3]
.LBB180_9:
	s_or_b64 exec, exec, s[6:7]
	s_lshl_b64 s[6:7], s[10:11], 3
	s_add_u32 s6, s4, s6
	s_addc_u32 s7, s5, s7
	s_ashr_i32 s25, s24, 31
	v_lshl_add_u32 v22, v121, 6, v120
	s_lshl_b64 s[4:5], s[24:25], 3
	v_and_b32_e32 v2, 31, v120
	v_lshrrev_b32_e32 v10, 5, v22
	s_add_u32 s4, s6, s4
	v_mov_b32_e32 v3, 0
	s_addc_u32 s5, s7, s5
	v_mad_u64_u32 v[14:15], s[6:7], s22, v10, v[2:3]
	v_mov_b32_e32 v0, v15
	v_mad_u64_u32 v[0:1], s[6:7], s23, v10, v[0:1]
	v_mov_b32_e32 v15, v0
	v_lshl_add_u64 v[0:1], v[14:15], 3, s[4:5]
	s_mul_hi_u32 s4, s22, s24
	s_mul_i32 s5, s22, s25
	s_add_i32 s4, s4, s5
	s_mul_i32 s5, s23, s24
	s_add_i32 s5, s4, s5
	s_cmp_eq_u32 s18, 0
	s_cselect_b64 s[20:21], -1, 0
	s_cmp_lg_u32 s18, 0
	s_mul_i32 s4, s22, s24
	s_cselect_b64 s[30:31], -1, 0
	v_lshl_add_u64 v[6:7], s[4:5], 3, v[0:1]
	s_and_b64 vcc, exec, s[30:31]
	v_cmp_gt_i32_e64 s[4:5], s18, v2
	v_lshlrev_b32_e32 v0, 3, v2
	s_cbranch_vccz .LBB180_25
; %bb.10:
	v_sub_co_u32_e32 v4, vcc, v6, v0
	s_ashr_i32 s19, s18, 31
	s_nop 0
	v_subbrev_co_u32_e32 v5, vcc, 0, v7, vcc
	v_lshl_add_u64 v[4:5], s[18:19], 3, v[4:5]
	v_lshl_add_u64 v[4:5], v[4:5], 0, -8
	v_cndmask_b32_e64 v5, v5, v7, s[4:5]
	v_cndmask_b32_e64 v4, v4, v6, s[4:5]
	v_cmp_gt_i32_e32 vcc, s18, v10
	v_mov_b32_e32 v9, 0
	s_and_saveexec_b64 s[6:7], vcc
	s_cbranch_execz .LBB180_12
; %bb.11:
	flat_load_dwordx2 v[8:9], v[4:5]
	s_waitcnt vmcnt(0) lgkmcnt(0)
	v_mov_b32_e32 v3, v8
.LBB180_12:
	s_or_b64 exec, exec, s[6:7]
	v_lshlrev_b32_e32 v1, 3, v2
	s_movk_i32 s6, 0x108
	v_mov_b32_e32 v8, v3
	v_mad_u32_u24 v3, v10, s6, v1
	v_mul_u32_u24_e32 v11, 0x108, v10
	ds_write_b64 v3, v[8:9]
	v_add_u32_e32 v3, 8, v10
	v_cmp_le_i32_e32 vcc, s18, v3
	v_add_u32_e32 v1, v11, v1
	s_and_saveexec_b64 s[6:7], vcc
	s_xor_b64 s[6:7], exec, s[6:7]
; %bb.13:
	v_mov_b32_e32 v8, 0
	v_mov_b32_e32 v9, v8
	ds_write_b64 v1, v[8:9] offset:2112
; %bb.14:
	s_andn2_saveexec_b64 s[6:7], s[6:7]
	s_cbranch_execz .LBB180_16
; %bb.15:
	s_lshl_b64 s[8:9], s[22:23], 6
	v_lshl_add_u64 v[8:9], v[4:5], 0, s[8:9]
	flat_load_dwordx2 v[8:9], v[8:9]
	s_waitcnt vmcnt(0) lgkmcnt(0)
	ds_write_b64 v1, v[8:9] offset:2112
.LBB180_16:
	s_or_b64 exec, exec, s[6:7]
	v_add_u32_e32 v3, 16, v10
	v_cmp_le_i32_e32 vcc, s18, v3
	s_and_saveexec_b64 s[6:7], vcc
	s_xor_b64 s[6:7], exec, s[6:7]
; %bb.17:
	v_mov_b32_e32 v8, 0
	v_mov_b32_e32 v9, v8
	ds_write_b64 v1, v[8:9] offset:4224
; %bb.18:
	s_andn2_saveexec_b64 s[6:7], s[6:7]
	s_cbranch_execz .LBB180_20
; %bb.19:
	s_lshl_b64 s[8:9], s[22:23], 7
	v_lshl_add_u64 v[8:9], v[4:5], 0, s[8:9]
	flat_load_dwordx2 v[8:9], v[8:9]
	s_waitcnt vmcnt(0) lgkmcnt(0)
	ds_write_b64 v1, v[8:9] offset:4224
.LBB180_20:
	s_or_b64 exec, exec, s[6:7]
	v_add_u32_e32 v3, 24, v10
	v_cmp_le_i32_e32 vcc, s18, v3
	s_and_saveexec_b64 s[6:7], vcc
	s_xor_b64 s[6:7], exec, s[6:7]
; %bb.21:
	v_mov_b32_e32 v8, 0
	v_mov_b32_e32 v9, v8
	ds_write_b64 v1, v[8:9] offset:6336
                                        ; implicit-def: $vgpr1
; %bb.22:
	s_andn2_saveexec_b64 s[6:7], s[6:7]
	s_cbranch_execz .LBB180_24
; %bb.23:
	v_mov_b32_e32 v3, 0xc0
	v_mad_u64_u32 v[8:9], s[8:9], s22, v3, v[4:5]
	s_mul_i32 s8, s23, 0xc0
	s_nop 0
	v_add_u32_e32 v9, s8, v9
	flat_load_dwordx2 v[8:9], v[8:9]
	s_waitcnt vmcnt(0) lgkmcnt(0)
	ds_write_b64 v1, v[8:9] offset:6336
.LBB180_24:
	s_or_b64 exec, exec, s[6:7]
	v_mov_b32_e32 v1, 0
	v_lshl_add_u64 v[4:5], v[4:5], 0, v[0:1]
	s_lshl_b64 s[6:7], s[18:19], 3
	v_mov_b32_e32 v1, s7
	v_subrev_co_u32_e32 v4, vcc, s6, v4
	s_nop 1
	v_subb_co_u32_e32 v5, vcc, v5, v1, vcc
	v_lshl_add_u64 v[4:5], v[4:5], 0, 8
	v_cndmask_b32_e64 v5, v5, v7, s[4:5]
	v_cndmask_b32_e64 v4, v4, v6, s[4:5]
	s_branch .LBB180_27
.LBB180_25:
                                        ; implicit-def: $vgpr4_vgpr5
	s_cbranch_execz .LBB180_27
; %bb.26:
	s_lshl_b64 s[4:5], s[22:23], 6
	v_lshl_add_u64 v[4:5], v[6:7], 0, s[4:5]
	v_lshl_add_u64 v[8:9], v[4:5], 0, s[4:5]
	;; [unrolled: 1-line block ×3, first 2 shown]
	flat_load_dwordx2 v[18:19], v[6:7]
	flat_load_dwordx2 v[20:21], v[4:5]
	;; [unrolled: 1-line block ×4, first 2 shown]
	v_mul_u32_u24_e32 v1, 0x108, v10
	v_lshl_add_u32 v1, v2, 3, v1
	v_mov_b64_e32 v[4:5], v[6:7]
	s_waitcnt vmcnt(0) lgkmcnt(0)
	ds_write_b64 v1, v[18:19]
	ds_write_b64 v1, v[20:21] offset:2112
	ds_write_b64 v1, v[24:25] offset:4224
	;; [unrolled: 1-line block ×3, first 2 shown]
.LBB180_27:
	v_lshlrev_b32_e32 v11, 3, v2
	v_lshlrev_b32_e32 v3, 2, v10
	v_lshl_or_b32 v1, v2, 8, v11
	v_cmp_gt_u32_e64 s[4:5], v3, v2
	v_lshl_add_u32 v1, v3, 3, v1
	s_waitcnt lgkmcnt(0)
	s_barrier
	s_and_saveexec_b64 s[6:7], s[4:5]
	s_cbranch_execz .LBB180_29
; %bb.28:
	s_movk_i32 s8, 0x420
	v_mad_u32_u24 v6, v10, s8, v11
	ds_read_b64 v[6:7], v6
	s_waitcnt lgkmcnt(0)
	ds_write_b64 v1, v[6:7]
.LBB180_29:
	s_or_b64 exec, exec, s[6:7]
	v_or_b32_e32 v16, 1, v3
	v_cmp_ge_u32_e64 s[6:7], v3, v2
	s_and_saveexec_b64 s[8:9], s[6:7]
	s_cbranch_execz .LBB180_31
; %bb.30:
	s_movk_i32 s10, 0x108
	v_mad_u32_u24 v6, v16, s10, v11
	ds_read_b64 v[6:7], v6
	s_waitcnt lgkmcnt(0)
	ds_write_b64 v1, v[6:7] offset:8
.LBB180_31:
	s_or_b64 exec, exec, s[8:9]
	v_or_b32_e32 v6, 2, v3
	v_cmp_gt_u32_e64 s[8:9], v6, v2
	s_and_saveexec_b64 s[10:11], s[8:9]
	s_cbranch_execz .LBB180_33
; %bb.32:
	s_movk_i32 s12, 0x108
	v_mad_u32_u24 v6, v6, s12, v11
	ds_read_b64 v[6:7], v6
	s_waitcnt lgkmcnt(0)
	ds_write_b64 v1, v[6:7] offset:16
.LBB180_33:
	s_or_b64 exec, exec, s[10:11]
	v_or_b32_e32 v7, 3, v3
	v_cmp_gt_u32_e64 s[10:11], v7, v2
	v_cmp_le_u32_e32 vcc, v7, v2
                                        ; implicit-def: $vgpr6
	s_and_saveexec_b64 s[12:13], vcc
	s_xor_b64 s[12:13], exec, s[12:13]
; %bb.34:
	v_mul_u32_u24_e32 v6, 0x108, v7
                                        ; implicit-def: $vgpr7
                                        ; implicit-def: $vgpr1
; %bb.35:
	s_andn2_saveexec_b64 s[12:13], s[12:13]
	s_cbranch_execz .LBB180_37
; %bb.36:
	s_movk_i32 s14, 0x108
	v_mad_u32_u24 v6, v7, s14, v11
	ds_read_b64 v[8:9], v6
	v_mul_u32_u24_e32 v6, 0x108, v7
	s_waitcnt lgkmcnt(0)
	ds_write_b64 v1, v[8:9] offset:24
.LBB180_37:
	s_or_b64 exec, exec, s[12:13]
	s_movk_i32 s12, 0x420
	v_mad_u32_u24 v1, v10, s12, v11
	s_movk_i32 s12, 0x108
	v_mad_u32_u24 v7, v16, s12, v11
	s_waitcnt lgkmcnt(0)
	s_barrier
	v_lshlrev_b32_e32 v17, 3, v3
	ds_read2_b64 v[26:29], v7 offset1:33
	v_add_u32_e32 v18, v11, v6
	ds_read_b64 v[20:21], v1
	ds_read_b128 v[6:9], v17 offset:9088
	ds_read_b64 v[34:35], v18
	ds_read_b128 v[30:33], v17 offset:9104
	v_mul_u32_u24_e32 v19, 33, v2
	v_lshlrev_b32_e32 v23, 3, v19
	v_mov_b32_e32 v50, 0
	s_waitcnt lgkmcnt(2)
	v_pk_mul_f32 v[36:37], v[6:7], v[20:21] op_sel:[1,1] op_sel_hi:[0,1]
	v_pk_fma_f32 v[38:39], v[6:7], v[20:21], v[36:37] neg_lo:[0,0,1] neg_hi:[0,0,1]
	v_pk_fma_f32 v[6:7], v[6:7], v[20:21], v[36:37] op_sel_hi:[1,0,1]
	v_pk_mul_f32 v[20:21], v[8:9], v[26:27] op_sel:[1,1] op_sel_hi:[0,1]
	v_pk_fma_f32 v[36:37], v[8:9], v[26:27], v[20:21] neg_lo:[0,0,1] neg_hi:[0,0,1]
	v_pk_fma_f32 v[8:9], v[8:9], v[26:27], v[20:21] op_sel_hi:[1,0,1]
	v_mov_b32_e32 v39, v7
	v_mov_b32_e32 v37, v9
	s_waitcnt lgkmcnt(0)
	v_pk_mul_f32 v[8:9], v[30:31], v[28:29] op_sel:[1,1] op_sel_hi:[0,1]
	v_pk_add_f32 v[6:7], v[38:39], 0 op_sel_hi:[1,0]
	v_pk_fma_f32 v[20:21], v[30:31], v[28:29], v[8:9] neg_lo:[0,0,1] neg_hi:[0,0,1]
	v_pk_fma_f32 v[8:9], v[30:31], v[28:29], v[8:9] op_sel_hi:[1,0,1]
	v_pk_add_f32 v[6:7], v[6:7], v[36:37]
	v_mov_b32_e32 v21, v9
	v_pk_mul_f32 v[8:9], v[32:33], v[34:35] op_sel:[1,1] op_sel_hi:[0,1]
	v_pk_add_f32 v[6:7], v[6:7], v[20:21]
	v_pk_fma_f32 v[20:21], v[32:33], v[34:35], v[8:9] neg_lo:[0,0,1] neg_hi:[0,0,1]
	v_pk_fma_f32 v[8:9], v[32:33], v[34:35], v[8:9] op_sel_hi:[1,0,1]
	v_lshl_add_u32 v24, v10, 3, v23
	v_mov_b32_e32 v21, v9
	v_mov_b32_e32 v51, v50
	v_pk_add_f32 v[6:7], v[6:7], v[20:21]
	v_cmp_gt_u32_e64 s[12:13], 32, v22
	s_barrier
	ds_write_b64 v24, v[6:7]
	s_waitcnt lgkmcnt(0)
	s_barrier
	s_and_saveexec_b64 s[14:15], s[12:13]
	s_cbranch_execz .LBB180_39
; %bb.38:
	ds_read2_b64 v[6:9], v23 offset1:7
	ds_read2_b64 v[26:29], v23 offset0:1 offset1:2
	ds_read2_b64 v[30:33], v23 offset0:3 offset1:4
	s_waitcnt lgkmcnt(1)
	v_add_f32_e32 v1, v26, v6
	v_add_f32_e32 v6, v27, v7
	;; [unrolled: 1-line block ×4, first 2 shown]
	ds_read2_b64 v[26:29], v23 offset0:5 offset1:6
	s_waitcnt lgkmcnt(1)
	v_add_f32_e32 v1, v1, v30
	v_add_f32_e32 v6, v6, v31
	;; [unrolled: 1-line block ×4, first 2 shown]
	s_waitcnt lgkmcnt(0)
	v_add_f32_e32 v1, v1, v26
	v_add_f32_e32 v7, v6, v27
	;; [unrolled: 1-line block ×4, first 2 shown]
	v_pk_add_f32 v[50:51], v[6:7], v[8:9]
.LBB180_39:
	s_or_b64 exec, exec, s[14:15]
	s_lshl_b64 s[14:15], s[22:23], 8
	v_lshl_add_u64 v[6:7], v[4:5], 0, s[14:15]
	s_mov_b64 s[14:15], 0x100
	v_lshl_add_u64 v[4:5], v[6:7], 0, s[14:15]
	s_and_b64 vcc, exec, s[30:31]
	s_barrier
	s_cbranch_vccz .LBB180_55
; %bb.40:
	v_sub_co_u32_e32 v8, vcc, v6, v0
	s_ashr_i32 s19, s18, 31
	s_nop 0
	v_subbrev_co_u32_e32 v9, vcc, 0, v7, vcc
	v_or_b32_e32 v1, 32, v2
	v_lshl_add_u64 v[8:9], s[18:19], 3, v[8:9]
	v_mov_b32_e32 v20, 0
	v_lshl_add_u64 v[8:9], v[8:9], 0, -8
	v_cmp_gt_i32_e32 vcc, s18, v1
	s_sub_i32 s37, s18, 32
	v_cmp_gt_i32_e64 s[14:15], s37, v10
	v_cndmask_b32_e32 v9, v9, v5, vcc
	v_cndmask_b32_e32 v8, v8, v4, vcc
	v_mov_b32_e32 v21, v20
	s_and_saveexec_b64 s[34:35], s[14:15]
	s_cbranch_execz .LBB180_42
; %bb.41:
	flat_load_dwordx2 v[20:21], v[8:9]
.LBB180_42:
	s_or_b64 exec, exec, s[34:35]
	s_movk_i32 s14, 0x108
	v_mad_u32_u24 v19, v10, s14, v11
	v_mul_u32_u24_e32 v1, 0x108, v10
	s_waitcnt vmcnt(0) lgkmcnt(0)
	ds_write_b64 v19, v[20:21]
	v_add_u32_e32 v19, 8, v10
	v_cmp_le_i32_e64 s[14:15], s37, v19
	v_add_u32_e32 v1, v1, v11
	s_and_saveexec_b64 s[34:35], s[14:15]
	s_xor_b64 s[14:15], exec, s[34:35]
; %bb.43:
	v_mov_b32_e32 v20, 0
	v_mov_b32_e32 v21, v20
	ds_write_b64 v1, v[20:21] offset:2112
; %bb.44:
	s_andn2_saveexec_b64 s[14:15], s[14:15]
	s_cbranch_execz .LBB180_46
; %bb.45:
	s_lshl_b64 s[34:35], s[22:23], 6
	v_lshl_add_u64 v[20:21], v[8:9], 0, s[34:35]
	flat_load_dwordx2 v[20:21], v[20:21]
	s_waitcnt vmcnt(0) lgkmcnt(0)
	ds_write_b64 v1, v[20:21] offset:2112
.LBB180_46:
	s_or_b64 exec, exec, s[14:15]
	v_add_u32_e32 v19, 16, v10
	v_cmp_le_i32_e64 s[14:15], s37, v19
	s_and_saveexec_b64 s[34:35], s[14:15]
	s_xor_b64 s[14:15], exec, s[34:35]
; %bb.47:
	v_mov_b32_e32 v20, 0
	v_mov_b32_e32 v21, v20
	ds_write_b64 v1, v[20:21] offset:4224
; %bb.48:
	s_andn2_saveexec_b64 s[14:15], s[14:15]
	s_cbranch_execz .LBB180_50
; %bb.49:
	s_lshl_b64 s[34:35], s[22:23], 7
	v_lshl_add_u64 v[20:21], v[8:9], 0, s[34:35]
	flat_load_dwordx2 v[20:21], v[20:21]
	s_waitcnt vmcnt(0) lgkmcnt(0)
	ds_write_b64 v1, v[20:21] offset:4224
.LBB180_50:
	s_or_b64 exec, exec, s[14:15]
	v_add_u32_e32 v19, 24, v10
	v_cmp_le_i32_e64 s[14:15], s37, v19
	s_and_saveexec_b64 s[34:35], s[14:15]
	s_xor_b64 s[14:15], exec, s[34:35]
; %bb.51:
	v_mov_b32_e32 v20, 0
	v_mov_b32_e32 v21, v20
	ds_write_b64 v1, v[20:21] offset:6336
                                        ; implicit-def: $vgpr1
; %bb.52:
	s_andn2_saveexec_b64 s[14:15], s[14:15]
	s_cbranch_execz .LBB180_54
; %bb.53:
	v_mov_b32_e32 v19, 0xc0
	v_mad_u64_u32 v[20:21], s[34:35], s22, v19, v[8:9]
	s_mul_i32 s34, s23, 0xc0
	s_nop 0
	v_add_u32_e32 v21, s34, v21
	flat_load_dwordx2 v[20:21], v[20:21]
	s_waitcnt vmcnt(0) lgkmcnt(0)
	ds_write_b64 v1, v[20:21] offset:6336
.LBB180_54:
	s_or_b64 exec, exec, s[14:15]
	v_mov_b32_e32 v1, 0
	v_lshl_add_u64 v[8:9], v[8:9], 0, v[0:1]
	s_lshl_b64 s[14:15], s[18:19], 3
	v_mov_b32_e32 v1, s15
	v_subrev_co_u32_e64 v8, s[14:15], s14, v8
	s_nop 1
	v_subb_co_u32_e64 v9, s[14:15], v9, v1, s[14:15]
	s_mov_b64 s[14:15], 0x108
	s_nop 0
	v_lshl_add_u64 v[8:9], v[8:9], 0, s[14:15]
	v_cndmask_b32_e32 v9, v9, v5, vcc
	v_cndmask_b32_e32 v8, v8, v4, vcc
	v_mul_u32_u24_e32 v1, 0x420, v10
	s_branch .LBB180_57
.LBB180_55:
                                        ; implicit-def: $vgpr8_vgpr9
	v_mul_u32_u24_e32 v1, 0x420, v10
	s_cbranch_execz .LBB180_57
; %bb.56:
	s_lshl_b64 s[14:15], s[22:23], 6
	v_lshl_add_u64 v[8:9], v[6:7], 0, s[14:15]
	v_lshl_add_u64 v[20:21], v[8:9], 0, s[14:15]
	;; [unrolled: 1-line block ×3, first 2 shown]
	flat_load_dwordx2 v[28:29], v[6:7] offset:256
	flat_load_dwordx2 v[30:31], v[8:9] offset:256
	;; [unrolled: 1-line block ×4, first 2 shown]
	s_movk_i32 s14, 0x108
	v_mad_u32_u24 v6, v10, s14, v11
	v_mov_b64_e32 v[8:9], v[4:5]
	s_waitcnt vmcnt(0) lgkmcnt(0)
	ds_write_b64 v6, v[28:29]
	ds_write_b64 v6, v[30:31] offset:2112
	ds_write_b64 v6, v[32:33] offset:4224
	;; [unrolled: 1-line block ×3, first 2 shown]
.LBB180_57:
	v_mul_u32_u24_e32 v4, 0x108, v16
	v_add_u32_e32 v6, v11, v1
	v_lshl_add_u32 v1, v3, 3, v23
	s_waitcnt lgkmcnt(0)
	s_barrier
	s_and_saveexec_b64 s[14:15], s[4:5]
	s_cbranch_execnz .LBB180_80
; %bb.58:
	s_or_b64 exec, exec, s[14:15]
	v_add_u32_e32 v7, v11, v4
	s_and_saveexec_b64 s[4:5], s[6:7]
	s_cbranch_execnz .LBB180_81
.LBB180_59:
	s_or_b64 exec, exec, s[4:5]
	s_and_saveexec_b64 s[4:5], s[8:9]
	s_cbranch_execnz .LBB180_82
.LBB180_60:
	s_or_b64 exec, exec, s[4:5]
	v_add_u32_e32 v19, 0x2380, v17
	s_and_saveexec_b64 s[4:5], s[10:11]
	s_cbranch_execz .LBB180_62
.LBB180_61:
	ds_read_b64 v[4:5], v18
	s_waitcnt lgkmcnt(0)
	ds_write_b64 v1, v[4:5] offset:24
.LBB180_62:
	s_or_b64 exec, exec, s[4:5]
	s_waitcnt lgkmcnt(0)
	s_barrier
	ds_read_b64 v[4:5], v6
	ds_read_b128 v[26:29], v19 offset:256
	ds_read2_b64 v[30:33], v7 offset1:33
	ds_read_b64 v[16:17], v18
	ds_read_b128 v[34:37], v19 offset:272
	v_cmp_eq_u32_e64 s[4:5], 1, v10
	s_waitcnt lgkmcnt(3)
	v_pk_mul_f32 v[20:21], v[26:27], v[4:5] op_sel:[1,1] op_sel_hi:[0,1]
	v_pk_fma_f32 v[38:39], v[26:27], v[4:5], v[20:21] neg_lo:[0,0,1] neg_hi:[0,0,1]
	v_pk_fma_f32 v[4:5], v[26:27], v[4:5], v[20:21] op_sel_hi:[1,0,1]
	s_waitcnt lgkmcnt(2)
	v_pk_mul_f32 v[20:21], v[28:29], v[30:31] op_sel:[1,1] op_sel_hi:[0,1]
	v_mov_b32_e32 v39, v5
	v_pk_fma_f32 v[26:27], v[28:29], v[30:31], v[20:21] neg_lo:[0,0,1] neg_hi:[0,0,1]
	v_pk_fma_f32 v[20:21], v[28:29], v[30:31], v[20:21] op_sel_hi:[1,0,1]
	v_pk_add_f32 v[4:5], v[38:39], 0 op_sel_hi:[1,0]
	v_mov_b32_e32 v27, v21
	s_waitcnt lgkmcnt(0)
	v_pk_mul_f32 v[20:21], v[34:35], v[32:33] op_sel:[1,1] op_sel_hi:[0,1]
	v_pk_add_f32 v[4:5], v[4:5], v[26:27]
	v_pk_fma_f32 v[26:27], v[34:35], v[32:33], v[20:21] neg_lo:[0,0,1] neg_hi:[0,0,1]
	v_pk_fma_f32 v[20:21], v[34:35], v[32:33], v[20:21] op_sel_hi:[1,0,1]
	s_nop 0
	v_mov_b32_e32 v27, v21
	v_pk_mul_f32 v[20:21], v[36:37], v[16:17] op_sel:[1,1] op_sel_hi:[0,1]
	v_pk_add_f32 v[4:5], v[4:5], v[26:27]
	v_pk_fma_f32 v[26:27], v[36:37], v[16:17], v[20:21] neg_lo:[0,0,1] neg_hi:[0,0,1]
	v_pk_fma_f32 v[16:17], v[36:37], v[16:17], v[20:21] op_sel_hi:[1,0,1]
	s_barrier
	v_mov_b32_e32 v27, v17
	v_pk_add_f32 v[4:5], v[4:5], v[26:27]
	ds_write_b64 v24, v[4:5]
	s_waitcnt lgkmcnt(0)
	s_barrier
	s_and_saveexec_b64 s[6:7], s[4:5]
	s_cbranch_execz .LBB180_64
; %bb.63:
	ds_read2_b64 v[26:29], v23 offset1:7
	ds_read2_b64 v[30:33], v23 offset0:1 offset1:2
	ds_read2_b64 v[34:37], v23 offset0:3 offset1:4
	s_waitcnt lgkmcnt(1)
	v_add_f32_e32 v1, v30, v26
	v_add_f32_e32 v3, v31, v27
	;; [unrolled: 1-line block ×4, first 2 shown]
	ds_read2_b64 v[30:33], v23 offset0:5 offset1:6
	s_waitcnt lgkmcnt(1)
	v_add_f32_e32 v1, v1, v34
	v_add_f32_e32 v3, v3, v35
	;; [unrolled: 1-line block ×4, first 2 shown]
	s_waitcnt lgkmcnt(0)
	v_add_f32_e32 v4, v1, v30
	v_add_f32_e32 v5, v3, v31
	v_pk_add_f32 v[4:5], v[4:5], v[32:33]
	s_nop 0
	v_pk_add_f32 v[50:51], v[4:5], v[28:29]
.LBB180_64:
	s_or_b64 exec, exec, s[6:7]
	s_movk_i32 s6, 0xff00
	s_mov_b32 s7, -1
	v_lshl_add_u64 v[4:5], v[8:9], 0, s[6:7]
	s_and_b64 vcc, exec, s[30:31]
	s_barrier
	s_cbranch_vccz .LBB180_83
; %bb.65:
	v_sub_co_u32_e32 v16, vcc, v4, v0
	s_ashr_i32 s19, s18, 31
	s_nop 0
	v_subbrev_co_u32_e32 v17, vcc, 0, v5, vcc
	v_lshl_add_u64 v[16:17], s[18:19], 3, v[16:17]
	v_mov_b32_e32 v8, 0
	v_lshl_add_u64 v[16:17], v[16:17], 0, -8
	v_cmp_gt_i32_e32 vcc, s18, v2
	s_sub_i32 s10, s18, 32
	v_cmp_gt_i32_e64 s[6:7], s10, v10
	v_cndmask_b32_e32 v3, v17, v5, vcc
	v_cndmask_b32_e32 v2, v16, v4, vcc
	v_mov_b32_e32 v9, v8
	s_and_saveexec_b64 s[8:9], s[6:7]
	s_cbranch_execz .LBB180_67
; %bb.66:
	flat_load_dwordx2 v[8:9], v[2:3]
.LBB180_67:
	s_or_b64 exec, exec, s[8:9]
	s_movk_i32 s6, 0x108
	v_mad_u32_u24 v16, v10, s6, v11
	v_mul_u32_u24_e32 v1, 0x108, v10
	s_waitcnt vmcnt(0) lgkmcnt(0)
	ds_write_b64 v16, v[8:9]
	v_add_u32_e32 v8, 8, v10
	v_cmp_le_i32_e64 s[6:7], s10, v8
	v_add_u32_e32 v1, v1, v11
	s_and_saveexec_b64 s[8:9], s[6:7]
	s_xor_b64 s[6:7], exec, s[8:9]
; %bb.68:
	v_mov_b32_e32 v16, 0
	v_mov_b32_e32 v17, v16
	ds_write_b64 v1, v[16:17] offset:2112
; %bb.69:
	s_andn2_saveexec_b64 s[6:7], s[6:7]
	s_cbranch_execz .LBB180_71
; %bb.70:
	s_lshl_b64 s[8:9], s[22:23], 6
	v_lshl_add_u64 v[16:17], v[2:3], 0, s[8:9]
	flat_load_dwordx2 v[16:17], v[16:17]
	s_waitcnt vmcnt(0) lgkmcnt(0)
	ds_write_b64 v1, v[16:17] offset:2112
.LBB180_71:
	s_or_b64 exec, exec, s[6:7]
	v_add_u32_e32 v9, 16, v10
	v_cmp_le_i32_e64 s[6:7], s10, v9
	s_and_saveexec_b64 s[8:9], s[6:7]
	s_xor_b64 s[6:7], exec, s[8:9]
; %bb.72:
	v_mov_b32_e32 v16, 0
	v_mov_b32_e32 v17, v16
	ds_write_b64 v1, v[16:17] offset:4224
; %bb.73:
	s_andn2_saveexec_b64 s[6:7], s[6:7]
	s_cbranch_execz .LBB180_75
; %bb.74:
	s_lshl_b64 s[8:9], s[22:23], 7
	v_lshl_add_u64 v[16:17], v[2:3], 0, s[8:9]
	flat_load_dwordx2 v[16:17], v[16:17]
	s_waitcnt vmcnt(0) lgkmcnt(0)
	ds_write_b64 v1, v[16:17] offset:4224
.LBB180_75:
	s_or_b64 exec, exec, s[6:7]
	v_add_u32_e32 v20, 24, v10
	v_cmp_le_i32_e64 s[6:7], s10, v20
	s_and_saveexec_b64 s[8:9], s[6:7]
	s_xor_b64 s[6:7], exec, s[8:9]
; %bb.76:
	v_mov_b32_e32 v16, 0
	v_mov_b32_e32 v17, v16
	ds_write_b64 v1, v[16:17] offset:6336
                                        ; implicit-def: $vgpr1
; %bb.77:
	s_andn2_saveexec_b64 s[6:7], s[6:7]
	s_cbranch_execz .LBB180_79
; %bb.78:
	v_mov_b32_e32 v16, 0xc0
	v_mad_u64_u32 v[16:17], s[8:9], s22, v16, v[2:3]
	s_mul_i32 s8, s23, 0xc0
	s_nop 0
	v_add_u32_e32 v17, s8, v17
	flat_load_dwordx2 v[16:17], v[16:17]
	s_waitcnt vmcnt(0) lgkmcnt(0)
	ds_write_b64 v1, v[16:17] offset:6336
.LBB180_79:
	s_or_b64 exec, exec, s[6:7]
	v_mov_b32_e32 v1, 0
	v_lshl_add_u64 v[0:1], v[2:3], 0, v[0:1]
	s_lshl_b64 s[6:7], s[18:19], 3
	v_mov_b32_e32 v2, s7
	v_subrev_co_u32_e64 v0, s[6:7], s6, v0
	s_nop 1
	v_subb_co_u32_e64 v1, s[6:7], v1, v2, s[6:7]
	v_lshl_add_u64 v[0:1], v[0:1], 0, 8
	v_cndmask_b32_e32 v17, v1, v5, vcc
	v_cndmask_b32_e32 v16, v0, v4, vcc
	s_branch .LBB180_85
.LBB180_80:
	ds_read_b64 v[20:21], v6
	s_waitcnt lgkmcnt(0)
	ds_write_b64 v1, v[20:21]
	s_or_b64 exec, exec, s[14:15]
	v_add_u32_e32 v7, v11, v4
	s_and_saveexec_b64 s[4:5], s[6:7]
	s_cbranch_execz .LBB180_59
.LBB180_81:
	ds_read_b64 v[4:5], v7
	s_waitcnt lgkmcnt(0)
	ds_write_b64 v1, v[4:5] offset:8
	s_or_b64 exec, exec, s[4:5]
	s_and_saveexec_b64 s[4:5], s[8:9]
	s_cbranch_execz .LBB180_60
.LBB180_82:
	ds_read_b64 v[4:5], v7 offset:264
	s_waitcnt lgkmcnt(0)
	ds_write_b64 v1, v[4:5] offset:16
	s_or_b64 exec, exec, s[4:5]
	v_add_u32_e32 v19, 0x2380, v17
	s_and_saveexec_b64 s[4:5], s[10:11]
	s_cbranch_execnz .LBB180_61
	s_branch .LBB180_62
.LBB180_83:
                                        ; implicit-def: $vgpr16_vgpr17
                                        ; implicit-def: $vgpr8
                                        ; implicit-def: $vgpr9
                                        ; implicit-def: $vgpr20
	s_cbranch_execz .LBB180_85
; %bb.84:
	s_lshl_b64 s[6:7], s[22:23], 6
	v_lshl_add_u64 v[0:1], v[4:5], 0, s[6:7]
	v_lshl_add_u64 v[2:3], v[0:1], 0, s[6:7]
	;; [unrolled: 1-line block ×3, first 2 shown]
	flat_load_dwordx2 v[16:17], v[4:5]
	flat_load_dwordx2 v[26:27], v[0:1]
	flat_load_dwordx2 v[28:29], v[2:3]
	flat_load_dwordx2 v[30:31], v[8:9]
	s_movk_i32 s6, 0x108
	v_mad_u32_u24 v0, v10, s6, v11
	v_add_u32_e32 v8, 8, v10
	v_add_u32_e32 v9, 16, v10
	;; [unrolled: 1-line block ×3, first 2 shown]
	s_waitcnt vmcnt(0) lgkmcnt(0)
	ds_write_b64 v0, v[16:17]
	ds_write_b64 v0, v[26:27] offset:2112
	ds_write_b64 v0, v[28:29] offset:4224
	;; [unrolled: 1-line block ×3, first 2 shown]
	v_mov_b64_e32 v[16:17], v[4:5]
.LBB180_85:
	v_lshlrev_b32_e32 v25, 3, v10
	v_lshlrev_b32_e32 v30, 3, v8
	;; [unrolled: 1-line block ×4, first 2 shown]
	v_add_u32_e32 v28, v23, v25
	v_add_u32_e32 v34, v23, v30
	;; [unrolled: 1-line block ×4, first 2 shown]
	s_waitcnt lgkmcnt(0)
	s_barrier
	ds_read_b64 v[26:27], v0
	ds_read_b64 v[20:21], v6
	ds_read2_b64 v[4:7], v7 offset1:33
	ds_read_b128 v[8:11], v19 offset:256
	ds_read_b128 v[0:3], v19 offset:272
	ds_read_b64 v[28:29], v28
	ds_read_b64 v[18:19], v18
	ds_read_b64 v[30:31], v30 offset:9088
	ds_read_b64 v[32:33], v25 offset:9088
	ds_read_b64 v[34:35], v34
	ds_read_b64 v[36:37], v36
	ds_read_b64 v[38:39], v38 offset:9088
	ds_read_b64 v[40:41], v40 offset:9088
	s_waitcnt lgkmcnt(4)
	v_pk_mul_f32 v[42:43], v[32:33], v[28:29] op_sel:[1,1] op_sel_hi:[0,1]
	v_pk_fma_f32 v[44:45], v[32:33], v[28:29], v[42:43] neg_lo:[0,0,1] neg_hi:[0,0,1]
	v_pk_fma_f32 v[28:29], v[32:33], v[28:29], v[42:43] op_sel_hi:[1,0,1]
	s_waitcnt lgkmcnt(3)
	v_pk_mul_f32 v[32:33], v[30:31], v[34:35] op_sel:[1,1] op_sel_hi:[0,1]
	v_pk_fma_f32 v[42:43], v[30:31], v[34:35], v[32:33] neg_lo:[0,0,1] neg_hi:[0,0,1]
	v_pk_fma_f32 v[30:31], v[30:31], v[34:35], v[32:33] op_sel_hi:[1,0,1]
	v_mov_b32_e32 v45, v29
	v_mov_b32_e32 v43, v31
	s_waitcnt lgkmcnt(0)
	v_pk_mul_f32 v[30:31], v[40:41], v[36:37] op_sel:[1,1] op_sel_hi:[0,1]
	v_pk_add_f32 v[28:29], v[44:45], 0 op_sel_hi:[1,0]
	v_pk_fma_f32 v[32:33], v[40:41], v[36:37], v[30:31] neg_lo:[0,0,1] neg_hi:[0,0,1]
	v_pk_fma_f32 v[30:31], v[40:41], v[36:37], v[30:31] op_sel_hi:[1,0,1]
	v_pk_add_f32 v[28:29], v[28:29], v[42:43]
	v_mov_b32_e32 v33, v31
	v_pk_mul_f32 v[30:31], v[38:39], v[26:27] op_sel:[1,1] op_sel_hi:[0,1]
	v_pk_add_f32 v[28:29], v[28:29], v[32:33]
	v_pk_fma_f32 v[32:33], v[38:39], v[26:27], v[30:31] neg_lo:[0,0,1] neg_hi:[0,0,1]
	v_pk_fma_f32 v[26:27], v[38:39], v[26:27], v[30:31] op_sel_hi:[1,0,1]
	s_nop 0
	v_mov_b32_e32 v33, v27
	v_pk_add_f32 v[26:27], v[28:29], v[32:33]
	s_barrier
	ds_write_b64 v24, v[26:27]
	s_waitcnt lgkmcnt(0)
	s_barrier
	s_and_saveexec_b64 s[6:7], s[4:5]
	s_cbranch_execz .LBB180_87
; %bb.86:
	ds_read2_b64 v[26:29], v23 offset1:1
	ds_read2_b64 v[30:33], v23 offset0:2 offset1:3
	ds_read2_b64 v[34:37], v23 offset0:4 offset1:5
	s_waitcnt lgkmcnt(2)
	v_pk_add_f32 v[26:27], v[50:51], v[26:27]
	s_nop 0
	v_pk_add_f32 v[38:39], v[26:27], v[28:29]
	ds_read2_b64 v[26:29], v23 offset0:6 offset1:7
	s_waitcnt lgkmcnt(2)
	v_pk_add_f32 v[30:31], v[38:39], v[30:31]
	s_nop 0
	v_pk_add_f32 v[30:31], v[30:31], v[32:33]
	s_waitcnt lgkmcnt(1)
	v_pk_add_f32 v[30:31], v[30:31], v[34:35]
	s_nop 0
	v_pk_add_f32 v[30:31], v[30:31], v[36:37]
	;; [unrolled: 4-line block ×3, first 2 shown]
.LBB180_87:
	s_or_b64 exec, exec, s[6:7]
	v_pk_mul_f32 v[26:27], v[8:9], v[20:21] op_sel:[1,1] op_sel_hi:[0,1]
	v_pk_fma_f32 v[28:29], v[8:9], v[20:21], v[26:27] neg_lo:[0,0,1] neg_hi:[0,0,1]
	v_pk_fma_f32 v[8:9], v[8:9], v[20:21], v[26:27] op_sel_hi:[1,0,1]
	v_pk_mul_f32 v[20:21], v[10:11], v[4:5] op_sel:[1,1] op_sel_hi:[0,1]
	v_mov_b32_e32 v29, v9
	v_pk_fma_f32 v[26:27], v[10:11], v[4:5], v[20:21] neg_lo:[0,0,1] neg_hi:[0,0,1]
	v_pk_fma_f32 v[4:5], v[10:11], v[4:5], v[20:21] op_sel_hi:[1,0,1]
	v_pk_add_f32 v[8:9], v[28:29], 0 op_sel_hi:[1,0]
	v_mov_b32_e32 v27, v5
	v_pk_add_f32 v[4:5], v[8:9], v[26:27]
	v_pk_mul_f32 v[8:9], v[0:1], v[6:7] op_sel:[1,1] op_sel_hi:[0,1]
	v_pk_fma_f32 v[10:11], v[0:1], v[6:7], v[8:9] neg_lo:[0,0,1] neg_hi:[0,0,1]
	v_pk_fma_f32 v[0:1], v[0:1], v[6:7], v[8:9] op_sel_hi:[1,0,1]
	s_nop 0
	v_mov_b32_e32 v11, v1
	v_pk_add_f32 v[0:1], v[4:5], v[10:11]
	v_pk_mul_f32 v[4:5], v[2:3], v[18:19] op_sel:[1,1] op_sel_hi:[0,1]
	v_pk_fma_f32 v[6:7], v[2:3], v[18:19], v[4:5] neg_lo:[0,0,1] neg_hi:[0,0,1]
	v_pk_fma_f32 v[2:3], v[2:3], v[18:19], v[4:5] op_sel_hi:[1,0,1]
	s_barrier
	v_mov_b32_e32 v7, v3
	v_pk_add_f32 v[0:1], v[0:1], v[6:7]
	ds_write_b64 v24, v[0:1]
	s_waitcnt lgkmcnt(0)
	s_barrier
	s_and_saveexec_b64 s[4:5], s[12:13]
	s_cbranch_execz .LBB180_89
; %bb.88:
	ds_read2_b64 v[0:3], v23 offset1:1
	ds_read2_b64 v[4:7], v23 offset0:2 offset1:3
	ds_read2_b64 v[8:11], v23 offset0:4 offset1:5
	s_waitcnt lgkmcnt(2)
	v_pk_add_f32 v[0:1], v[50:51], v[0:1]
	s_nop 0
	v_pk_add_f32 v[18:19], v[0:1], v[2:3]
	ds_read2_b64 v[0:3], v23 offset0:6 offset1:7
	s_waitcnt lgkmcnt(2)
	v_pk_add_f32 v[4:5], v[18:19], v[4:5]
	s_nop 0
	v_pk_add_f32 v[4:5], v[4:5], v[6:7]
	s_waitcnt lgkmcnt(1)
	v_pk_add_f32 v[4:5], v[4:5], v[8:9]
	s_nop 0
	v_pk_add_f32 v[4:5], v[4:5], v[10:11]
	;; [unrolled: 4-line block ×3, first 2 shown]
.LBB180_89:
	s_or_b64 exec, exec, s[4:5]
	s_mul_hi_u32 s4, s33, s26
	s_mul_i32 s36, s36, s26
	s_add_i32 s4, s4, s36
	s_mul_i32 s6, s33, s26
	s_mul_i32 s4, s4, s3
	s_mul_hi_u32 s5, s6, s3
	s_add_i32 s5, s5, s4
	s_mul_i32 s4, s6, s3
	s_lshl_b64 s[4:5], s[4:5], 3
	s_add_u32 s6, s28, s4
	s_addc_u32 s7, s29, s5
	s_mul_hi_i32 s5, s33, s2
	s_mul_i32 s4, s33, s2
	s_lshl_b64 s[4:5], s[4:5], 3
	s_add_u32 s8, s6, s4
	s_addc_u32 s9, s7, s5
	s_add_i32 s4, s2, 1
	s_cmp_ge_u32 s4, s3
	v_lshlrev_b32_e32 v52, 3, v120
	s_barrier
	s_cbranch_scc1 .LBB180_147
; %bb.90:
	s_mul_i32 s4, s16, s25
	s_mul_hi_u32 s5, s16, s24
	s_add_i32 s4, s5, s4
	s_mul_i32 s5, s17, s24
	s_add_i32 s5, s4, s5
	s_mul_i32 s4, s16, s24
	s_lshl_b64 s[4:5], s[4:5], 3
	v_mov_b32_e32 v0, s5
	v_subrev_co_u32_e32 v54, vcc, s4, v12
	s_movk_i32 s4, 0x860
	s_nop 0
	v_subb_co_u32_e32 v55, vcc, v13, v0, vcc
	v_lshrrev_b32_e32 v0, 4, v22
	v_lshlrev_b32_e32 v2, 5, v0
	v_mul_i32_i24_e32 v38, 0xffffffe8, v0
	v_and_b32_e32 v0, 48, v120
	v_and_b32_e32 v1, 15, v120
	v_lshlrev_b32_e32 v36, 5, v121
	v_mad_u32_u24 v126, v121, s4, v52
	s_movk_i32 s4, 0x218
	v_lshlrev_b32_e32 v0, 3, v0
	v_mad_u32_u24 v128, v1, s4, v0
	v_or_b32_e32 v0, 0x78, v52
	v_add_u32_e32 v3, 0x110, v36
	v_mad_u32_u24 v127, v1, s4, v2
	v_mad_u32_u24 v129, v1, s4, v0
	v_mad_u64_u32 v[0:1], s[4:5], s22, v3, 0
	v_mov_b32_e32 v2, v1
	v_lshlrev_b64 v[4:5], 3, v[14:15]
	v_mad_u64_u32 v[2:3], s[4:5], s23, v3, v[2:3]
	v_sub_co_u32_e32 v0, vcc, v0, v4
	v_add_u32_e32 v7, 0x108, v36
	s_nop 0
	v_subb_co_u32_e32 v1, vcc, v2, v5, vcc
	v_mad_u64_u32 v[2:3], s[4:5], s22, v7, 0
	v_mov_b32_e32 v6, v3
	v_mad_u64_u32 v[6:7], s[4:5], s23, v7, v[6:7]
	v_sub_co_u32_e32 v2, vcc, v2, v4
	v_add_u32_e32 v9, 0x100, v36
	s_nop 0
	v_subb_co_u32_e32 v3, vcc, v6, v5, vcc
	v_mad_u64_u32 v[6:7], s[4:5], s22, v9, 0
	v_mov_b32_e32 v8, v7
	;; [unrolled: 7-line block ×7, first 2 shown]
	v_mad_u64_u32 v[20:21], s[4:5], s23, v21, v[20:21]
	v_sub_co_u32_e32 v18, vcc, v18, v4
	v_add_u32_e32 v23, 0x210, v36
	s_nop 0
	v_subb_co_u32_e32 v19, vcc, v20, v5, vcc
	v_mad_u64_u32 v[20:21], s[4:5], s22, v23, 0
	v_cmp_gt_u32_e64 s[6:7], 64, v22
	v_mov_b32_e32 v22, v21
	v_mad_u64_u32 v[22:23], s[4:5], s23, v23, v[22:23]
	v_sub_co_u32_e32 v20, vcc, v20, v4
	v_add_u32_e32 v25, 0x208, v36
	s_nop 0
	v_subb_co_u32_e32 v21, vcc, v22, v5, vcc
	v_mad_u64_u32 v[22:23], s[4:5], s22, v25, 0
	v_mov_b32_e32 v24, v23
	v_mad_u64_u32 v[24:25], s[4:5], s23, v25, v[24:25]
	v_sub_co_u32_e32 v22, vcc, v22, v4
	v_add_u32_e32 v27, 0x200, v36
	s_nop 0
	v_subb_co_u32_e32 v23, vcc, v24, v5, vcc
	v_mad_u64_u32 v[24:25], s[4:5], s22, v27, 0
	;; [unrolled: 7-line block ×7, first 2 shown]
	v_add_u32_e32 v124, 0x2180, v36
	v_mov_b32_e32 v36, v35
	v_mad_u64_u32 v[36:37], s[4:5], s23, v37, v[36:37]
	v_sub_co_u32_e32 v4, vcc, v34, v4
	v_lshlrev_b32_e32 v122, 2, v121
	s_nop 0
	v_subb_co_u32_e32 v5, vcc, v36, v5, vcc
	v_mov_b32_e32 v53, 0
	s_add_i32 s19, s3, -2
	v_add_u32_e32 v123, 0x2180, v52
	v_add_u32_e32 v125, 0x2380, v52
	v_or_b32_e32 v130, 1, v122
	v_or_b32_e32 v131, 2, v122
	;; [unrolled: 1-line block ×3, first 2 shown]
	v_add_u32_e32 v133, 16, v122
	v_add_u32_e32 v134, 17, v122
	;; [unrolled: 1-line block ×8, first 2 shown]
	v_lshl_add_u64 v[56:57], v[16:17], 0, v[0:1]
	v_lshl_add_u64 v[58:59], v[16:17], 0, v[2:3]
	v_lshl_add_u64 v[60:61], v[16:17], 0, v[6:7]
	v_lshl_add_u64 v[62:63], v[16:17], 0, v[8:9]
	v_lshl_add_u64 v[64:65], v[16:17], 0, v[10:11]
	v_lshl_add_u64 v[66:67], v[16:17], 0, v[12:13]
	v_lshl_add_u64 v[68:69], v[16:17], 0, v[14:15]
	v_lshl_add_u64 v[70:71], v[16:17], 0, v[18:19]
	v_lshl_add_u64 v[72:73], v[16:17], 0, v[20:21]
	v_lshl_add_u64 v[74:75], v[16:17], 0, v[22:23]
	v_lshl_add_u64 v[76:77], v[16:17], 0, v[24:25]
	v_lshl_add_u64 v[78:79], v[16:17], 0, v[26:27]
	v_lshl_add_u64 v[80:81], v[16:17], 0, v[28:29]
	v_lshl_add_u64 v[82:83], v[16:17], 0, v[30:31]
	v_lshl_add_u64 v[84:85], v[16:17], 0, v[32:33]
	v_lshl_add_u64 v[86:87], v[16:17], 0, v[4:5]
	v_add_u32_e32 v141, 48, v122
	v_add_u32_e32 v142, 49, v122
	s_add_i32 s24, s24, 64
	s_lshl_b64 s[10:11], s[22:23], 9
	v_add_u32_e32 v143, v127, v38
	v_mov_b32_e32 v146, v53
	v_mov_b32_e32 v147, v53
	v_add_u32_e32 v144, 50, v122
	v_add_u32_e32 v145, 51, v122
	s_branch .LBB180_92
.LBB180_91:                             ;   in Loop: Header=BB180_92 Depth=1
	s_or_b64 exec, exec, s[4:5]
	v_mul_f32_e32 v148, v5, v91
	v_fma_f32 v148, v4, v90, -v148
	v_mul_f32_e32 v5, v5, v90
	v_mul_f32_e32 v90, v7, v89
	v_add_f32_e32 v50, v50, v148
	v_fma_f32 v90, v6, v88, -v90
	v_mul_f32_e32 v7, v7, v88
	v_mul_f32_e32 v88, v1, v93
	v_fmac_f32_e32 v5, v4, v91
	v_add_f32_e32 v50, v50, v90
	v_fma_f32 v88, v0, v92, -v88
	v_mul_f32_e32 v1, v1, v92
	v_add_f32_e32 v4, v51, v5
	v_fmac_f32_e32 v7, v6, v89
	v_add_f32_e32 v50, v50, v88
	v_mul_f32_e32 v88, v3, v95
	v_mul_f32_e32 v3, v3, v94
	v_add_f32_e32 v4, v4, v7
	v_fmac_f32_e32 v1, v0, v93
	v_add_f32_e32 v0, v4, v1
	v_fmac_f32_e32 v3, v2, v95
	v_fma_f32 v88, v2, v94, -v88
	v_add_f32_e32 v1, v0, v3
	v_mul_f32_e32 v0, v13, v99
	v_add_f32_e32 v50, v50, v88
	v_fma_f32 v0, v12, v98, -v0
	v_mul_f32_e32 v6, v13, v98
	v_mul_f32_e32 v2, v15, v97
	v_add_f32_e32 v0, v50, v0
	v_fma_f32 v2, v14, v96, -v2
	v_mul_f32_e32 v7, v15, v96
	v_fmac_f32_e32 v6, v12, v99
	v_add_f32_e32 v0, v0, v2
	v_mul_f32_e32 v2, v9, v101
	v_mul_f32_e32 v3, v9, v100
	v_add_f32_e32 v1, v1, v6
	v_fmac_f32_e32 v7, v14, v97
	v_mov_b32_e32 v16, v107
	v_mov_b32_e32 v17, v107
	v_fma_f32 v2, v8, v100, -v2
	v_mul_f32_e32 v4, v11, v103
	v_mul_f32_e32 v5, v11, v102
	v_add_f32_e32 v1, v1, v7
	v_fmac_f32_e32 v3, v8, v101
	v_mov_b32_e32 v107, v106
	v_fma_f32 v4, v10, v102, -v4
	v_pk_add_f32 v[0:1], v[0:1], v[2:3]
	v_fmac_f32_e32 v5, v10, v103
	v_pk_mul_f32 v[2:3], v[28:29], v[16:17]
	v_mov_b32_e32 v18, v105
	v_mov_b32_e32 v19, v105
	v_pk_add_f32 v[0:1], v[0:1], v[4:5]
	v_pk_fma_f32 v[4:5], v[28:29], v[106:107], v[2:3] op_sel:[0,0,1] op_sel_hi:[1,1,0] neg_lo:[0,0,1] neg_hi:[0,0,1]
	v_pk_fma_f32 v[2:3], v[28:29], v[106:107], v[2:3] op_sel:[0,0,1] op_sel_hi:[1,1,0]
	v_mov_b32_e32 v105, v104
	v_mov_b32_e32 v5, v3
	v_pk_mul_f32 v[2:3], v[30:31], v[18:19]
	v_mov_b32_e32 v20, v109
	v_mov_b32_e32 v21, v109
	v_pk_add_f32 v[0:1], v[0:1], v[4:5]
	v_pk_fma_f32 v[4:5], v[30:31], v[104:105], v[2:3] op_sel:[0,0,1] op_sel_hi:[1,1,0] neg_lo:[0,0,1] neg_hi:[0,0,1]
	v_pk_fma_f32 v[2:3], v[30:31], v[104:105], v[2:3] op_sel:[0,0,1] op_sel_hi:[1,1,0]
	v_mov_b32_e32 v109, v108
	v_mov_b32_e32 v5, v3
	;; [unrolled: 8-line block ×5, first 2 shown]
	v_pk_mul_f32 v[2:3], v[38:39], v[42:43]
	v_mov_b32_e32 v44, v117
	v_mov_b32_e32 v45, v117
	v_pk_fma_f32 v[6:7], v[38:39], v[112:113], v[2:3] op_sel:[0,0,1] op_sel_hi:[1,1,0] neg_lo:[0,0,1] neg_hi:[0,0,1]
	v_pk_fma_f32 v[2:3], v[38:39], v[112:113], v[2:3] op_sel:[0,0,1] op_sel_hi:[1,1,0]
	v_mov_b32_e32 v117, v116
	v_mov_b32_e32 v7, v3
	v_pk_mul_f32 v[2:3], v[32:33], v[44:45]
	v_mov_b32_e32 v46, v119
	v_mov_b32_e32 v47, v119
	v_pk_fma_f32 v[8:9], v[32:33], v[116:117], v[2:3] op_sel:[0,0,1] op_sel_hi:[1,1,0] neg_lo:[0,0,1] neg_hi:[0,0,1]
	v_pk_fma_f32 v[2:3], v[32:33], v[116:117], v[2:3] op_sel:[0,0,1] op_sel_hi:[1,1,0]
	v_mov_b32_e32 v119, v118
	v_mov_b32_e32 v9, v3
	v_pk_mul_f32 v[2:3], v[34:35], v[46:47]
	v_pk_add_f32 v[0:1], v[0:1], v[4:5]
	v_pk_fma_f32 v[10:11], v[34:35], v[118:119], v[2:3] op_sel:[0,0,1] op_sel_hi:[1,1,0] neg_lo:[0,0,1] neg_hi:[0,0,1]
	v_pk_fma_f32 v[2:3], v[34:35], v[118:119], v[2:3] op_sel:[0,0,1] op_sel_hi:[1,1,0]
	v_pk_add_f32 v[0:1], v[0:1], v[6:7]
	v_mov_b32_e32 v11, v3
	v_pk_add_f32 v[0:1], v[0:1], v[8:9]
	s_add_i32 s4, s2, 1
	s_add_i32 s24, s24, 64
	;; [unrolled: 1-line block ×3, first 2 shown]
	v_pk_add_f32 v[50:51], v[0:1], v[10:11]
	v_lshl_add_u64 v[56:57], v[56:57], 0, s[10:11]
	v_lshl_add_u64 v[58:59], v[58:59], 0, s[10:11]
	;; [unrolled: 1-line block ×16, first 2 shown]
	s_cmp_ge_u32 s2, s3
	s_mov_b32 s2, s4
	s_barrier
	s_cbranch_scc1 .LBB180_147
.LBB180_92:                             ; =>This Inner Loop Header: Depth=1
	s_cmp_eq_u32 s19, s2
	s_cselect_b32 s25, s27, 0
	s_and_saveexec_b64 s[4:5], s[0:1]
	s_cbranch_execz .LBB180_97
; %bb.93:                               ;   in Loop: Header=BB180_92 Depth=1
	s_cmp_lg_u32 s25, 0
	s_cselect_b64 s[12:13], -1, 0
	v_cmp_le_i32_e32 vcc, s25, v120
	s_and_b64 s[12:13], s[12:13], vcc
	s_and_saveexec_b64 s[14:15], s[12:13]
	s_xor_b64 s[12:13], exec, s[14:15]
; %bb.94:                               ;   in Loop: Header=BB180_92 Depth=1
	ds_write_b64 v123, v[146:147]
; %bb.95:                               ;   in Loop: Header=BB180_92 Depth=1
	s_andn2_saveexec_b64 s[12:13], s[12:13]
	s_cbranch_execz .LBB180_97
; %bb.96:                               ;   in Loop: Header=BB180_92 Depth=1
	s_ashr_i32 s12, s24, 31
	s_mul_hi_u32 s13, s16, s24
	s_mul_i32 s12, s16, s12
	s_add_i32 s12, s13, s12
	s_mul_i32 s13, s17, s24
	s_add_i32 s13, s12, s13
	s_mul_i32 s12, s16, s24
	v_lshl_add_u64 v[0:1], s[12:13], 3, v[54:55]
	flat_load_dwordx2 v[0:1], v[0:1]
	s_waitcnt vmcnt(0) lgkmcnt(0)
	ds_write_b64 v123, v[0:1]
.LBB180_97:                             ;   in Loop: Header=BB180_92 Depth=1
	s_or_b64 exec, exec, s[4:5]
	s_cmp_eq_u32 s25, 0
	s_cselect_b64 s[12:13], -1, 0
	s_cmp_lg_u32 s25, 0
	s_cselect_b64 s[14:15], -1, 0
	v_lshl_add_u64 v[0:1], v[60:61], 0, v[52:53]
	s_and_b64 vcc, exec, s[14:15]
	s_waitcnt lgkmcnt(0)
	s_barrier
	s_cbranch_vccz .LBB180_105
; %bb.98:                               ;   in Loop: Header=BB180_92 Depth=1
	v_cmp_gt_i32_e32 vcc, s25, v122
	v_mov_b64_e32 v[88:89], 0
	v_mov_b64_e32 v[90:91], 0
	s_and_saveexec_b64 s[4:5], vcc
	s_cbranch_execz .LBB180_100
; %bb.99:                               ;   in Loop: Header=BB180_92 Depth=1
	flat_load_dwordx2 v[90:91], v[0:1]
.LBB180_100:                            ;   in Loop: Header=BB180_92 Depth=1
	s_or_b64 exec, exec, s[4:5]
	v_cmp_gt_i32_e32 vcc, s25, v130
	s_and_saveexec_b64 s[4:5], vcc
	s_cbranch_execz .LBB180_102
; %bb.101:                              ;   in Loop: Header=BB180_92 Depth=1
	v_lshl_add_u64 v[2:3], v[58:59], 0, v[52:53]
	flat_load_dwordx2 v[88:89], v[2:3]
.LBB180_102:                            ;   in Loop: Header=BB180_92 Depth=1
	s_or_b64 exec, exec, s[4:5]
	v_cmp_gt_i32_e32 vcc, s25, v131
	v_mov_b64_e32 v[92:93], 0
	s_and_saveexec_b64 s[4:5], vcc
	s_cbranch_execz .LBB180_104
; %bb.103:                              ;   in Loop: Header=BB180_92 Depth=1
	v_lshl_add_u64 v[2:3], v[56:57], 0, v[52:53]
	flat_load_dwordx2 v[92:93], v[2:3]
.LBB180_104:                            ;   in Loop: Header=BB180_92 Depth=1
	s_or_b64 exec, exec, s[4:5]
	v_cmp_gt_i32_e64 s[4:5], s25, v132
	s_branch .LBB180_107
.LBB180_105:                            ;   in Loop: Header=BB180_92 Depth=1
	s_mov_b64 s[4:5], 0
                                        ; implicit-def: $vgpr92_vgpr93
                                        ; implicit-def: $vgpr88_vgpr89
                                        ; implicit-def: $vgpr90_vgpr91
	s_cbranch_execz .LBB180_107
; %bb.106:                              ;   in Loop: Header=BB180_92 Depth=1
	s_waitcnt vmcnt(0) lgkmcnt(0)
	flat_load_dwordx2 v[90:91], v[0:1]
	v_lshl_add_u64 v[0:1], v[58:59], 0, v[52:53]
	flat_load_dwordx2 v[88:89], v[0:1]
	v_lshl_add_u64 v[0:1], v[56:57], 0, v[52:53]
	flat_load_dwordx2 v[92:93], v[0:1]
	s_or_b64 s[4:5], s[4:5], exec
.LBB180_107:                            ;   in Loop: Header=BB180_92 Depth=1
	v_mov_b64_e32 v[94:95], 0
	s_and_saveexec_b64 s[22:23], s[4:5]
	s_cbranch_execz .LBB180_109
; %bb.108:                              ;   in Loop: Header=BB180_92 Depth=1
	v_lshl_add_u64 v[0:1], v[62:63], 0, v[52:53]
	flat_load_dwordx2 v[94:95], v[0:1]
.LBB180_109:                            ;   in Loop: Header=BB180_92 Depth=1
	s_or_b64 exec, exec, s[22:23]
	ds_read_b64 v[8:9], v125
	ds_read_b128 v[4:7], v124
	ds_read_b128 v[0:3], v124 offset:16
	s_andn2_b64 vcc, exec, s[14:15]
	s_waitcnt vmcnt(0) lgkmcnt(0)
	v_pk_mul_f32 v[10:11], v[8:9], v[90:91] op_sel:[1,1] op_sel_hi:[0,1]
	v_pk_mul_f32 v[12:13], v[8:9], v[88:89] op_sel:[1,1] op_sel_hi:[0,1]
	v_pk_fma_f32 v[14:15], v[8:9], v[90:91], v[10:11] neg_lo:[0,0,1] neg_hi:[0,0,1]
	v_pk_fma_f32 v[10:11], v[8:9], v[90:91], v[10:11] op_sel_hi:[1,0,1]
	s_nop 0
	v_mov_b32_e32 v15, v11
	v_pk_fma_f32 v[10:11], v[8:9], v[88:89], v[12:13] neg_lo:[0,0,1] neg_hi:[0,0,1]
	v_pk_fma_f32 v[12:13], v[8:9], v[88:89], v[12:13] op_sel_hi:[1,0,1]
	s_nop 0
	v_mov_b32_e32 v11, v13
	ds_write2_b64 v126, v[14:15], v[10:11] offset1:67
	v_pk_mul_f32 v[10:11], v[8:9], v[92:93] op_sel:[1,1] op_sel_hi:[0,1]
	v_pk_fma_f32 v[12:13], v[8:9], v[92:93], v[10:11] neg_lo:[0,0,1] neg_hi:[0,0,1]
	v_pk_fma_f32 v[10:11], v[8:9], v[92:93], v[10:11] op_sel_hi:[1,0,1]
	s_nop 0
	v_mov_b32_e32 v13, v11
	v_pk_mul_f32 v[10:11], v[8:9], v[94:95] op_sel:[1,1] op_sel_hi:[0,1]
	v_pk_fma_f32 v[14:15], v[8:9], v[94:95], v[10:11] neg_lo:[0,0,1] neg_hi:[0,0,1]
	v_pk_fma_f32 v[8:9], v[8:9], v[94:95], v[10:11] op_sel_hi:[1,0,1]
	s_nop 0
	v_mov_b32_e32 v15, v9
	ds_write2_b64 v126, v[12:13], v[14:15] offset0:134 offset1:201
	s_waitcnt lgkmcnt(0)
	s_barrier
	ds_read2_b64 v[20:23], v127 offset1:1
	ds_read2_b64 v[16:19], v127 offset0:2 offset1:3
	v_cndmask_b32_e64 v8, 0, 1, s[14:15]
	v_cmp_ne_u32_e64 s[4:5], 1, v8
	v_lshl_add_u64 v[8:9], v[68:69], 0, v[52:53]
	s_waitcnt lgkmcnt(0)
	s_barrier
	s_cbranch_vccnz .LBB180_117
; %bb.110:                              ;   in Loop: Header=BB180_92 Depth=1
	v_cmp_gt_i32_e32 vcc, s25, v133
	v_mov_b64_e32 v[96:97], 0
	v_mov_b64_e32 v[98:99], 0
	s_and_saveexec_b64 s[14:15], vcc
	s_cbranch_execz .LBB180_112
; %bb.111:                              ;   in Loop: Header=BB180_92 Depth=1
	flat_load_dwordx2 v[98:99], v[8:9]
.LBB180_112:                            ;   in Loop: Header=BB180_92 Depth=1
	s_or_b64 exec, exec, s[14:15]
	v_cmp_gt_i32_e32 vcc, s25, v134
	s_and_saveexec_b64 s[14:15], vcc
	s_cbranch_execz .LBB180_114
; %bb.113:                              ;   in Loop: Header=BB180_92 Depth=1
	v_lshl_add_u64 v[10:11], v[66:67], 0, v[52:53]
	flat_load_dwordx2 v[96:97], v[10:11]
.LBB180_114:                            ;   in Loop: Header=BB180_92 Depth=1
	s_or_b64 exec, exec, s[14:15]
	v_cmp_gt_i32_e32 vcc, s25, v135
	v_mov_b64_e32 v[100:101], 0
	s_and_saveexec_b64 s[14:15], vcc
	s_cbranch_execz .LBB180_116
; %bb.115:                              ;   in Loop: Header=BB180_92 Depth=1
	v_lshl_add_u64 v[10:11], v[64:65], 0, v[52:53]
	flat_load_dwordx2 v[100:101], v[10:11]
.LBB180_116:                            ;   in Loop: Header=BB180_92 Depth=1
	s_or_b64 exec, exec, s[14:15]
	v_cmp_gt_i32_e64 s[14:15], s25, v136
	s_branch .LBB180_119
.LBB180_117:                            ;   in Loop: Header=BB180_92 Depth=1
	s_mov_b64 s[14:15], 0
                                        ; implicit-def: $vgpr100_vgpr101
                                        ; implicit-def: $vgpr96_vgpr97
                                        ; implicit-def: $vgpr98_vgpr99
	s_cbranch_execz .LBB180_119
; %bb.118:                              ;   in Loop: Header=BB180_92 Depth=1
	s_waitcnt vmcnt(0) lgkmcnt(0)
	flat_load_dwordx2 v[98:99], v[8:9]
	v_lshl_add_u64 v[8:9], v[66:67], 0, v[52:53]
	flat_load_dwordx2 v[96:97], v[8:9]
	v_lshl_add_u64 v[8:9], v[64:65], 0, v[52:53]
	flat_load_dwordx2 v[100:101], v[8:9]
	s_or_b64 s[14:15], s[14:15], exec
.LBB180_119:                            ;   in Loop: Header=BB180_92 Depth=1
	v_mov_b64_e32 v[102:103], 0
	s_and_saveexec_b64 s[22:23], s[14:15]
	s_cbranch_execz .LBB180_121
; %bb.120:                              ;   in Loop: Header=BB180_92 Depth=1
	v_lshl_add_u64 v[8:9], v[70:71], 0, v[52:53]
	flat_load_dwordx2 v[102:103], v[8:9]
.LBB180_121:                            ;   in Loop: Header=BB180_92 Depth=1
	s_or_b64 exec, exec, s[22:23]
	ds_read_b64 v[24:25], v125
	ds_read_b128 v[12:15], v124 offset:128
	ds_read_b128 v[8:11], v124 offset:144
	s_and_b64 vcc, exec, s[4:5]
	s_waitcnt vmcnt(0) lgkmcnt(0)
	v_pk_mul_f32 v[26:27], v[24:25], v[98:99] op_sel:[1,1] op_sel_hi:[0,1]
	v_pk_mul_f32 v[28:29], v[24:25], v[96:97] op_sel:[1,1] op_sel_hi:[0,1]
	v_pk_fma_f32 v[30:31], v[24:25], v[98:99], v[26:27] neg_lo:[0,0,1] neg_hi:[0,0,1]
	v_pk_fma_f32 v[26:27], v[24:25], v[98:99], v[26:27] op_sel_hi:[1,0,1]
	s_nop 0
	v_mov_b32_e32 v31, v27
	v_pk_fma_f32 v[26:27], v[24:25], v[96:97], v[28:29] neg_lo:[0,0,1] neg_hi:[0,0,1]
	v_pk_fma_f32 v[28:29], v[24:25], v[96:97], v[28:29] op_sel_hi:[1,0,1]
	s_nop 0
	v_mov_b32_e32 v27, v29
	ds_write2_b64 v126, v[30:31], v[26:27] offset1:67
	v_pk_mul_f32 v[26:27], v[24:25], v[100:101] op_sel:[1,1] op_sel_hi:[0,1]
	v_pk_fma_f32 v[28:29], v[24:25], v[100:101], v[26:27] neg_lo:[0,0,1] neg_hi:[0,0,1]
	v_pk_fma_f32 v[26:27], v[24:25], v[100:101], v[26:27] op_sel_hi:[1,0,1]
	s_nop 0
	v_mov_b32_e32 v29, v27
	v_pk_mul_f32 v[26:27], v[24:25], v[102:103] op_sel:[1,1] op_sel_hi:[0,1]
	v_pk_fma_f32 v[30:31], v[24:25], v[102:103], v[26:27] neg_lo:[0,0,1] neg_hi:[0,0,1]
	v_pk_fma_f32 v[24:25], v[24:25], v[102:103], v[26:27] op_sel_hi:[1,0,1]
	s_nop 0
	v_mov_b32_e32 v31, v25
	ds_write2_b64 v126, v[28:29], v[30:31] offset0:134 offset1:201
	s_waitcnt lgkmcnt(0)
	s_barrier
	ds_read2_b64 v[36:39], v127 offset1:1
	ds_read2_b64 v[32:35], v127 offset0:2 offset1:3
	v_lshl_add_u64 v[24:25], v[76:77], 0, v[52:53]
	s_waitcnt lgkmcnt(0)
	s_barrier
	s_cbranch_vccnz .LBB180_129
; %bb.122:                              ;   in Loop: Header=BB180_92 Depth=1
	v_cmp_gt_i32_e32 vcc, s25, v137
	v_mov_b64_e32 v[104:105], 0
	v_mov_b64_e32 v[106:107], 0
	s_and_saveexec_b64 s[14:15], vcc
	s_cbranch_execz .LBB180_124
; %bb.123:                              ;   in Loop: Header=BB180_92 Depth=1
	flat_load_dwordx2 v[106:107], v[24:25]
.LBB180_124:                            ;   in Loop: Header=BB180_92 Depth=1
	s_or_b64 exec, exec, s[14:15]
	v_cmp_gt_i32_e32 vcc, s25, v138
	s_and_saveexec_b64 s[14:15], vcc
	s_cbranch_execz .LBB180_126
; %bb.125:                              ;   in Loop: Header=BB180_92 Depth=1
	v_lshl_add_u64 v[26:27], v[74:75], 0, v[52:53]
	flat_load_dwordx2 v[104:105], v[26:27]
.LBB180_126:                            ;   in Loop: Header=BB180_92 Depth=1
	s_or_b64 exec, exec, s[14:15]
	v_cmp_gt_i32_e32 vcc, s25, v139
	v_mov_b64_e32 v[108:109], 0
	s_and_saveexec_b64 s[14:15], vcc
	s_cbranch_execz .LBB180_128
; %bb.127:                              ;   in Loop: Header=BB180_92 Depth=1
	v_lshl_add_u64 v[26:27], v[72:73], 0, v[52:53]
	flat_load_dwordx2 v[108:109], v[26:27]
.LBB180_128:                            ;   in Loop: Header=BB180_92 Depth=1
	s_or_b64 exec, exec, s[14:15]
	v_cmp_gt_i32_e64 s[14:15], s25, v140
	s_branch .LBB180_131
.LBB180_129:                            ;   in Loop: Header=BB180_92 Depth=1
	s_mov_b64 s[14:15], 0
                                        ; implicit-def: $vgpr108_vgpr109
                                        ; implicit-def: $vgpr104_vgpr105
                                        ; implicit-def: $vgpr106_vgpr107
	s_cbranch_execz .LBB180_131
; %bb.130:                              ;   in Loop: Header=BB180_92 Depth=1
	s_waitcnt vmcnt(0) lgkmcnt(0)
	flat_load_dwordx2 v[106:107], v[24:25]
	v_lshl_add_u64 v[24:25], v[74:75], 0, v[52:53]
	flat_load_dwordx2 v[104:105], v[24:25]
	v_lshl_add_u64 v[24:25], v[72:73], 0, v[52:53]
	flat_load_dwordx2 v[108:109], v[24:25]
	s_or_b64 s[14:15], s[14:15], exec
.LBB180_131:                            ;   in Loop: Header=BB180_92 Depth=1
	v_mov_b64_e32 v[110:111], 0
	s_and_saveexec_b64 s[22:23], s[14:15]
	s_cbranch_execz .LBB180_133
; %bb.132:                              ;   in Loop: Header=BB180_92 Depth=1
	v_lshl_add_u64 v[24:25], v[78:79], 0, v[52:53]
	flat_load_dwordx2 v[110:111], v[24:25]
.LBB180_133:                            ;   in Loop: Header=BB180_92 Depth=1
	s_or_b64 exec, exec, s[22:23]
	ds_read_b64 v[24:25], v125
	s_and_b64 vcc, exec, s[4:5]
	v_lshl_add_u64 v[118:119], v[84:85], 0, v[52:53]
	s_waitcnt vmcnt(0) lgkmcnt(0)
	v_pk_mul_f32 v[26:27], v[24:25], v[106:107] op_sel:[0,1]
	v_pk_mul_f32 v[28:29], v[24:25], v[104:105] op_sel:[0,1]
	v_pk_fma_f32 v[30:31], v[24:25], v[106:107], v[26:27] op_sel:[0,0,1] op_sel_hi:[1,1,0] neg_lo:[0,0,1] neg_hi:[0,0,1]
	v_pk_fma_f32 v[26:27], v[24:25], v[106:107], v[26:27] op_sel:[0,0,1] op_sel_hi:[1,0,0]
	v_pk_fma_f32 v[40:41], v[24:25], v[104:105], v[28:29] op_sel:[0,0,1] op_sel_hi:[1,1,0] neg_lo:[0,0,1] neg_hi:[0,0,1]
	v_pk_fma_f32 v[28:29], v[24:25], v[104:105], v[28:29] op_sel:[0,0,1] op_sel_hi:[1,0,0]
	v_mov_b32_e32 v31, v27
	v_pk_mul_f32 v[26:27], v[24:25], v[108:109] op_sel:[0,1]
	v_mov_b32_e32 v41, v29
	v_pk_fma_f32 v[28:29], v[24:25], v[108:109], v[26:27] op_sel:[0,0,1] op_sel_hi:[1,1,0] neg_lo:[0,0,1] neg_hi:[0,0,1]
	v_pk_fma_f32 v[26:27], v[24:25], v[108:109], v[26:27] op_sel:[0,0,1] op_sel_hi:[1,0,0]
	ds_write2_b64 v126, v[30:31], v[40:41] offset1:67
	v_mov_b32_e32 v29, v27
	v_pk_mul_f32 v[26:27], v[24:25], v[110:111] op_sel:[0,1]
	s_nop 0
	v_pk_fma_f32 v[30:31], v[24:25], v[110:111], v[26:27] op_sel:[0,0,1] op_sel_hi:[1,1,0] neg_lo:[0,0,1] neg_hi:[0,0,1]
	v_pk_fma_f32 v[24:25], v[24:25], v[110:111], v[26:27] op_sel:[0,0,1] op_sel_hi:[1,0,0]
	s_nop 0
	v_mov_b32_e32 v31, v25
	ds_write2_b64 v126, v[28:29], v[30:31] offset0:134 offset1:201
	ds_read_b128 v[28:31], v124 offset:256
	ds_read_b128 v[24:27], v124 offset:272
	s_waitcnt lgkmcnt(0)
	s_barrier
	ds_read2_b64 v[44:47], v127 offset1:1
	ds_read2_b64 v[40:43], v127 offset0:2 offset1:3
	s_waitcnt lgkmcnt(0)
	s_barrier
	s_cbranch_vccnz .LBB180_141
; %bb.134:                              ;   in Loop: Header=BB180_92 Depth=1
	v_cmp_gt_i32_e32 vcc, s25, v141
	v_mov_b64_e32 v[112:113], 0
	v_mov_b64_e32 v[114:115], 0
	s_and_saveexec_b64 s[4:5], vcc
	s_cbranch_execz .LBB180_136
; %bb.135:                              ;   in Loop: Header=BB180_92 Depth=1
	flat_load_dwordx2 v[114:115], v[118:119]
.LBB180_136:                            ;   in Loop: Header=BB180_92 Depth=1
	s_or_b64 exec, exec, s[4:5]
	v_cmp_gt_i32_e32 vcc, s25, v142
	s_and_saveexec_b64 s[4:5], vcc
	s_cbranch_execz .LBB180_138
; %bb.137:                              ;   in Loop: Header=BB180_92 Depth=1
	v_lshl_add_u64 v[112:113], v[82:83], 0, v[52:53]
	flat_load_dwordx2 v[112:113], v[112:113]
.LBB180_138:                            ;   in Loop: Header=BB180_92 Depth=1
	s_or_b64 exec, exec, s[4:5]
	v_cmp_gt_i32_e32 vcc, s25, v144
	v_mov_b64_e32 v[116:117], 0
	s_and_saveexec_b64 s[4:5], vcc
	s_cbranch_execz .LBB180_140
; %bb.139:                              ;   in Loop: Header=BB180_92 Depth=1
	v_lshl_add_u64 v[116:117], v[80:81], 0, v[52:53]
	flat_load_dwordx2 v[116:117], v[116:117]
.LBB180_140:                            ;   in Loop: Header=BB180_92 Depth=1
	s_or_b64 exec, exec, s[4:5]
	v_cmp_gt_i32_e64 s[4:5], s25, v145
	s_branch .LBB180_143
.LBB180_141:                            ;   in Loop: Header=BB180_92 Depth=1
	s_mov_b64 s[4:5], 0
                                        ; implicit-def: $vgpr116_vgpr117
                                        ; implicit-def: $vgpr112_vgpr113
                                        ; implicit-def: $vgpr114_vgpr115
	s_cbranch_execz .LBB180_143
; %bb.142:                              ;   in Loop: Header=BB180_92 Depth=1
	s_waitcnt vmcnt(0) lgkmcnt(0)
	v_lshl_add_u64 v[112:113], v[82:83], 0, v[52:53]
	v_lshl_add_u64 v[116:117], v[80:81], 0, v[52:53]
	flat_load_dwordx2 v[114:115], v[118:119]
	s_or_b64 s[4:5], s[4:5], exec
	flat_load_dwordx2 v[112:113], v[112:113]
	s_nop 0
	flat_load_dwordx2 v[116:117], v[116:117]
.LBB180_143:                            ;   in Loop: Header=BB180_92 Depth=1
	v_mov_b64_e32 v[118:119], 0
	s_and_saveexec_b64 s[14:15], s[4:5]
	s_cbranch_execz .LBB180_145
; %bb.144:                              ;   in Loop: Header=BB180_92 Depth=1
	v_lshl_add_u64 v[118:119], v[86:87], 0, v[52:53]
	flat_load_dwordx2 v[118:119], v[118:119]
.LBB180_145:                            ;   in Loop: Header=BB180_92 Depth=1
	s_or_b64 exec, exec, s[14:15]
	v_pk_add_f32 v[44:45], v[44:45], 0 op_sel_hi:[1,0]
	v_pk_add_f32 v[36:37], v[36:37], 0 op_sel_hi:[1,0]
	v_pk_add_f32 v[44:45], v[44:45], v[46:47]
	v_pk_add_f32 v[36:37], v[36:37], v[38:39]
	;; [unrolled: 1-line block ×5, first 2 shown]
	ds_read_b64 v[40:41], v125
	v_pk_add_f32 v[46:47], v[32:33], v[34:35]
	v_pk_add_f32 v[20:21], v[20:21], 0 op_sel_hi:[1,0]
	v_cmp_gt_i32_e32 vcc, s25, v120
	v_pk_add_f32 v[148:149], v[20:21], v[22:23]
	s_waitcnt vmcnt(0) lgkmcnt(0)
	v_pk_mul_f32 v[32:33], v[40:41], v[114:115] op_sel:[0,1]
	v_pk_add_f32 v[16:17], v[148:149], v[16:17]
	v_pk_fma_f32 v[34:35], v[40:41], v[114:115], v[32:33] op_sel:[0,0,1] op_sel_hi:[1,1,0] neg_lo:[0,0,1] neg_hi:[0,0,1]
	v_pk_fma_f32 v[32:33], v[40:41], v[114:115], v[32:33] op_sel:[0,0,1] op_sel_hi:[1,0,0]
	v_pk_add_f32 v[16:17], v[16:17], v[18:19]
	v_mov_b32_e32 v35, v33
	v_pk_mul_f32 v[32:33], v[40:41], v[112:113] op_sel:[0,1]
	s_or_b64 s[4:5], s[12:13], vcc
	v_pk_fma_f32 v[36:37], v[40:41], v[112:113], v[32:33] op_sel:[0,0,1] op_sel_hi:[1,1,0] neg_lo:[0,0,1] neg_hi:[0,0,1]
	v_pk_fma_f32 v[32:33], v[40:41], v[112:113], v[32:33] op_sel:[0,0,1] op_sel_hi:[1,0,0]
	s_and_b64 s[12:13], s[6:7], s[4:5]
	v_mov_b32_e32 v37, v33
	v_pk_mul_f32 v[32:33], v[40:41], v[116:117] op_sel:[0,1]
	ds_write2_b64 v126, v[34:35], v[36:37] offset1:67
	v_pk_fma_f32 v[34:35], v[40:41], v[116:117], v[32:33] op_sel:[0,0,1] op_sel_hi:[1,1,0] neg_lo:[0,0,1] neg_hi:[0,0,1]
	v_pk_fma_f32 v[32:33], v[40:41], v[116:117], v[32:33] op_sel:[0,0,1] op_sel_hi:[1,0,0]
	s_nop 0
	v_mov_b32_e32 v35, v33
	v_pk_mul_f32 v[32:33], v[40:41], v[118:119] op_sel:[0,1]
	s_nop 0
	v_pk_fma_f32 v[36:37], v[40:41], v[118:119], v[32:33] op_sel:[0,0,1] op_sel_hi:[1,1,0] neg_lo:[0,0,1] neg_hi:[0,0,1]
	v_pk_fma_f32 v[32:33], v[40:41], v[118:119], v[32:33] op_sel:[0,0,1] op_sel_hi:[1,0,0]
	s_nop 0
	v_mov_b32_e32 v37, v33
	ds_write2_b64 v126, v[34:35], v[36:37] offset0:134 offset1:201
	ds_read_b128 v[36:39], v124 offset:384
	ds_read_b128 v[32:35], v124 offset:400
	s_waitcnt lgkmcnt(0)
	s_barrier
	ds_read2_b64 v[40:43], v127 offset1:1
	ds_read2_b64 v[20:23], v127 offset0:2 offset1:3
	s_waitcnt lgkmcnt(0)
	s_barrier
	v_pk_add_f32 v[18:19], v[40:41], 0 op_sel_hi:[1,0]
	s_nop 0
	v_pk_add_f32 v[18:19], v[18:19], v[42:43]
	s_nop 0
	v_pk_add_f32 v[18:19], v[18:19], v[20:21]
	;; [unrolled: 2-line block ×3, first 2 shown]
	ds_write2_b64 v143, v[16:17], v[46:47] offset1:16
	ds_write2_b64 v143, v[44:45], v[18:19] offset0:32 offset1:48
	s_waitcnt lgkmcnt(0)
	s_barrier
	s_and_saveexec_b64 s[4:5], s[12:13]
	s_cbranch_execz .LBB180_91
; %bb.146:                              ;   in Loop: Header=BB180_92 Depth=1
	ds_read_b64 v[40:41], v128
	ds_read2_b64 v[16:19], v128 offset0:1 offset1:2
	ds_read2_b64 v[20:23], v128 offset0:3 offset1:4
	v_add_u32_e32 v42, s24, v120
	v_ashrrev_i32_e32 v43, 31, v42
	v_lshl_add_u64 v[44:45], v[42:43], 3, s[8:9]
	s_waitcnt lgkmcnt(1)
	v_add_f32_e32 v16, v16, v40
	v_add_f32_e32 v17, v17, v41
	;; [unrolled: 1-line block ×4, first 2 shown]
	ds_read2_b64 v[16:19], v128 offset0:5 offset1:6
	s_waitcnt lgkmcnt(1)
	v_add_f32_e32 v20, v40, v20
	v_add_f32_e32 v21, v41, v21
	;; [unrolled: 1-line block ×4, first 2 shown]
	ds_read2_b64 v[20:23], v128 offset0:7 offset1:8
	s_waitcnt lgkmcnt(1)
	v_pk_add_f32 v[16:17], v[40:41], v[16:17]
	ds_read2_b64 v[40:43], v128 offset0:9 offset1:10
	v_pk_add_f32 v[16:17], v[16:17], v[18:19]
	s_waitcnt lgkmcnt(1)
	v_pk_add_f32 v[16:17], v[16:17], v[20:21]
	s_nop 0
	v_pk_add_f32 v[20:21], v[16:17], v[22:23]
	ds_read2_b64 v[16:19], v128 offset0:11 offset1:12
	s_waitcnt lgkmcnt(1)
	v_pk_add_f32 v[40:41], v[20:21], v[40:41]
	ds_read2_b64 v[20:23], v128 offset0:13 offset1:14
	v_pk_add_f32 v[40:41], v[40:41], v[42:43]
	ds_read_b64 v[42:43], v129
	s_waitcnt lgkmcnt(2)
	v_pk_add_f32 v[16:17], v[40:41], v[16:17]
	s_nop 0
	v_pk_add_f32 v[16:17], v[16:17], v[18:19]
	s_waitcnt lgkmcnt(1)
	v_pk_add_f32 v[16:17], v[16:17], v[20:21]
	s_nop 0
	v_pk_add_f32 v[16:17], v[16:17], v[22:23]
	s_waitcnt lgkmcnt(0)
	v_pk_add_f32 v[16:17], v[16:17], v[42:43]
	global_store_dwordx2 v[44:45], v[16:17], off
	s_branch .LBB180_91
.LBB180_147:
	s_movk_i32 s2, 0x218
	v_cmp_gt_i32_e32 vcc, s18, v120
	v_mad_u32_u24 v0, v121, s2, v52
	s_or_b64 s[2:3], s[20:21], vcc
	s_and_b64 s[0:1], s[0:1], s[2:3]
	ds_write_b64 v0, v[50:51]
	s_waitcnt lgkmcnt(0)
	s_barrier
	s_and_saveexec_b64 s[2:3], s[0:1]
	s_cbranch_execz .LBB180_149
; %bb.148:
	ds_read2_b64 v[0:3], v52 offset1:67
	ds_read2_b64 v[4:7], v52 offset0:134 offset1:201
	v_lshl_add_u64 v[8:9], v[48:49], 3, s[8:9]
	s_waitcnt lgkmcnt(1)
	v_pk_add_f32 v[0:1], v[2:3], v[0:1]
	s_waitcnt lgkmcnt(0)
	v_pk_add_f32 v[0:1], v[4:5], v[0:1]
	s_nop 0
	v_pk_add_f32 v[0:1], v[0:1], v[6:7]
	global_store_dwordx2 v[8:9], v[0:1], off
.LBB180_149:
	s_endpgm
	.section	.rodata,"a",@progbits
	.p2align	6, 0x0
	.amdhsa_kernel _ZL26rocblas_hemvn_kernel_upperILb0ELi64ELi4ELi33ELi32ELi16ElPK19rocblas_complex_numIfEPKS3_PS1_EviT6_lT7_lT5_lS8_lS9_lS7_lT8_i
		.amdhsa_group_segment_fixed_size 9600
		.amdhsa_private_segment_fixed_size 0
		.amdhsa_kernarg_size 376
		.amdhsa_user_sgpr_count 2
		.amdhsa_user_sgpr_dispatch_ptr 0
		.amdhsa_user_sgpr_queue_ptr 0
		.amdhsa_user_sgpr_kernarg_segment_ptr 1
		.amdhsa_user_sgpr_dispatch_id 0
		.amdhsa_user_sgpr_kernarg_preload_length 0
		.amdhsa_user_sgpr_kernarg_preload_offset 0
		.amdhsa_user_sgpr_private_segment_size 0
		.amdhsa_uses_dynamic_stack 0
		.amdhsa_enable_private_segment 0
		.amdhsa_system_sgpr_workgroup_id_x 1
		.amdhsa_system_sgpr_workgroup_id_y 0
		.amdhsa_system_sgpr_workgroup_id_z 1
		.amdhsa_system_sgpr_workgroup_info 0
		.amdhsa_system_vgpr_workitem_id 1
		.amdhsa_next_free_vgpr 150
		.amdhsa_next_free_sgpr 38
		.amdhsa_accum_offset 152
		.amdhsa_reserve_vcc 1
		.amdhsa_float_round_mode_32 0
		.amdhsa_float_round_mode_16_64 0
		.amdhsa_float_denorm_mode_32 3
		.amdhsa_float_denorm_mode_16_64 3
		.amdhsa_dx10_clamp 1
		.amdhsa_ieee_mode 1
		.amdhsa_fp16_overflow 0
		.amdhsa_tg_split 0
		.amdhsa_exception_fp_ieee_invalid_op 0
		.amdhsa_exception_fp_denorm_src 0
		.amdhsa_exception_fp_ieee_div_zero 0
		.amdhsa_exception_fp_ieee_overflow 0
		.amdhsa_exception_fp_ieee_underflow 0
		.amdhsa_exception_fp_ieee_inexact 0
		.amdhsa_exception_int_div_zero 0
	.end_amdhsa_kernel
	.section	.text._ZL26rocblas_hemvn_kernel_upperILb0ELi64ELi4ELi33ELi32ELi16ElPK19rocblas_complex_numIfEPKS3_PS1_EviT6_lT7_lT5_lS8_lS9_lS7_lT8_i,"axG",@progbits,_ZL26rocblas_hemvn_kernel_upperILb0ELi64ELi4ELi33ELi32ELi16ElPK19rocblas_complex_numIfEPKS3_PS1_EviT6_lT7_lT5_lS8_lS9_lS7_lT8_i,comdat
.Lfunc_end180:
	.size	_ZL26rocblas_hemvn_kernel_upperILb0ELi64ELi4ELi33ELi32ELi16ElPK19rocblas_complex_numIfEPKS3_PS1_EviT6_lT7_lT5_lS8_lS9_lS7_lT8_i, .Lfunc_end180-_ZL26rocblas_hemvn_kernel_upperILb0ELi64ELi4ELi33ELi32ELi16ElPK19rocblas_complex_numIfEPKS3_PS1_EviT6_lT7_lT5_lS8_lS9_lS7_lT8_i
                                        ; -- End function
	.set _ZL26rocblas_hemvn_kernel_upperILb0ELi64ELi4ELi33ELi32ELi16ElPK19rocblas_complex_numIfEPKS3_PS1_EviT6_lT7_lT5_lS8_lS9_lS7_lT8_i.num_vgpr, 150
	.set _ZL26rocblas_hemvn_kernel_upperILb0ELi64ELi4ELi33ELi32ELi16ElPK19rocblas_complex_numIfEPKS3_PS1_EviT6_lT7_lT5_lS8_lS9_lS7_lT8_i.num_agpr, 0
	.set _ZL26rocblas_hemvn_kernel_upperILb0ELi64ELi4ELi33ELi32ELi16ElPK19rocblas_complex_numIfEPKS3_PS1_EviT6_lT7_lT5_lS8_lS9_lS7_lT8_i.numbered_sgpr, 38
	.set _ZL26rocblas_hemvn_kernel_upperILb0ELi64ELi4ELi33ELi32ELi16ElPK19rocblas_complex_numIfEPKS3_PS1_EviT6_lT7_lT5_lS8_lS9_lS7_lT8_i.num_named_barrier, 0
	.set _ZL26rocblas_hemvn_kernel_upperILb0ELi64ELi4ELi33ELi32ELi16ElPK19rocblas_complex_numIfEPKS3_PS1_EviT6_lT7_lT5_lS8_lS9_lS7_lT8_i.private_seg_size, 0
	.set _ZL26rocblas_hemvn_kernel_upperILb0ELi64ELi4ELi33ELi32ELi16ElPK19rocblas_complex_numIfEPKS3_PS1_EviT6_lT7_lT5_lS8_lS9_lS7_lT8_i.uses_vcc, 1
	.set _ZL26rocblas_hemvn_kernel_upperILb0ELi64ELi4ELi33ELi32ELi16ElPK19rocblas_complex_numIfEPKS3_PS1_EviT6_lT7_lT5_lS8_lS9_lS7_lT8_i.uses_flat_scratch, 0
	.set _ZL26rocblas_hemvn_kernel_upperILb0ELi64ELi4ELi33ELi32ELi16ElPK19rocblas_complex_numIfEPKS3_PS1_EviT6_lT7_lT5_lS8_lS9_lS7_lT8_i.has_dyn_sized_stack, 0
	.set _ZL26rocblas_hemvn_kernel_upperILb0ELi64ELi4ELi33ELi32ELi16ElPK19rocblas_complex_numIfEPKS3_PS1_EviT6_lT7_lT5_lS8_lS9_lS7_lT8_i.has_recursion, 0
	.set _ZL26rocblas_hemvn_kernel_upperILb0ELi64ELi4ELi33ELi32ELi16ElPK19rocblas_complex_numIfEPKS3_PS1_EviT6_lT7_lT5_lS8_lS9_lS7_lT8_i.has_indirect_call, 0
	.section	.AMDGPU.csdata,"",@progbits
; Kernel info:
; codeLenInByte = 8752
; TotalNumSgprs: 44
; NumVgprs: 150
; NumAgprs: 0
; TotalNumVgprs: 150
; ScratchSize: 0
; MemoryBound: 1
; FloatMode: 240
; IeeeMode: 1
; LDSByteSize: 9600 bytes/workgroup (compile time only)
; SGPRBlocks: 5
; VGPRBlocks: 18
; NumSGPRsForWavesPerEU: 44
; NumVGPRsForWavesPerEU: 150
; AccumOffset: 152
; Occupancy: 3
; WaveLimiterHint : 1
; COMPUTE_PGM_RSRC2:SCRATCH_EN: 0
; COMPUTE_PGM_RSRC2:USER_SGPR: 2
; COMPUTE_PGM_RSRC2:TRAP_HANDLER: 0
; COMPUTE_PGM_RSRC2:TGID_X_EN: 1
; COMPUTE_PGM_RSRC2:TGID_Y_EN: 0
; COMPUTE_PGM_RSRC2:TGID_Z_EN: 1
; COMPUTE_PGM_RSRC2:TIDIG_COMP_CNT: 1
; COMPUTE_PGM_RSRC3_GFX90A:ACCUM_OFFSET: 37
; COMPUTE_PGM_RSRC3_GFX90A:TG_SPLIT: 0
	.section	.text._ZL26rocblas_hemvn_kernel_upperILb0ELi64ELi4ELi33ELi32ELi16EiPK19rocblas_complex_numIfEPKS3_PS1_EviT6_lT7_lT5_lS8_lS9_lS7_lT8_i,"axG",@progbits,_ZL26rocblas_hemvn_kernel_upperILb0ELi64ELi4ELi33ELi32ELi16EiPK19rocblas_complex_numIfEPKS3_PS1_EviT6_lT7_lT5_lS8_lS9_lS7_lT8_i,comdat
	.globl	_ZL26rocblas_hemvn_kernel_upperILb0ELi64ELi4ELi33ELi32ELi16EiPK19rocblas_complex_numIfEPKS3_PS1_EviT6_lT7_lT5_lS8_lS9_lS7_lT8_i ; -- Begin function _ZL26rocblas_hemvn_kernel_upperILb0ELi64ELi4ELi33ELi32ELi16EiPK19rocblas_complex_numIfEPKS3_PS1_EviT6_lT7_lT5_lS8_lS9_lS7_lT8_i
	.p2align	8
	.type	_ZL26rocblas_hemvn_kernel_upperILb0ELi64ELi4ELi33ELi32ELi16EiPK19rocblas_complex_numIfEPKS3_PS1_EviT6_lT7_lT5_lS8_lS9_lS7_lT8_i,@function
_ZL26rocblas_hemvn_kernel_upperILb0ELi64ELi4ELi33ELi32ELi16EiPK19rocblas_complex_numIfEPKS3_PS1_EviT6_lT7_lT5_lS8_lS9_lS7_lT8_i: ; @_ZL26rocblas_hemvn_kernel_upperILb0ELi64ELi4ELi33ELi32ELi16EiPK19rocblas_complex_numIfEPKS3_PS1_EviT6_lT7_lT5_lS8_lS9_lS7_lT8_i
; %bb.0:
	s_load_dwordx2 s[4:5], s[0:1], 0x84
	s_add_u32 s12, s0, 0x78
	s_mov_b32 s22, s3
	s_addc_u32 s13, s1, 0
	s_waitcnt lgkmcnt(0)
	s_and_b32 s3, s5, 0xffff
	s_lshr_b32 s5, s4, 16
	s_and_b32 s4, s4, 0xffff
	s_mul_i32 s4, s5, s4
	s_mul_i32 s4, s4, s3
	s_cmpk_lg_i32 s4, 0x100
	s_cbranch_scc1 .LBB181_149
; %bb.1:
	s_load_dwordx8 s[4:11], s[0:1], 0x8
	s_mov_b32 s23, 0
	s_waitcnt lgkmcnt(0)
	s_mul_i32 s3, s7, s22
	s_mul_hi_u32 s7, s6, s22
	s_add_i32 s7, s7, s3
	s_mul_i32 s6, s6, s22
	s_lshl_b64 s[6:7], s[6:7], 3
	s_add_u32 s14, s4, s6
	s_addc_u32 s15, s5, s7
	s_load_dwordx2 s[16:17], s[14:15], 0x0
	s_load_dwordx2 s[24:25], s[0:1], 0x68
	s_load_dwordx4 s[4:7], s[0:1], 0x58
	s_mov_b64 s[14:15], -1
	s_waitcnt lgkmcnt(0)
	s_or_b32 s3, s16, s17
	s_bitset0_b32 s3, 31
	s_cmp_lg_u32 s3, 0
	s_cbranch_scc1 .LBB181_3
; %bb.2:
	s_mul_i32 s3, s7, s22
	s_mul_hi_u32 s7, s6, s22
	s_add_i32 s7, s7, s3
	s_mul_i32 s6, s6, s22
	s_lshl_b64 s[6:7], s[6:7], 3
	s_add_u32 s4, s4, s6
	s_addc_u32 s5, s5, s7
	s_load_dwordx2 s[6:7], s[4:5], 0x0
	s_mov_b64 s[14:15], 0
	s_waitcnt lgkmcnt(0)
	v_cmp_eq_f32_e64 s[4:5], s6, 1.0
	v_cmp_eq_f32_e64 s[6:7], s7, 0
	s_and_b64 s[4:5], s[4:5], s[6:7]
	s_andn2_b64 vcc, exec, s[4:5]
.LBB181_3:
	s_andn2_b64 vcc, exec, s[14:15]
	s_cbranch_vccnz .LBB181_149
; %bb.4:
	s_load_dwordx4 s[4:7], s[0:1], 0x38
	s_load_dword s36, s[0:1], 0x48
	s_lshl_b64 s[14:15], s[22:23], 3
	s_add_u32 s8, s8, s14
	s_addc_u32 s9, s9, s15
	s_waitcnt lgkmcnt(0)
	s_add_u32 s14, s4, s14
	s_addc_u32 s15, s5, s15
	s_load_dwordx2 s[16:17], s[14:15], 0x0
	s_load_dword s23, s[0:1], 0x0
	s_load_dword s3, s[12:13], 0x0
	s_load_dwordx2 s[4:5], s[8:9], 0x0
	s_lshl_b64 s[6:7], s[6:7], 3
	s_waitcnt lgkmcnt(0)
	s_add_u32 s6, s16, s6
	s_addc_u32 s7, s17, s7
	s_ashr_i32 s37, s23, 31
	s_lshr_b32 s9, s37, 26
	v_and_b32_e32 v50, 0x3ff, v0
	s_lshl_b32 s26, s2, 6
	s_add_i32 s9, s23, s9
	s_andn2_b32 s9, s9, 63
	v_add_u32_e32 v48, s26, v50
	v_bfe_u32 v49, v0, 10, 10
	s_add_i32 s8, s3, -1
	s_sub_i32 s33, s23, s9
	v_mul_lo_u32 v0, s36, v48
	s_cmp_eq_u32 s2, s8
	v_ashrrev_i32_e32 v1, 31, v0
	s_cselect_b32 s16, s33, 0
	v_lshl_add_u64 v[14:15], v[0:1], 3, s[6:7]
	v_cmp_eq_u32_e64 s[12:13], 0, v49
	s_and_saveexec_b64 s[6:7], s[12:13]
	s_cbranch_execz .LBB181_9
; %bb.5:
	s_cmp_lg_u32 s16, 0
	s_cselect_b64 s[8:9], -1, 0
	v_cmp_le_i32_e32 vcc, s16, v50
	v_mov_b32_e32 v0, 0x2380
	s_and_b64 s[8:9], s[8:9], vcc
	v_lshl_add_u32 v0, v50, 3, v0
	s_and_saveexec_b64 s[14:15], s[8:9]
	s_xor_b64 s[8:9], exec, s[14:15]
; %bb.6:
	v_mov_b32_e32 v2, 0
	v_mov_b32_e32 v3, v2
	ds_write_b64 v0, v[2:3]
                                        ; implicit-def: $vgpr0
; %bb.7:
	s_andn2_saveexec_b64 s[8:9], s[8:9]
	s_cbranch_execz .LBB181_9
; %bb.8:
	flat_load_dwordx2 v[2:3], v[14:15]
	s_waitcnt vmcnt(0) lgkmcnt(0)
	ds_write_b64 v0, v[2:3]
.LBB181_9:
	s_or_b64 exec, exec, s[6:7]
	s_lshl_b64 s[6:7], s[10:11], 3
	s_load_dword s20, s[0:1], 0x28
	s_add_u32 s4, s4, s6
	s_addc_u32 s5, s5, s7
	s_ashr_i32 s27, s26, 31
	v_lshl_add_u32 v22, v49, 6, v50
	s_lshl_b64 s[0:1], s[26:27], 3
	v_and_b32_e32 v2, 31, v50
	v_lshrrev_b32_e32 v10, 5, v22
	s_add_u32 s0, s4, s0
	s_addc_u32 s1, s5, s1
	s_waitcnt lgkmcnt(0)
	v_mad_u64_u32 v[12:13], s[4:5], s20, v10, v[2:3]
	v_ashrrev_i32_e32 v13, 31, v12
	v_lshl_add_u64 v[0:1], v[12:13], 3, s[0:1]
	s_mul_i32 s0, s20, s26
	s_ashr_i32 s1, s0, 31
	s_cmp_eq_u32 s16, 0
	s_cselect_b64 s[18:19], -1, 0
	s_cmp_lg_u32 s16, 0
	s_cselect_b64 s[30:31], -1, 0
	v_lshl_add_u64 v[6:7], s[0:1], 3, v[0:1]
	s_and_b64 vcc, exec, s[30:31]
	v_cmp_gt_i32_e64 s[0:1], s16, v2
	v_lshlrev_b32_e32 v0, 3, v2
	s_cbranch_vccz .LBB181_25
; %bb.10:
	v_sub_co_u32_e32 v4, vcc, v6, v0
	s_ashr_i32 s17, s16, 31
	s_nop 0
	v_subbrev_co_u32_e32 v5, vcc, 0, v7, vcc
	v_lshl_add_u64 v[4:5], s[16:17], 3, v[4:5]
	v_mov_b32_e32 v8, 0
	v_lshl_add_u64 v[4:5], v[4:5], 0, -8
	v_cndmask_b32_e64 v5, v5, v7, s[0:1]
	v_cndmask_b32_e64 v4, v4, v6, s[0:1]
	v_cmp_gt_i32_e32 vcc, s16, v10
	v_mov_b32_e32 v9, v8
	s_and_saveexec_b64 s[4:5], vcc
	s_cbranch_execz .LBB181_12
; %bb.11:
	flat_load_dwordx2 v[8:9], v[4:5]
.LBB181_12:
	s_or_b64 exec, exec, s[4:5]
	s_movk_i32 s4, 0x108
	v_mad_u32_u24 v3, v10, s4, v0
	v_mul_u32_u24_e32 v1, 0x108, v10
	s_waitcnt vmcnt(0) lgkmcnt(0)
	ds_write_b64 v3, v[8:9]
	v_add_u32_e32 v3, 8, v10
	v_cmp_le_i32_e32 vcc, s16, v3
	v_add_u32_e32 v1, v1, v0
	s_and_saveexec_b64 s[4:5], vcc
	s_xor_b64 s[4:5], exec, s[4:5]
; %bb.13:
	v_mov_b32_e32 v8, 0
	v_mov_b32_e32 v9, v8
	ds_write_b64 v1, v[8:9] offset:2112
; %bb.14:
	s_andn2_saveexec_b64 s[4:5], s[4:5]
	s_cbranch_execz .LBB181_16
; %bb.15:
	s_lshl_b32 s6, s20, 3
	s_ashr_i32 s7, s6, 31
	v_lshl_add_u64 v[8:9], s[6:7], 3, v[4:5]
	flat_load_dwordx2 v[8:9], v[8:9]
	s_waitcnt vmcnt(0) lgkmcnt(0)
	ds_write_b64 v1, v[8:9] offset:2112
.LBB181_16:
	s_or_b64 exec, exec, s[4:5]
	v_add_u32_e32 v3, 16, v10
	v_cmp_le_i32_e32 vcc, s16, v3
	s_and_saveexec_b64 s[4:5], vcc
	s_xor_b64 s[4:5], exec, s[4:5]
; %bb.17:
	v_mov_b32_e32 v8, 0
	v_mov_b32_e32 v9, v8
	ds_write_b64 v1, v[8:9] offset:4224
; %bb.18:
	s_andn2_saveexec_b64 s[4:5], s[4:5]
	s_cbranch_execz .LBB181_20
; %bb.19:
	s_lshl_b32 s6, s20, 4
	s_ashr_i32 s7, s6, 31
	v_lshl_add_u64 v[8:9], s[6:7], 3, v[4:5]
	flat_load_dwordx2 v[8:9], v[8:9]
	s_waitcnt vmcnt(0) lgkmcnt(0)
	ds_write_b64 v1, v[8:9] offset:4224
.LBB181_20:
	s_or_b64 exec, exec, s[4:5]
	v_add_u32_e32 v3, 24, v10
	v_cmp_le_i32_e32 vcc, s16, v3
	s_and_saveexec_b64 s[4:5], vcc
	s_xor_b64 s[4:5], exec, s[4:5]
; %bb.21:
	v_mov_b32_e32 v8, 0
	v_mov_b32_e32 v9, v8
	ds_write_b64 v1, v[8:9] offset:6336
                                        ; implicit-def: $vgpr1
; %bb.22:
	s_andn2_saveexec_b64 s[4:5], s[4:5]
	s_cbranch_execz .LBB181_24
; %bb.23:
	s_mul_i32 s6, s20, 24
	s_ashr_i32 s7, s6, 31
	v_lshl_add_u64 v[8:9], s[6:7], 3, v[4:5]
	flat_load_dwordx2 v[8:9], v[8:9]
	s_waitcnt vmcnt(0) lgkmcnt(0)
	ds_write_b64 v1, v[8:9] offset:6336
.LBB181_24:
	s_or_b64 exec, exec, s[4:5]
	v_mov_b32_e32 v1, 0
	v_lshl_add_u64 v[4:5], v[4:5], 0, v[0:1]
	s_lshl_b64 s[4:5], s[16:17], 3
	v_mov_b32_e32 v1, s5
	v_subrev_co_u32_e32 v4, vcc, s4, v4
	s_nop 1
	v_subb_co_u32_e32 v5, vcc, v5, v1, vcc
	v_lshl_add_u64 v[4:5], v[4:5], 0, 8
	v_cndmask_b32_e64 v5, v5, v7, s[0:1]
	v_cndmask_b32_e64 v4, v4, v6, s[0:1]
	s_branch .LBB181_27
.LBB181_25:
                                        ; implicit-def: $vgpr4_vgpr5
	s_cbranch_execz .LBB181_27
; %bb.26:
	s_lshl_b32 s0, s20, 3
	s_ashr_i32 s1, s0, 31
	s_ashr_i32 s21, s20, 31
	v_lshl_add_u64 v[4:5], s[0:1], 3, v[6:7]
	s_lshl_b64 s[0:1], s[20:21], 6
	v_lshl_add_u64 v[8:9], v[4:5], 0, s[0:1]
	v_lshl_add_u64 v[16:17], v[8:9], 0, s[0:1]
	flat_load_dwordx2 v[18:19], v[6:7]
	flat_load_dwordx2 v[20:21], v[4:5]
	;; [unrolled: 1-line block ×4, first 2 shown]
	v_mul_u32_u24_e32 v1, 0x108, v10
	v_lshl_add_u32 v1, v2, 3, v1
	v_mov_b64_e32 v[4:5], v[6:7]
	s_waitcnt vmcnt(0) lgkmcnt(0)
	ds_write_b64 v1, v[18:19]
	ds_write_b64 v1, v[20:21] offset:2112
	ds_write_b64 v1, v[24:25] offset:4224
	ds_write_b64 v1, v[26:27] offset:6336
.LBB181_27:
	v_lshlrev_b32_e32 v3, 2, v10
	v_lshl_or_b32 v1, v2, 8, v0
	v_cmp_gt_u32_e64 s[4:5], v3, v2
	v_lshl_add_u32 v1, v3, 3, v1
	s_waitcnt lgkmcnt(0)
	s_barrier
	s_and_saveexec_b64 s[0:1], s[4:5]
	s_cbranch_execz .LBB181_29
; %bb.28:
	s_movk_i32 s6, 0x420
	v_mad_u32_u24 v6, v10, s6, v0
	ds_read_b64 v[6:7], v6
	s_waitcnt lgkmcnt(0)
	ds_write_b64 v1, v[6:7]
.LBB181_29:
	s_or_b64 exec, exec, s[0:1]
	v_or_b32_e32 v11, 1, v3
	v_cmp_ge_u32_e64 s[6:7], v3, v2
	s_and_saveexec_b64 s[0:1], s[6:7]
	s_cbranch_execz .LBB181_31
; %bb.30:
	s_movk_i32 s8, 0x108
	v_mad_u32_u24 v6, v11, s8, v0
	ds_read_b64 v[6:7], v6
	s_waitcnt lgkmcnt(0)
	ds_write_b64 v1, v[6:7] offset:8
.LBB181_31:
	s_or_b64 exec, exec, s[0:1]
	v_or_b32_e32 v6, 2, v3
	v_cmp_gt_u32_e64 s[8:9], v6, v2
	s_and_saveexec_b64 s[0:1], s[8:9]
	s_cbranch_execz .LBB181_33
; %bb.32:
	s_movk_i32 s10, 0x108
	v_mad_u32_u24 v6, v6, s10, v0
	ds_read_b64 v[6:7], v6
	s_waitcnt lgkmcnt(0)
	ds_write_b64 v1, v[6:7] offset:16
.LBB181_33:
	s_or_b64 exec, exec, s[0:1]
	v_or_b32_e32 v7, 3, v3
	v_cmp_gt_u32_e64 s[10:11], v7, v2
	v_cmp_le_u32_e32 vcc, v7, v2
                                        ; implicit-def: $vgpr6
	s_and_saveexec_b64 s[0:1], vcc
	s_xor_b64 s[0:1], exec, s[0:1]
; %bb.34:
	v_mul_u32_u24_e32 v6, 0x108, v7
                                        ; implicit-def: $vgpr7
                                        ; implicit-def: $vgpr1
; %bb.35:
	s_andn2_saveexec_b64 s[0:1], s[0:1]
	s_cbranch_execz .LBB181_37
; %bb.36:
	s_movk_i32 s14, 0x108
	v_mad_u32_u24 v6, v7, s14, v0
	ds_read_b64 v[8:9], v6
	v_mul_u32_u24_e32 v6, 0x108, v7
	s_waitcnt lgkmcnt(0)
	ds_write_b64 v1, v[8:9] offset:24
.LBB181_37:
	s_or_b64 exec, exec, s[0:1]
	s_movk_i32 s0, 0x420
	v_mad_u32_u24 v1, v10, s0, v0
	s_movk_i32 s0, 0x108
	v_mad_u32_u24 v7, v11, s0, v0
	s_waitcnt lgkmcnt(0)
	s_barrier
	v_lshlrev_b32_e32 v16, 3, v3
	ds_read2_b64 v[26:29], v7 offset1:33
	v_add_u32_e32 v18, v0, v6
	ds_read_b64 v[20:21], v1
	ds_read_b128 v[6:9], v16 offset:9088
	ds_read_b64 v[34:35], v18
	ds_read_b128 v[30:33], v16 offset:9104
	v_mul_u32_u24_e32 v17, 33, v2
	v_lshlrev_b32_e32 v23, 3, v17
	v_mov_b32_e32 v52, 0
	s_waitcnt lgkmcnt(2)
	v_pk_mul_f32 v[36:37], v[6:7], v[20:21] op_sel:[1,1] op_sel_hi:[0,1]
	v_pk_fma_f32 v[38:39], v[6:7], v[20:21], v[36:37] neg_lo:[0,0,1] neg_hi:[0,0,1]
	v_pk_fma_f32 v[6:7], v[6:7], v[20:21], v[36:37] op_sel_hi:[1,0,1]
	v_pk_mul_f32 v[20:21], v[8:9], v[26:27] op_sel:[1,1] op_sel_hi:[0,1]
	v_pk_fma_f32 v[36:37], v[8:9], v[26:27], v[20:21] neg_lo:[0,0,1] neg_hi:[0,0,1]
	v_pk_fma_f32 v[8:9], v[8:9], v[26:27], v[20:21] op_sel_hi:[1,0,1]
	v_mov_b32_e32 v39, v7
	v_mov_b32_e32 v37, v9
	s_waitcnt lgkmcnt(0)
	v_pk_mul_f32 v[8:9], v[30:31], v[28:29] op_sel:[1,1] op_sel_hi:[0,1]
	v_pk_add_f32 v[6:7], v[38:39], 0 op_sel_hi:[1,0]
	v_pk_fma_f32 v[20:21], v[30:31], v[28:29], v[8:9] neg_lo:[0,0,1] neg_hi:[0,0,1]
	v_pk_fma_f32 v[8:9], v[30:31], v[28:29], v[8:9] op_sel_hi:[1,0,1]
	v_pk_add_f32 v[6:7], v[6:7], v[36:37]
	v_mov_b32_e32 v21, v9
	v_pk_mul_f32 v[8:9], v[32:33], v[34:35] op_sel:[1,1] op_sel_hi:[0,1]
	v_pk_add_f32 v[6:7], v[6:7], v[20:21]
	v_pk_fma_f32 v[20:21], v[32:33], v[34:35], v[8:9] neg_lo:[0,0,1] neg_hi:[0,0,1]
	v_pk_fma_f32 v[8:9], v[32:33], v[34:35], v[8:9] op_sel_hi:[1,0,1]
	v_lshl_add_u32 v24, v10, 3, v23
	v_mov_b32_e32 v21, v9
	v_mov_b32_e32 v53, v52
	v_pk_add_f32 v[6:7], v[6:7], v[20:21]
	v_cmp_gt_u32_e64 s[0:1], 32, v22
	s_barrier
	ds_write_b64 v24, v[6:7]
	s_waitcnt lgkmcnt(0)
	s_barrier
	s_and_saveexec_b64 s[14:15], s[0:1]
	s_cbranch_execz .LBB181_39
; %bb.38:
	ds_read2_b64 v[6:9], v23 offset1:7
	ds_read2_b64 v[26:29], v23 offset0:1 offset1:2
	ds_read2_b64 v[30:33], v23 offset0:3 offset1:4
	s_waitcnt lgkmcnt(1)
	v_add_f32_e32 v1, v26, v6
	v_add_f32_e32 v6, v27, v7
	;; [unrolled: 1-line block ×4, first 2 shown]
	ds_read2_b64 v[26:29], v23 offset0:5 offset1:6
	s_waitcnt lgkmcnt(1)
	v_add_f32_e32 v1, v1, v30
	v_add_f32_e32 v6, v6, v31
	;; [unrolled: 1-line block ×4, first 2 shown]
	s_waitcnt lgkmcnt(0)
	v_add_f32_e32 v1, v1, v26
	v_add_f32_e32 v7, v6, v27
	;; [unrolled: 1-line block ×4, first 2 shown]
	v_pk_add_f32 v[52:53], v[6:7], v[8:9]
.LBB181_39:
	s_or_b64 exec, exec, s[14:15]
	s_lshl_b32 s28, s20, 5
	s_ashr_i32 s29, s28, 31
	v_lshl_add_u64 v[6:7], s[28:29], 3, v[4:5]
	s_mov_b64 s[14:15], 0x100
	v_lshl_add_u64 v[4:5], v[6:7], 0, s[14:15]
	s_and_b64 vcc, exec, s[30:31]
	s_barrier
	s_cbranch_vccz .LBB181_55
; %bb.40:
	v_sub_co_u32_e32 v8, vcc, v6, v0
	s_ashr_i32 s17, s16, 31
	s_nop 0
	v_subbrev_co_u32_e32 v9, vcc, 0, v7, vcc
	v_or_b32_e32 v1, 32, v2
	v_lshl_add_u64 v[8:9], s[16:17], 3, v[8:9]
	v_mov_b32_e32 v20, 0
	v_lshl_add_u64 v[8:9], v[8:9], 0, -8
	v_cmp_gt_i32_e32 vcc, s16, v1
	s_sub_i32 s21, s16, 32
	v_cmp_gt_i32_e64 s[14:15], s21, v10
	v_cndmask_b32_e32 v9, v9, v5, vcc
	v_cndmask_b32_e32 v8, v8, v4, vcc
	v_mov_b32_e32 v21, v20
	s_and_saveexec_b64 s[34:35], s[14:15]
	s_cbranch_execz .LBB181_42
; %bb.41:
	flat_load_dwordx2 v[20:21], v[8:9]
.LBB181_42:
	s_or_b64 exec, exec, s[34:35]
	s_movk_i32 s14, 0x108
	v_mad_u32_u24 v17, v10, s14, v0
	v_mul_u32_u24_e32 v1, 0x108, v10
	s_waitcnt vmcnt(0) lgkmcnt(0)
	ds_write_b64 v17, v[20:21]
	v_add_u32_e32 v17, 8, v10
	v_cmp_le_i32_e64 s[14:15], s21, v17
	v_add_u32_e32 v1, v1, v0
	s_and_saveexec_b64 s[34:35], s[14:15]
	s_xor_b64 s[14:15], exec, s[34:35]
; %bb.43:
	v_mov_b32_e32 v20, 0
	v_mov_b32_e32 v21, v20
	ds_write_b64 v1, v[20:21] offset:2112
; %bb.44:
	s_andn2_saveexec_b64 s[14:15], s[14:15]
	s_cbranch_execz .LBB181_46
; %bb.45:
	s_lshl_b32 s34, s20, 3
	s_ashr_i32 s35, s34, 31
	v_lshl_add_u64 v[20:21], s[34:35], 3, v[8:9]
	flat_load_dwordx2 v[20:21], v[20:21]
	s_waitcnt vmcnt(0) lgkmcnt(0)
	ds_write_b64 v1, v[20:21] offset:2112
.LBB181_46:
	s_or_b64 exec, exec, s[14:15]
	v_add_u32_e32 v17, 16, v10
	v_cmp_le_i32_e64 s[14:15], s21, v17
	s_and_saveexec_b64 s[34:35], s[14:15]
	s_xor_b64 s[14:15], exec, s[34:35]
; %bb.47:
	v_mov_b32_e32 v20, 0
	v_mov_b32_e32 v21, v20
	ds_write_b64 v1, v[20:21] offset:4224
; %bb.48:
	s_andn2_saveexec_b64 s[14:15], s[14:15]
	s_cbranch_execz .LBB181_50
; %bb.49:
	s_lshl_b32 s34, s20, 4
	s_ashr_i32 s35, s34, 31
	v_lshl_add_u64 v[20:21], s[34:35], 3, v[8:9]
	flat_load_dwordx2 v[20:21], v[20:21]
	s_waitcnt vmcnt(0) lgkmcnt(0)
	ds_write_b64 v1, v[20:21] offset:4224
.LBB181_50:
	s_or_b64 exec, exec, s[14:15]
	v_add_u32_e32 v17, 24, v10
	v_cmp_le_i32_e64 s[14:15], s21, v17
	s_and_saveexec_b64 s[34:35], s[14:15]
	s_xor_b64 s[14:15], exec, s[34:35]
; %bb.51:
	v_mov_b32_e32 v20, 0
	v_mov_b32_e32 v21, v20
	ds_write_b64 v1, v[20:21] offset:6336
                                        ; implicit-def: $vgpr1
; %bb.52:
	s_andn2_saveexec_b64 s[14:15], s[14:15]
	s_cbranch_execz .LBB181_54
; %bb.53:
	s_mul_i32 s34, s20, 24
	s_ashr_i32 s35, s34, 31
	v_lshl_add_u64 v[20:21], s[34:35], 3, v[8:9]
	flat_load_dwordx2 v[20:21], v[20:21]
	s_waitcnt vmcnt(0) lgkmcnt(0)
	ds_write_b64 v1, v[20:21] offset:6336
.LBB181_54:
	s_or_b64 exec, exec, s[14:15]
	v_mov_b32_e32 v1, 0
	v_lshl_add_u64 v[8:9], v[8:9], 0, v[0:1]
	s_lshl_b64 s[14:15], s[16:17], 3
	v_mov_b32_e32 v1, s15
	v_subrev_co_u32_e64 v8, s[14:15], s14, v8
	s_nop 1
	v_subb_co_u32_e64 v9, s[14:15], v9, v1, s[14:15]
	s_mov_b64 s[14:15], 0x108
	s_nop 0
	v_lshl_add_u64 v[8:9], v[8:9], 0, s[14:15]
	v_cndmask_b32_e32 v9, v9, v5, vcc
	v_cndmask_b32_e32 v8, v8, v4, vcc
	v_mul_u32_u24_e32 v1, 0x420, v10
	s_branch .LBB181_57
.LBB181_55:
                                        ; implicit-def: $vgpr8_vgpr9
	v_mul_u32_u24_e32 v1, 0x420, v10
	s_cbranch_execz .LBB181_57
; %bb.56:
	s_lshl_b32 s14, s20, 3
	s_ashr_i32 s15, s14, 31
	s_ashr_i32 s21, s20, 31
	v_lshl_add_u64 v[8:9], s[14:15], 3, v[6:7]
	s_lshl_b64 s[14:15], s[20:21], 6
	v_lshl_add_u64 v[20:21], v[8:9], 0, s[14:15]
	v_lshl_add_u64 v[26:27], v[20:21], 0, s[14:15]
	flat_load_dwordx2 v[28:29], v[6:7] offset:256
	flat_load_dwordx2 v[30:31], v[8:9] offset:256
	flat_load_dwordx2 v[32:33], v[20:21] offset:256
	flat_load_dwordx2 v[34:35], v[26:27] offset:256
	s_movk_i32 s14, 0x108
	v_mad_u32_u24 v6, v10, s14, v0
	v_mov_b64_e32 v[8:9], v[4:5]
	s_waitcnt vmcnt(0) lgkmcnt(0)
	ds_write_b64 v6, v[28:29]
	ds_write_b64 v6, v[30:31] offset:2112
	ds_write_b64 v6, v[32:33] offset:4224
	;; [unrolled: 1-line block ×3, first 2 shown]
.LBB181_57:
	v_mul_u32_u24_e32 v4, 0x108, v11
	v_add_u32_e32 v6, v0, v1
	v_lshl_add_u32 v1, v3, 3, v23
	s_waitcnt lgkmcnt(0)
	s_barrier
	s_and_saveexec_b64 s[14:15], s[4:5]
	s_cbranch_execnz .LBB181_80
; %bb.58:
	s_or_b64 exec, exec, s[14:15]
	v_add_u32_e32 v7, v0, v4
	s_and_saveexec_b64 s[4:5], s[6:7]
	s_cbranch_execnz .LBB181_81
.LBB181_59:
	s_or_b64 exec, exec, s[4:5]
	s_and_saveexec_b64 s[4:5], s[8:9]
	s_cbranch_execnz .LBB181_82
.LBB181_60:
	s_or_b64 exec, exec, s[4:5]
	v_add_u32_e32 v19, 0x2380, v16
	s_and_saveexec_b64 s[4:5], s[10:11]
	s_cbranch_execz .LBB181_62
.LBB181_61:
	ds_read_b64 v[4:5], v18
	s_waitcnt lgkmcnt(0)
	ds_write_b64 v1, v[4:5] offset:24
.LBB181_62:
	s_or_b64 exec, exec, s[4:5]
	s_waitcnt lgkmcnt(0)
	s_barrier
	ds_read_b64 v[4:5], v6
	ds_read_b128 v[26:29], v19 offset:256
	ds_read2_b64 v[30:33], v7 offset1:33
	ds_read_b64 v[16:17], v18
	ds_read_b128 v[34:37], v19 offset:272
	v_cmp_eq_u32_e64 s[4:5], 1, v10
	s_waitcnt lgkmcnt(3)
	v_pk_mul_f32 v[20:21], v[26:27], v[4:5] op_sel:[1,1] op_sel_hi:[0,1]
	v_pk_fma_f32 v[38:39], v[26:27], v[4:5], v[20:21] neg_lo:[0,0,1] neg_hi:[0,0,1]
	v_pk_fma_f32 v[4:5], v[26:27], v[4:5], v[20:21] op_sel_hi:[1,0,1]
	s_waitcnt lgkmcnt(2)
	v_pk_mul_f32 v[20:21], v[28:29], v[30:31] op_sel:[1,1] op_sel_hi:[0,1]
	v_mov_b32_e32 v39, v5
	v_pk_fma_f32 v[26:27], v[28:29], v[30:31], v[20:21] neg_lo:[0,0,1] neg_hi:[0,0,1]
	v_pk_fma_f32 v[20:21], v[28:29], v[30:31], v[20:21] op_sel_hi:[1,0,1]
	v_pk_add_f32 v[4:5], v[38:39], 0 op_sel_hi:[1,0]
	v_mov_b32_e32 v27, v21
	s_waitcnt lgkmcnt(0)
	v_pk_mul_f32 v[20:21], v[34:35], v[32:33] op_sel:[1,1] op_sel_hi:[0,1]
	v_pk_add_f32 v[4:5], v[4:5], v[26:27]
	v_pk_fma_f32 v[26:27], v[34:35], v[32:33], v[20:21] neg_lo:[0,0,1] neg_hi:[0,0,1]
	v_pk_fma_f32 v[20:21], v[34:35], v[32:33], v[20:21] op_sel_hi:[1,0,1]
	s_nop 0
	v_mov_b32_e32 v27, v21
	v_pk_mul_f32 v[20:21], v[36:37], v[16:17] op_sel:[1,1] op_sel_hi:[0,1]
	v_pk_add_f32 v[4:5], v[4:5], v[26:27]
	v_pk_fma_f32 v[26:27], v[36:37], v[16:17], v[20:21] neg_lo:[0,0,1] neg_hi:[0,0,1]
	v_pk_fma_f32 v[16:17], v[36:37], v[16:17], v[20:21] op_sel_hi:[1,0,1]
	s_barrier
	v_mov_b32_e32 v27, v17
	v_pk_add_f32 v[4:5], v[4:5], v[26:27]
	ds_write_b64 v24, v[4:5]
	s_waitcnt lgkmcnt(0)
	s_barrier
	s_and_saveexec_b64 s[6:7], s[4:5]
	s_cbranch_execz .LBB181_64
; %bb.63:
	ds_read2_b64 v[26:29], v23 offset1:7
	ds_read2_b64 v[30:33], v23 offset0:1 offset1:2
	ds_read2_b64 v[34:37], v23 offset0:3 offset1:4
	s_waitcnt lgkmcnt(1)
	v_add_f32_e32 v1, v30, v26
	v_add_f32_e32 v3, v31, v27
	;; [unrolled: 1-line block ×4, first 2 shown]
	ds_read2_b64 v[30:33], v23 offset0:5 offset1:6
	s_waitcnt lgkmcnt(1)
	v_add_f32_e32 v1, v1, v34
	v_add_f32_e32 v3, v3, v35
	;; [unrolled: 1-line block ×4, first 2 shown]
	s_waitcnt lgkmcnt(0)
	v_add_f32_e32 v4, v1, v30
	v_add_f32_e32 v5, v3, v31
	v_pk_add_f32 v[4:5], v[4:5], v[32:33]
	s_nop 0
	v_pk_add_f32 v[52:53], v[4:5], v[28:29]
.LBB181_64:
	s_or_b64 exec, exec, s[6:7]
	s_movk_i32 s6, 0xff00
	s_mov_b32 s7, -1
	v_lshl_add_u64 v[4:5], v[8:9], 0, s[6:7]
	s_and_b64 vcc, exec, s[30:31]
	s_barrier
	s_cbranch_vccz .LBB181_83
; %bb.65:
	v_sub_co_u32_e32 v16, vcc, v4, v0
	s_ashr_i32 s17, s16, 31
	s_nop 0
	v_subbrev_co_u32_e32 v17, vcc, 0, v5, vcc
	v_lshl_add_u64 v[16:17], s[16:17], 3, v[16:17]
	v_mov_b32_e32 v8, 0
	v_lshl_add_u64 v[16:17], v[16:17], 0, -8
	v_cmp_gt_i32_e32 vcc, s16, v2
	s_sub_i32 s10, s16, 32
	v_cmp_gt_i32_e64 s[6:7], s10, v10
	v_cndmask_b32_e32 v3, v17, v5, vcc
	v_cndmask_b32_e32 v2, v16, v4, vcc
	v_mov_b32_e32 v9, v8
	s_and_saveexec_b64 s[8:9], s[6:7]
	s_cbranch_execz .LBB181_67
; %bb.66:
	flat_load_dwordx2 v[8:9], v[2:3]
.LBB181_67:
	s_or_b64 exec, exec, s[8:9]
	s_movk_i32 s6, 0x108
	v_mad_u32_u24 v11, v10, s6, v0
	v_mul_u32_u24_e32 v1, 0x108, v10
	s_waitcnt vmcnt(0) lgkmcnt(0)
	ds_write_b64 v11, v[8:9]
	v_add_u32_e32 v8, 8, v10
	v_cmp_le_i32_e64 s[6:7], s10, v8
	v_add_u32_e32 v1, v1, v0
	s_and_saveexec_b64 s[8:9], s[6:7]
	s_xor_b64 s[6:7], exec, s[8:9]
; %bb.68:
	v_mov_b32_e32 v16, 0
	v_mov_b32_e32 v17, v16
	ds_write_b64 v1, v[16:17] offset:2112
; %bb.69:
	s_andn2_saveexec_b64 s[6:7], s[6:7]
	s_cbranch_execz .LBB181_71
; %bb.70:
	s_lshl_b32 s8, s20, 3
	s_ashr_i32 s9, s8, 31
	v_lshl_add_u64 v[16:17], s[8:9], 3, v[2:3]
	flat_load_dwordx2 v[16:17], v[16:17]
	s_waitcnt vmcnt(0) lgkmcnt(0)
	ds_write_b64 v1, v[16:17] offset:2112
.LBB181_71:
	s_or_b64 exec, exec, s[6:7]
	v_add_u32_e32 v9, 16, v10
	v_cmp_le_i32_e64 s[6:7], s10, v9
	s_and_saveexec_b64 s[8:9], s[6:7]
	s_xor_b64 s[6:7], exec, s[8:9]
; %bb.72:
	v_mov_b32_e32 v16, 0
	v_mov_b32_e32 v17, v16
	ds_write_b64 v1, v[16:17] offset:4224
; %bb.73:
	s_andn2_saveexec_b64 s[6:7], s[6:7]
	s_cbranch_execz .LBB181_75
; %bb.74:
	s_lshl_b32 s8, s20, 4
	s_ashr_i32 s9, s8, 31
	v_lshl_add_u64 v[16:17], s[8:9], 3, v[2:3]
	flat_load_dwordx2 v[16:17], v[16:17]
	s_waitcnt vmcnt(0) lgkmcnt(0)
	ds_write_b64 v1, v[16:17] offset:4224
.LBB181_75:
	s_or_b64 exec, exec, s[6:7]
	v_add_u32_e32 v11, 24, v10
	v_cmp_le_i32_e64 s[6:7], s10, v11
	s_and_saveexec_b64 s[8:9], s[6:7]
	s_xor_b64 s[6:7], exec, s[8:9]
; %bb.76:
	v_mov_b32_e32 v16, 0
	v_mov_b32_e32 v17, v16
	ds_write_b64 v1, v[16:17] offset:6336
                                        ; implicit-def: $vgpr1
; %bb.77:
	s_andn2_saveexec_b64 s[6:7], s[6:7]
	s_cbranch_execz .LBB181_79
; %bb.78:
	s_mul_i32 s8, s20, 24
	s_ashr_i32 s9, s8, 31
	v_lshl_add_u64 v[16:17], s[8:9], 3, v[2:3]
	flat_load_dwordx2 v[16:17], v[16:17]
	s_waitcnt vmcnt(0) lgkmcnt(0)
	ds_write_b64 v1, v[16:17] offset:6336
.LBB181_79:
	s_or_b64 exec, exec, s[6:7]
	v_mov_b32_e32 v1, 0
	v_lshl_add_u64 v[2:3], v[2:3], 0, v[0:1]
	s_lshl_b64 s[6:7], s[16:17], 3
	v_mov_b32_e32 v1, s7
	v_subrev_co_u32_e64 v2, s[6:7], s6, v2
	s_nop 1
	v_subb_co_u32_e64 v3, s[6:7], v3, v1, s[6:7]
	v_lshl_add_u64 v[2:3], v[2:3], 0, 8
	v_cndmask_b32_e32 v17, v3, v5, vcc
	v_cndmask_b32_e32 v16, v2, v4, vcc
	s_branch .LBB181_85
.LBB181_80:
	ds_read_b64 v[20:21], v6
	s_waitcnt lgkmcnt(0)
	ds_write_b64 v1, v[20:21]
	s_or_b64 exec, exec, s[14:15]
	v_add_u32_e32 v7, v0, v4
	s_and_saveexec_b64 s[4:5], s[6:7]
	s_cbranch_execz .LBB181_59
.LBB181_81:
	ds_read_b64 v[4:5], v7
	s_waitcnt lgkmcnt(0)
	ds_write_b64 v1, v[4:5] offset:8
	s_or_b64 exec, exec, s[4:5]
	s_and_saveexec_b64 s[4:5], s[8:9]
	s_cbranch_execz .LBB181_60
.LBB181_82:
	ds_read_b64 v[4:5], v7 offset:264
	s_waitcnt lgkmcnt(0)
	ds_write_b64 v1, v[4:5] offset:16
	s_or_b64 exec, exec, s[4:5]
	v_add_u32_e32 v19, 0x2380, v16
	s_and_saveexec_b64 s[4:5], s[10:11]
	s_cbranch_execnz .LBB181_61
	s_branch .LBB181_62
.LBB181_83:
                                        ; implicit-def: $vgpr16_vgpr17
                                        ; implicit-def: $vgpr8
                                        ; implicit-def: $vgpr9
                                        ; implicit-def: $vgpr11
	s_cbranch_execz .LBB181_85
; %bb.84:
	s_lshl_b32 s6, s20, 3
	s_ashr_i32 s7, s6, 31
	s_ashr_i32 s21, s20, 31
	v_lshl_add_u64 v[2:3], s[6:7], 3, v[4:5]
	s_lshl_b64 s[6:7], s[20:21], 6
	v_lshl_add_u64 v[8:9], v[2:3], 0, s[6:7]
	v_lshl_add_u64 v[16:17], v[8:9], 0, s[6:7]
	flat_load_dwordx2 v[20:21], v[4:5]
	flat_load_dwordx2 v[26:27], v[2:3]
	;; [unrolled: 1-line block ×4, first 2 shown]
	s_movk_i32 s6, 0x108
	v_add_u32_e32 v8, 8, v10
	v_add_u32_e32 v9, 16, v10
	;; [unrolled: 1-line block ×3, first 2 shown]
	v_mad_u32_u24 v0, v10, s6, v0
	v_mov_b64_e32 v[16:17], v[4:5]
	s_waitcnt vmcnt(0) lgkmcnt(0)
	ds_write_b64 v0, v[20:21]
	ds_write_b64 v0, v[26:27] offset:2112
	ds_write_b64 v0, v[28:29] offset:4224
	;; [unrolled: 1-line block ×3, first 2 shown]
.LBB181_85:
	v_lshlrev_b32_e32 v25, 3, v10
	v_lshlrev_b32_e32 v30, 3, v8
	;; [unrolled: 1-line block ×4, first 2 shown]
	v_add_u32_e32 v28, v23, v25
	v_add_u32_e32 v34, v23, v30
	;; [unrolled: 1-line block ×4, first 2 shown]
	s_waitcnt lgkmcnt(0)
	s_barrier
	ds_read_b64 v[26:27], v0
	ds_read_b64 v[20:21], v6
	ds_read2_b64 v[4:7], v7 offset1:33
	ds_read_b128 v[8:11], v19 offset:256
	ds_read_b128 v[0:3], v19 offset:272
	ds_read_b64 v[28:29], v28
	ds_read_b64 v[18:19], v18
	ds_read_b64 v[30:31], v30 offset:9088
	ds_read_b64 v[32:33], v25 offset:9088
	ds_read_b64 v[34:35], v34
	ds_read_b64 v[36:37], v36
	ds_read_b64 v[38:39], v38 offset:9088
	ds_read_b64 v[40:41], v40 offset:9088
	s_waitcnt lgkmcnt(4)
	v_pk_mul_f32 v[42:43], v[32:33], v[28:29] op_sel:[1,1] op_sel_hi:[0,1]
	v_pk_fma_f32 v[44:45], v[32:33], v[28:29], v[42:43] neg_lo:[0,0,1] neg_hi:[0,0,1]
	v_pk_fma_f32 v[28:29], v[32:33], v[28:29], v[42:43] op_sel_hi:[1,0,1]
	s_waitcnt lgkmcnt(3)
	v_pk_mul_f32 v[32:33], v[30:31], v[34:35] op_sel:[1,1] op_sel_hi:[0,1]
	v_pk_fma_f32 v[42:43], v[30:31], v[34:35], v[32:33] neg_lo:[0,0,1] neg_hi:[0,0,1]
	v_pk_fma_f32 v[30:31], v[30:31], v[34:35], v[32:33] op_sel_hi:[1,0,1]
	v_mov_b32_e32 v45, v29
	v_mov_b32_e32 v43, v31
	s_waitcnt lgkmcnt(0)
	v_pk_mul_f32 v[30:31], v[40:41], v[36:37] op_sel:[1,1] op_sel_hi:[0,1]
	v_pk_add_f32 v[28:29], v[44:45], 0 op_sel_hi:[1,0]
	v_pk_fma_f32 v[32:33], v[40:41], v[36:37], v[30:31] neg_lo:[0,0,1] neg_hi:[0,0,1]
	v_pk_fma_f32 v[30:31], v[40:41], v[36:37], v[30:31] op_sel_hi:[1,0,1]
	v_pk_add_f32 v[28:29], v[28:29], v[42:43]
	v_mov_b32_e32 v33, v31
	v_pk_mul_f32 v[30:31], v[38:39], v[26:27] op_sel:[1,1] op_sel_hi:[0,1]
	v_pk_add_f32 v[28:29], v[28:29], v[32:33]
	v_pk_fma_f32 v[32:33], v[38:39], v[26:27], v[30:31] neg_lo:[0,0,1] neg_hi:[0,0,1]
	v_pk_fma_f32 v[26:27], v[38:39], v[26:27], v[30:31] op_sel_hi:[1,0,1]
	s_nop 0
	v_mov_b32_e32 v33, v27
	v_pk_add_f32 v[26:27], v[28:29], v[32:33]
	s_barrier
	ds_write_b64 v24, v[26:27]
	s_waitcnt lgkmcnt(0)
	s_barrier
	s_and_saveexec_b64 s[6:7], s[4:5]
	s_cbranch_execz .LBB181_87
; %bb.86:
	ds_read2_b64 v[26:29], v23 offset1:1
	ds_read2_b64 v[30:33], v23 offset0:2 offset1:3
	ds_read2_b64 v[34:37], v23 offset0:4 offset1:5
	s_waitcnt lgkmcnt(2)
	v_pk_add_f32 v[26:27], v[52:53], v[26:27]
	s_nop 0
	v_pk_add_f32 v[38:39], v[26:27], v[28:29]
	ds_read2_b64 v[26:29], v23 offset0:6 offset1:7
	s_waitcnt lgkmcnt(2)
	v_pk_add_f32 v[30:31], v[38:39], v[30:31]
	s_nop 0
	v_pk_add_f32 v[30:31], v[30:31], v[32:33]
	s_waitcnt lgkmcnt(1)
	v_pk_add_f32 v[30:31], v[30:31], v[34:35]
	s_nop 0
	v_pk_add_f32 v[30:31], v[30:31], v[36:37]
	;; [unrolled: 4-line block ×3, first 2 shown]
.LBB181_87:
	s_or_b64 exec, exec, s[6:7]
	v_pk_mul_f32 v[26:27], v[8:9], v[20:21] op_sel:[1,1] op_sel_hi:[0,1]
	v_pk_fma_f32 v[28:29], v[8:9], v[20:21], v[26:27] neg_lo:[0,0,1] neg_hi:[0,0,1]
	v_pk_fma_f32 v[8:9], v[8:9], v[20:21], v[26:27] op_sel_hi:[1,0,1]
	v_pk_mul_f32 v[20:21], v[10:11], v[4:5] op_sel:[1,1] op_sel_hi:[0,1]
	v_mov_b32_e32 v29, v9
	v_pk_fma_f32 v[26:27], v[10:11], v[4:5], v[20:21] neg_lo:[0,0,1] neg_hi:[0,0,1]
	v_pk_fma_f32 v[4:5], v[10:11], v[4:5], v[20:21] op_sel_hi:[1,0,1]
	v_pk_add_f32 v[8:9], v[28:29], 0 op_sel_hi:[1,0]
	v_mov_b32_e32 v27, v5
	v_pk_add_f32 v[4:5], v[8:9], v[26:27]
	v_pk_mul_f32 v[8:9], v[0:1], v[6:7] op_sel:[1,1] op_sel_hi:[0,1]
	v_pk_fma_f32 v[10:11], v[0:1], v[6:7], v[8:9] neg_lo:[0,0,1] neg_hi:[0,0,1]
	v_pk_fma_f32 v[0:1], v[0:1], v[6:7], v[8:9] op_sel_hi:[1,0,1]
	s_nop 0
	v_mov_b32_e32 v11, v1
	v_pk_add_f32 v[0:1], v[4:5], v[10:11]
	v_pk_mul_f32 v[4:5], v[2:3], v[18:19] op_sel:[1,1] op_sel_hi:[0,1]
	v_pk_fma_f32 v[6:7], v[2:3], v[18:19], v[4:5] neg_lo:[0,0,1] neg_hi:[0,0,1]
	v_pk_fma_f32 v[2:3], v[2:3], v[18:19], v[4:5] op_sel_hi:[1,0,1]
	s_barrier
	v_mov_b32_e32 v7, v3
	v_pk_add_f32 v[0:1], v[0:1], v[6:7]
	ds_write_b64 v24, v[0:1]
	s_waitcnt lgkmcnt(0)
	s_barrier
	s_and_saveexec_b64 s[4:5], s[0:1]
	s_cbranch_execz .LBB181_89
; %bb.88:
	ds_read2_b64 v[0:3], v23 offset1:1
	ds_read2_b64 v[4:7], v23 offset0:2 offset1:3
	ds_read2_b64 v[8:11], v23 offset0:4 offset1:5
	s_waitcnt lgkmcnt(2)
	v_pk_add_f32 v[0:1], v[52:53], v[0:1]
	s_nop 0
	v_pk_add_f32 v[18:19], v[0:1], v[2:3]
	ds_read2_b64 v[0:3], v23 offset0:6 offset1:7
	s_waitcnt lgkmcnt(2)
	v_pk_add_f32 v[4:5], v[18:19], v[4:5]
	s_nop 0
	v_pk_add_f32 v[4:5], v[4:5], v[6:7]
	s_waitcnt lgkmcnt(1)
	v_pk_add_f32 v[4:5], v[4:5], v[8:9]
	s_nop 0
	v_pk_add_f32 v[4:5], v[4:5], v[10:11]
	;; [unrolled: 4-line block ×3, first 2 shown]
.LBB181_89:
	s_or_b64 exec, exec, s[4:5]
	s_mul_hi_u32 s0, s23, s22
	s_mul_i32 s37, s37, s22
	s_add_i32 s0, s0, s37
	s_mul_i32 s4, s23, s22
	s_mul_i32 s0, s0, s3
	s_mul_hi_u32 s1, s4, s3
	s_add_i32 s1, s1, s0
	s_mul_i32 s0, s4, s3
	s_lshl_b64 s[0:1], s[0:1], 3
	s_add_u32 s4, s24, s0
	s_addc_u32 s5, s25, s1
	s_mul_hi_i32 s1, s23, s2
	s_mul_i32 s0, s23, s2
	s_lshl_b64 s[0:1], s[0:1], 3
	s_add_u32 s6, s4, s0
	s_addc_u32 s7, s5, s1
	s_add_i32 s8, s2, 1
	s_cmp_ge_u32 s8, s3
	v_lshlrev_b32_e32 v51, 3, v50
	s_barrier
	s_cbranch_scc1 .LBB181_147
; %bb.90:
	s_mul_i32 s0, s36, s26
	s_ashr_i32 s1, s0, 31
	s_lshl_b64 s[0:1], s[0:1], 3
	v_lshrrev_b32_e32 v2, 4, v22
	s_lshl_b32 s24, s36, 6
	v_mov_b32_e32 v3, 0x2180
	s_lshl_b32 s4, s20, 4
	s_ashr_i32 s21, s20, 31
	s_lshl_b32 s22, s20, 1
	s_mul_i32 s26, s20, 3
	s_mul_i32 s36, s36, s8
	v_lshlrev_b32_e32 v132, 2, v49
	v_mov_b32_e32 v0, s1
	v_subrev_co_u32_e32 v54, vcc, s0, v14
	v_and_b32_e32 v6, 15, v50
	s_add_i32 s17, s3, -2
	v_lshl_add_u32 v134, v49, 5, v3
	v_lshlrev_b32_e32 v3, 5, v2
	s_movk_i32 s9, 0x218
	s_ashr_i32 s5, s4, 31
	s_ashr_i32 s23, s22, 31
	;; [unrolled: 1-line block ×3, first 2 shown]
	s_lshl_b64 s[14:15], s[20:21], 3
	s_lshl_b32 s8, s36, 6
	s_lshl_b64 s[30:31], s[20:21], 4
	s_lshl_b64 s[34:35], s[28:29], 3
	v_subb_co_u32_e32 v55, vcc, v15, v0, vcc
	v_mad_u64_u32 v[0:1], s[0:1], s20, v132, v[50:51]
	v_mad_u32_u24 v137, v6, s9, v3
	v_mul_i32_i24_e32 v7, 0xffffffe8, v2
	v_lshlrev_b64 v[2:3], 3, v[12:13]
	s_add_u32 s36, s30, s34
	v_ashrrev_i32_e32 v1, 31, v0
	v_sub_co_u32_e32 v56, vcc, 0, v2
	s_addc_u32 s37, s31, s35
	s_lshl_b64 s[10:11], s[4:5], 5
	v_subb_co_u32_e32 v57, vcc, 0, v3, vcc
	v_lshlrev_b64 v[2:3], 3, v[0:1]
	s_add_u32 s38, s14, s34
	v_lshl_add_u64 v[4:5], s[36:37], 0, v[2:3]
	s_addc_u32 s39, s15, s35
	s_lshl_b64 s[22:23], s[22:23], 3
	v_lshl_add_u64 v[58:59], v[16:17], 0, v[4:5]
	v_lshl_add_u64 v[4:5], s[38:39], 0, v[2:3]
	s_add_u32 s40, s34, s22
	v_lshl_add_u64 v[60:61], v[16:17], 0, v[4:5]
	v_lshl_add_u64 v[4:5], s[34:35], 0, v[2:3]
	s_addc_u32 s41, s35, s23
	s_lshl_b64 s[26:27], s[26:27], 3
	v_lshl_add_u64 v[62:63], v[16:17], 0, v[4:5]
	v_lshl_add_u64 v[4:5], s[40:41], 0, v[2:3]
	s_add_u32 s40, s34, s26
	s_addc_u32 s41, s35, s27
	v_lshl_add_u64 v[64:65], v[16:17], 0, v[4:5]
	v_lshl_add_u64 v[4:5], s[40:41], 0, v[2:3]
	s_lshl_b64 s[40:41], s[4:5], 3
	s_add_u32 s42, s36, s40
	s_addc_u32 s43, s37, s41
	s_add_u32 s38, s38, s40
	v_lshl_add_u64 v[66:67], v[16:17], 0, v[4:5]
	v_lshl_add_u64 v[4:5], s[42:43], 0, v[2:3]
	s_addc_u32 s39, s39, s41
	v_lshl_add_u64 v[68:69], v[16:17], 0, v[4:5]
	v_lshl_add_u64 v[4:5], s[38:39], 0, v[2:3]
	s_add_u32 s38, s34, s40
	s_addc_u32 s39, s35, s41
	s_add_u32 s40, s38, s22
	s_addc_u32 s41, s39, s23
	v_lshl_add_u64 v[70:71], v[16:17], 0, v[4:5]
	v_lshl_add_u64 v[4:5], s[38:39], 0, v[2:3]
	s_add_u32 s38, s38, s26
	v_lshl_add_u64 v[72:73], v[16:17], 0, v[4:5]
	v_lshl_add_u64 v[4:5], s[40:41], 0, v[2:3]
	s_addc_u32 s39, s39, s27
	v_lshl_add_u64 v[74:75], v[16:17], 0, v[4:5]
	v_lshl_add_u64 v[4:5], s[38:39], 0, v[2:3]
	s_lshl_b64 s[38:39], s[4:5], 4
	s_add_u32 s36, s36, s38
	s_addc_u32 s37, s37, s39
	s_add_u32 s34, s38, s34
	s_addc_u32 s35, s39, s35
	v_lshl_add_u64 v[76:77], v[16:17], 0, v[4:5]
	v_lshl_add_u64 v[4:5], s[36:37], 0, v[2:3]
	s_add_u32 s36, s34, s14
	s_addc_u32 s37, s35, s15
	v_lshl_add_u64 v[78:79], v[16:17], 0, v[4:5]
	v_lshl_add_u64 v[4:5], s[36:37], 0, v[2:3]
	;; [unrolled: 4-line block ×3, first 2 shown]
	s_add_u32 s34, s34, s26
	s_addc_u32 s35, s35, s27
	s_mul_i32 s5, s20, 0x180
	s_mul_hi_i32 s21, s4, 24
	s_add_u32 s20, s5, s30
	v_lshl_add_u64 v[0:1], s[28:29], 0, v[0:1]
	v_lshl_add_u64 v[82:83], v[16:17], 0, v[4:5]
	;; [unrolled: 1-line block ×4, first 2 shown]
	s_addc_u32 s21, s21, s31
	v_lshlrev_b64 v[0:1], 3, v[0:1]
	v_lshl_add_u64 v[86:87], v[16:17], 0, v[2:3]
	v_lshl_add_u64 v[2:3], s[20:21], 0, v[0:1]
	v_mad_i64_i32 v[0:1], s[4:5], s4, 24, v[0:1]
	v_lshl_add_u64 v[88:89], v[16:17], 0, v[2:3]
	v_lshl_add_u64 v[2:3], v[0:1], 0, s[14:15]
	;; [unrolled: 1-line block ×7, first 2 shown]
	v_and_b32_e32 v0, 48, v50
	v_lshlrev_b32_e32 v0, 3, v0
	s_movk_i32 s0, 0x860
	v_mad_u32_u24 v138, v6, s9, v0
	v_or_b32_e32 v0, 0x78, v51
	v_mov_b32_e32 v156, 0
	v_add_u32_e32 v133, 0x2180, v51
	v_add_u32_e32 v135, 0x2380, v51
	v_mad_u32_u24 v136, v49, s0, v51
	v_cmp_gt_u32_e64 s[0:1], 64, v22
	v_lshl_add_u64 v[84:85], v[16:17], 0, v[4:5]
	v_lshl_add_u64 v[94:95], v[16:17], 0, v[2:3]
	v_mad_u32_u24 v139, v6, s9, v0
	v_or_b32_e32 v140, 1, v132
	v_add_u32_e32 v141, v137, v7
	v_mov_b32_e32 v157, v156
	v_or_b32_e32 v142, 2, v132
	v_or_b32_e32 v143, 3, v132
	v_add_u32_e32 v144, 16, v132
	v_add_u32_e32 v145, 17, v132
	v_add_u32_e32 v146, 18, v132
	v_add_u32_e32 v147, 19, v132
	v_add_u32_e32 v148, 32, v132
	v_add_u32_e32 v149, 33, v132
	v_add_u32_e32 v150, 34, v132
	v_add_u32_e32 v151, 35, v132
	v_add_u32_e32 v152, 48, v132
	v_add_u32_e32 v153, 49, v132
	v_add_u32_e32 v154, 50, v132
	v_add_u32_e32 v155, 51, v132
	v_add_u32_e32 v98, 64, v48
	s_branch .LBB181_92
.LBB181_91:                             ;   in Loop: Header=BB181_92 Depth=1
	s_or_b64 exec, exec, s[4:5]
	v_mul_f32_e32 v99, v5, v103
	v_fma_f32 v99, v4, v102, -v99
	v_add_f32_e32 v52, v52, v99
	v_mul_f32_e32 v99, v7, v101
	v_mul_f32_e32 v5, v5, v102
	v_fma_f32 v99, v6, v100, -v99
	v_mul_f32_e32 v7, v7, v100
	v_add_f32_e32 v52, v52, v99
	v_mul_f32_e32 v99, v1, v105
	v_fmac_f32_e32 v5, v4, v103
	v_fma_f32 v99, v0, v104, -v99
	v_mul_f32_e32 v1, v1, v104
	v_add_f32_e32 v4, v53, v5
	v_fmac_f32_e32 v7, v6, v101
	v_add_f32_e32 v52, v52, v99
	v_mul_f32_e32 v99, v3, v107
	v_mul_f32_e32 v3, v3, v106
	v_add_f32_e32 v4, v4, v7
	v_fmac_f32_e32 v1, v0, v105
	v_add_f32_e32 v0, v4, v1
	v_fmac_f32_e32 v3, v2, v107
	v_fma_f32 v99, v2, v106, -v99
	v_add_f32_e32 v1, v0, v3
	v_mul_f32_e32 v0, v13, v111
	v_add_f32_e32 v52, v52, v99
	v_fma_f32 v0, v12, v110, -v0
	v_mul_f32_e32 v6, v13, v110
	v_mul_f32_e32 v2, v15, v109
	v_add_f32_e32 v0, v52, v0
	v_fma_f32 v2, v14, v108, -v2
	v_mul_f32_e32 v7, v15, v108
	v_fmac_f32_e32 v6, v12, v111
	v_add_f32_e32 v0, v0, v2
	v_mul_f32_e32 v2, v9, v113
	v_mul_f32_e32 v3, v9, v112
	v_add_f32_e32 v1, v1, v6
	v_fmac_f32_e32 v7, v14, v109
	v_mov_b32_e32 v16, v119
	v_mov_b32_e32 v17, v119
	v_fma_f32 v2, v8, v112, -v2
	v_mul_f32_e32 v4, v11, v115
	v_mul_f32_e32 v5, v11, v114
	v_add_f32_e32 v1, v1, v7
	v_fmac_f32_e32 v3, v8, v113
	v_mov_b32_e32 v119, v118
	v_fma_f32 v4, v10, v114, -v4
	v_pk_add_f32 v[0:1], v[0:1], v[2:3]
	v_fmac_f32_e32 v5, v10, v115
	v_pk_mul_f32 v[2:3], v[28:29], v[16:17]
	v_mov_b32_e32 v18, v117
	v_mov_b32_e32 v19, v117
	v_pk_add_f32 v[0:1], v[0:1], v[4:5]
	v_pk_fma_f32 v[4:5], v[28:29], v[118:119], v[2:3] op_sel:[0,0,1] op_sel_hi:[1,1,0] neg_lo:[0,0,1] neg_hi:[0,0,1]
	v_pk_fma_f32 v[2:3], v[28:29], v[118:119], v[2:3] op_sel:[0,0,1] op_sel_hi:[1,1,0]
	v_mov_b32_e32 v117, v116
	v_mov_b32_e32 v5, v3
	v_pk_mul_f32 v[2:3], v[30:31], v[18:19]
	v_mov_b32_e32 v20, v121
	v_mov_b32_e32 v21, v121
	v_pk_add_f32 v[0:1], v[0:1], v[4:5]
	v_pk_fma_f32 v[4:5], v[30:31], v[116:117], v[2:3] op_sel:[0,0,1] op_sel_hi:[1,1,0] neg_lo:[0,0,1] neg_hi:[0,0,1]
	v_pk_fma_f32 v[2:3], v[30:31], v[116:117], v[2:3] op_sel:[0,0,1] op_sel_hi:[1,1,0]
	v_mov_b32_e32 v121, v120
	v_mov_b32_e32 v5, v3
	;; [unrolled: 8-line block ×5, first 2 shown]
	v_pk_mul_f32 v[2:3], v[38:39], v[42:43]
	v_mov_b32_e32 v44, v129
	v_mov_b32_e32 v45, v129
	v_pk_fma_f32 v[6:7], v[38:39], v[124:125], v[2:3] op_sel:[0,0,1] op_sel_hi:[1,1,0] neg_lo:[0,0,1] neg_hi:[0,0,1]
	v_pk_fma_f32 v[2:3], v[38:39], v[124:125], v[2:3] op_sel:[0,0,1] op_sel_hi:[1,1,0]
	v_mov_b32_e32 v129, v128
	v_mov_b32_e32 v7, v3
	v_pk_mul_f32 v[2:3], v[32:33], v[44:45]
	v_mov_b32_e32 v46, v131
	v_mov_b32_e32 v47, v131
	v_pk_fma_f32 v[8:9], v[32:33], v[128:129], v[2:3] op_sel:[0,0,1] op_sel_hi:[1,1,0] neg_lo:[0,0,1] neg_hi:[0,0,1]
	v_pk_fma_f32 v[2:3], v[32:33], v[128:129], v[2:3] op_sel:[0,0,1] op_sel_hi:[1,1,0]
	v_mov_b32_e32 v131, v130
	v_mov_b32_e32 v9, v3
	v_pk_mul_f32 v[2:3], v[34:35], v[46:47]
	v_pk_add_f32 v[0:1], v[0:1], v[4:5]
	v_pk_fma_f32 v[10:11], v[34:35], v[130:131], v[2:3] op_sel:[0,0,1] op_sel_hi:[1,1,0] neg_lo:[0,0,1] neg_hi:[0,0,1]
	v_pk_fma_f32 v[2:3], v[34:35], v[130:131], v[2:3] op_sel:[0,0,1] op_sel_hi:[1,1,0]
	v_pk_add_f32 v[0:1], v[0:1], v[6:7]
	v_mov_b32_e32 v11, v3
	v_pk_add_f32 v[0:1], v[0:1], v[8:9]
	s_add_i32 s4, s2, 1
	s_add_i32 s8, s8, s24
	s_add_i32 s2, s2, 2
	v_pk_add_f32 v[52:53], v[0:1], v[10:11]
	v_add_u32_e32 v98, 64, v98
	v_lshl_add_u64 v[58:59], v[58:59], 0, s[10:11]
	v_lshl_add_u64 v[60:61], v[60:61], 0, s[10:11]
	;; [unrolled: 1-line block ×20, first 2 shown]
	s_cmp_ge_u32 s2, s3
	s_mov_b32 s2, s4
	s_barrier
	s_cbranch_scc1 .LBB181_147
.LBB181_92:                             ; =>This Inner Loop Header: Depth=1
	s_cmp_eq_u32 s17, s2
	s_cselect_b32 s25, s33, 0
	s_and_saveexec_b64 s[4:5], s[12:13]
	s_cbranch_execz .LBB181_97
; %bb.93:                               ;   in Loop: Header=BB181_92 Depth=1
	s_cmp_lg_u32 s25, 0
	s_cselect_b64 s[14:15], -1, 0
	v_cmp_le_i32_e32 vcc, s25, v50
	s_and_b64 s[14:15], s[14:15], vcc
	s_and_saveexec_b64 s[20:21], s[14:15]
	s_xor_b64 s[14:15], exec, s[20:21]
; %bb.94:                               ;   in Loop: Header=BB181_92 Depth=1
	ds_write_b64 v133, v[156:157]
; %bb.95:                               ;   in Loop: Header=BB181_92 Depth=1
	s_andn2_saveexec_b64 s[14:15], s[14:15]
	s_cbranch_execz .LBB181_97
; %bb.96:                               ;   in Loop: Header=BB181_92 Depth=1
	s_ashr_i32 s9, s8, 31
	v_lshl_add_u64 v[0:1], s[8:9], 3, v[54:55]
	flat_load_dwordx2 v[0:1], v[0:1]
	s_waitcnt vmcnt(0) lgkmcnt(0)
	ds_write_b64 v133, v[0:1]
.LBB181_97:                             ;   in Loop: Header=BB181_92 Depth=1
	s_or_b64 exec, exec, s[4:5]
	s_cmp_eq_u32 s25, 0
	s_cselect_b64 s[14:15], -1, 0
	s_cmp_lg_u32 s25, 0
	s_cselect_b64 s[20:21], -1, 0
	v_lshl_add_u64 v[0:1], v[62:63], 0, v[56:57]
	s_and_b64 vcc, exec, s[20:21]
	s_waitcnt lgkmcnt(0)
	s_barrier
	s_cbranch_vccz .LBB181_105
; %bb.98:                               ;   in Loop: Header=BB181_92 Depth=1
	v_cmp_gt_i32_e32 vcc, s25, v132
	v_mov_b64_e32 v[100:101], 0
	v_mov_b64_e32 v[102:103], 0
	s_and_saveexec_b64 s[4:5], vcc
	s_cbranch_execz .LBB181_100
; %bb.99:                               ;   in Loop: Header=BB181_92 Depth=1
	flat_load_dwordx2 v[102:103], v[0:1]
.LBB181_100:                            ;   in Loop: Header=BB181_92 Depth=1
	s_or_b64 exec, exec, s[4:5]
	v_cmp_gt_i32_e32 vcc, s25, v140
	s_and_saveexec_b64 s[4:5], vcc
	s_cbranch_execz .LBB181_102
; %bb.101:                              ;   in Loop: Header=BB181_92 Depth=1
	v_lshl_add_u64 v[2:3], v[60:61], 0, v[56:57]
	flat_load_dwordx2 v[100:101], v[2:3]
.LBB181_102:                            ;   in Loop: Header=BB181_92 Depth=1
	s_or_b64 exec, exec, s[4:5]
	v_cmp_gt_i32_e32 vcc, s25, v142
	v_mov_b64_e32 v[104:105], 0
	s_and_saveexec_b64 s[4:5], vcc
	s_cbranch_execz .LBB181_104
; %bb.103:                              ;   in Loop: Header=BB181_92 Depth=1
	v_lshl_add_u64 v[2:3], v[64:65], 0, v[56:57]
	flat_load_dwordx2 v[104:105], v[2:3]
.LBB181_104:                            ;   in Loop: Header=BB181_92 Depth=1
	s_or_b64 exec, exec, s[4:5]
	v_cmp_gt_i32_e64 s[4:5], s25, v143
	s_branch .LBB181_107
.LBB181_105:                            ;   in Loop: Header=BB181_92 Depth=1
	s_mov_b64 s[4:5], 0
                                        ; implicit-def: $vgpr104_vgpr105
                                        ; implicit-def: $vgpr100_vgpr101
                                        ; implicit-def: $vgpr102_vgpr103
	s_cbranch_execz .LBB181_107
; %bb.106:                              ;   in Loop: Header=BB181_92 Depth=1
	s_waitcnt vmcnt(0) lgkmcnt(0)
	flat_load_dwordx2 v[102:103], v[0:1]
	v_lshl_add_u64 v[0:1], v[60:61], 0, v[56:57]
	flat_load_dwordx2 v[100:101], v[0:1]
	v_lshl_add_u64 v[0:1], v[58:59], 0, v[56:57]
	flat_load_dwordx2 v[104:105], v[0:1]
	s_or_b64 s[4:5], s[4:5], exec
.LBB181_107:                            ;   in Loop: Header=BB181_92 Depth=1
	v_mov_b64_e32 v[106:107], 0
	s_and_saveexec_b64 s[22:23], s[4:5]
	s_cbranch_execz .LBB181_109
; %bb.108:                              ;   in Loop: Header=BB181_92 Depth=1
	v_lshl_add_u64 v[0:1], v[66:67], 0, v[56:57]
	flat_load_dwordx2 v[106:107], v[0:1]
.LBB181_109:                            ;   in Loop: Header=BB181_92 Depth=1
	s_or_b64 exec, exec, s[22:23]
	ds_read_b64 v[8:9], v135
	ds_read_b128 v[4:7], v134
	ds_read_b128 v[0:3], v134 offset:16
	s_andn2_b64 vcc, exec, s[20:21]
	s_waitcnt vmcnt(0) lgkmcnt(0)
	v_pk_mul_f32 v[10:11], v[8:9], v[102:103] op_sel:[1,1] op_sel_hi:[0,1]
	v_pk_mul_f32 v[12:13], v[8:9], v[100:101] op_sel:[1,1] op_sel_hi:[0,1]
	v_pk_fma_f32 v[14:15], v[8:9], v[102:103], v[10:11] neg_lo:[0,0,1] neg_hi:[0,0,1]
	v_pk_fma_f32 v[10:11], v[8:9], v[102:103], v[10:11] op_sel_hi:[1,0,1]
	s_nop 0
	v_mov_b32_e32 v15, v11
	v_pk_fma_f32 v[10:11], v[8:9], v[100:101], v[12:13] neg_lo:[0,0,1] neg_hi:[0,0,1]
	v_pk_fma_f32 v[12:13], v[8:9], v[100:101], v[12:13] op_sel_hi:[1,0,1]
	s_nop 0
	v_mov_b32_e32 v11, v13
	ds_write2_b64 v136, v[14:15], v[10:11] offset1:67
	v_pk_mul_f32 v[10:11], v[8:9], v[104:105] op_sel:[1,1] op_sel_hi:[0,1]
	v_pk_fma_f32 v[12:13], v[8:9], v[104:105], v[10:11] neg_lo:[0,0,1] neg_hi:[0,0,1]
	v_pk_fma_f32 v[10:11], v[8:9], v[104:105], v[10:11] op_sel_hi:[1,0,1]
	s_nop 0
	v_mov_b32_e32 v13, v11
	v_pk_mul_f32 v[10:11], v[8:9], v[106:107] op_sel:[1,1] op_sel_hi:[0,1]
	v_pk_fma_f32 v[14:15], v[8:9], v[106:107], v[10:11] neg_lo:[0,0,1] neg_hi:[0,0,1]
	v_pk_fma_f32 v[8:9], v[8:9], v[106:107], v[10:11] op_sel_hi:[1,0,1]
	s_nop 0
	v_mov_b32_e32 v15, v9
	ds_write2_b64 v136, v[12:13], v[14:15] offset0:134 offset1:201
	s_waitcnt lgkmcnt(0)
	s_barrier
	ds_read2_b64 v[20:23], v137 offset1:1
	ds_read2_b64 v[16:19], v137 offset0:2 offset1:3
	v_cndmask_b32_e64 v8, 0, 1, s[20:21]
	v_cmp_ne_u32_e64 s[4:5], 1, v8
	v_lshl_add_u64 v[8:9], v[72:73], 0, v[56:57]
	s_waitcnt lgkmcnt(0)
	s_barrier
	s_cbranch_vccnz .LBB181_117
; %bb.110:                              ;   in Loop: Header=BB181_92 Depth=1
	v_cmp_gt_i32_e32 vcc, s25, v144
	v_mov_b64_e32 v[108:109], 0
	v_mov_b64_e32 v[110:111], 0
	s_and_saveexec_b64 s[20:21], vcc
	s_cbranch_execz .LBB181_112
; %bb.111:                              ;   in Loop: Header=BB181_92 Depth=1
	flat_load_dwordx2 v[110:111], v[8:9]
.LBB181_112:                            ;   in Loop: Header=BB181_92 Depth=1
	s_or_b64 exec, exec, s[20:21]
	v_cmp_gt_i32_e32 vcc, s25, v145
	s_and_saveexec_b64 s[20:21], vcc
	s_cbranch_execz .LBB181_114
; %bb.113:                              ;   in Loop: Header=BB181_92 Depth=1
	v_lshl_add_u64 v[10:11], v[70:71], 0, v[56:57]
	flat_load_dwordx2 v[108:109], v[10:11]
.LBB181_114:                            ;   in Loop: Header=BB181_92 Depth=1
	s_or_b64 exec, exec, s[20:21]
	v_cmp_gt_i32_e32 vcc, s25, v146
	v_mov_b64_e32 v[112:113], 0
	s_and_saveexec_b64 s[20:21], vcc
	s_cbranch_execz .LBB181_116
; %bb.115:                              ;   in Loop: Header=BB181_92 Depth=1
	v_lshl_add_u64 v[10:11], v[74:75], 0, v[56:57]
	flat_load_dwordx2 v[112:113], v[10:11]
.LBB181_116:                            ;   in Loop: Header=BB181_92 Depth=1
	s_or_b64 exec, exec, s[20:21]
	v_cmp_gt_i32_e64 s[20:21], s25, v147
	s_branch .LBB181_119
.LBB181_117:                            ;   in Loop: Header=BB181_92 Depth=1
	s_mov_b64 s[20:21], 0
                                        ; implicit-def: $vgpr112_vgpr113
                                        ; implicit-def: $vgpr108_vgpr109
                                        ; implicit-def: $vgpr110_vgpr111
	s_cbranch_execz .LBB181_119
; %bb.118:                              ;   in Loop: Header=BB181_92 Depth=1
	s_waitcnt vmcnt(0) lgkmcnt(0)
	flat_load_dwordx2 v[110:111], v[8:9]
	v_lshl_add_u64 v[8:9], v[70:71], 0, v[56:57]
	flat_load_dwordx2 v[108:109], v[8:9]
	v_lshl_add_u64 v[8:9], v[68:69], 0, v[56:57]
	flat_load_dwordx2 v[112:113], v[8:9]
	s_or_b64 s[20:21], s[20:21], exec
.LBB181_119:                            ;   in Loop: Header=BB181_92 Depth=1
	v_mov_b64_e32 v[114:115], 0
	s_and_saveexec_b64 s[22:23], s[20:21]
	s_cbranch_execz .LBB181_121
; %bb.120:                              ;   in Loop: Header=BB181_92 Depth=1
	v_lshl_add_u64 v[8:9], v[76:77], 0, v[56:57]
	flat_load_dwordx2 v[114:115], v[8:9]
.LBB181_121:                            ;   in Loop: Header=BB181_92 Depth=1
	s_or_b64 exec, exec, s[22:23]
	ds_read_b64 v[24:25], v135
	ds_read_b128 v[12:15], v134 offset:128
	ds_read_b128 v[8:11], v134 offset:144
	s_and_b64 vcc, exec, s[4:5]
	s_waitcnt vmcnt(0) lgkmcnt(0)
	v_pk_mul_f32 v[26:27], v[24:25], v[110:111] op_sel:[1,1] op_sel_hi:[0,1]
	v_pk_mul_f32 v[28:29], v[24:25], v[108:109] op_sel:[1,1] op_sel_hi:[0,1]
	v_pk_fma_f32 v[30:31], v[24:25], v[110:111], v[26:27] neg_lo:[0,0,1] neg_hi:[0,0,1]
	v_pk_fma_f32 v[26:27], v[24:25], v[110:111], v[26:27] op_sel_hi:[1,0,1]
	s_nop 0
	v_mov_b32_e32 v31, v27
	v_pk_fma_f32 v[26:27], v[24:25], v[108:109], v[28:29] neg_lo:[0,0,1] neg_hi:[0,0,1]
	v_pk_fma_f32 v[28:29], v[24:25], v[108:109], v[28:29] op_sel_hi:[1,0,1]
	s_nop 0
	v_mov_b32_e32 v27, v29
	ds_write2_b64 v136, v[30:31], v[26:27] offset1:67
	v_pk_mul_f32 v[26:27], v[24:25], v[112:113] op_sel:[1,1] op_sel_hi:[0,1]
	v_pk_fma_f32 v[28:29], v[24:25], v[112:113], v[26:27] neg_lo:[0,0,1] neg_hi:[0,0,1]
	v_pk_fma_f32 v[26:27], v[24:25], v[112:113], v[26:27] op_sel_hi:[1,0,1]
	s_nop 0
	v_mov_b32_e32 v29, v27
	v_pk_mul_f32 v[26:27], v[24:25], v[114:115] op_sel:[1,1] op_sel_hi:[0,1]
	v_pk_fma_f32 v[30:31], v[24:25], v[114:115], v[26:27] neg_lo:[0,0,1] neg_hi:[0,0,1]
	v_pk_fma_f32 v[24:25], v[24:25], v[114:115], v[26:27] op_sel_hi:[1,0,1]
	s_nop 0
	v_mov_b32_e32 v31, v25
	ds_write2_b64 v136, v[28:29], v[30:31] offset0:134 offset1:201
	s_waitcnt lgkmcnt(0)
	s_barrier
	ds_read2_b64 v[36:39], v137 offset1:1
	ds_read2_b64 v[32:35], v137 offset0:2 offset1:3
	v_lshl_add_u64 v[24:25], v[82:83], 0, v[56:57]
	s_waitcnt lgkmcnt(0)
	s_barrier
	s_cbranch_vccnz .LBB181_129
; %bb.122:                              ;   in Loop: Header=BB181_92 Depth=1
	v_cmp_gt_i32_e32 vcc, s25, v148
	v_mov_b64_e32 v[116:117], 0
	v_mov_b64_e32 v[118:119], 0
	s_and_saveexec_b64 s[20:21], vcc
	s_cbranch_execz .LBB181_124
; %bb.123:                              ;   in Loop: Header=BB181_92 Depth=1
	flat_load_dwordx2 v[118:119], v[24:25]
.LBB181_124:                            ;   in Loop: Header=BB181_92 Depth=1
	s_or_b64 exec, exec, s[20:21]
	v_cmp_gt_i32_e32 vcc, s25, v149
	s_and_saveexec_b64 s[20:21], vcc
	s_cbranch_execz .LBB181_126
; %bb.125:                              ;   in Loop: Header=BB181_92 Depth=1
	v_lshl_add_u64 v[26:27], v[80:81], 0, v[56:57]
	flat_load_dwordx2 v[116:117], v[26:27]
.LBB181_126:                            ;   in Loop: Header=BB181_92 Depth=1
	s_or_b64 exec, exec, s[20:21]
	v_cmp_gt_i32_e32 vcc, s25, v150
	v_mov_b64_e32 v[120:121], 0
	s_and_saveexec_b64 s[20:21], vcc
	s_cbranch_execz .LBB181_128
; %bb.127:                              ;   in Loop: Header=BB181_92 Depth=1
	v_lshl_add_u64 v[26:27], v[84:85], 0, v[56:57]
	flat_load_dwordx2 v[120:121], v[26:27]
.LBB181_128:                            ;   in Loop: Header=BB181_92 Depth=1
	s_or_b64 exec, exec, s[20:21]
	v_cmp_gt_i32_e64 s[20:21], s25, v151
	s_branch .LBB181_131
.LBB181_129:                            ;   in Loop: Header=BB181_92 Depth=1
	s_mov_b64 s[20:21], 0
                                        ; implicit-def: $vgpr120_vgpr121
                                        ; implicit-def: $vgpr116_vgpr117
                                        ; implicit-def: $vgpr118_vgpr119
	s_cbranch_execz .LBB181_131
; %bb.130:                              ;   in Loop: Header=BB181_92 Depth=1
	s_waitcnt vmcnt(0) lgkmcnt(0)
	flat_load_dwordx2 v[118:119], v[24:25]
	v_lshl_add_u64 v[24:25], v[80:81], 0, v[56:57]
	flat_load_dwordx2 v[116:117], v[24:25]
	v_lshl_add_u64 v[24:25], v[78:79], 0, v[56:57]
	flat_load_dwordx2 v[120:121], v[24:25]
	s_or_b64 s[20:21], s[20:21], exec
.LBB181_131:                            ;   in Loop: Header=BB181_92 Depth=1
	v_mov_b64_e32 v[122:123], 0
	s_and_saveexec_b64 s[22:23], s[20:21]
	s_cbranch_execz .LBB181_133
; %bb.132:                              ;   in Loop: Header=BB181_92 Depth=1
	v_lshl_add_u64 v[24:25], v[86:87], 0, v[56:57]
	flat_load_dwordx2 v[122:123], v[24:25]
.LBB181_133:                            ;   in Loop: Header=BB181_92 Depth=1
	s_or_b64 exec, exec, s[22:23]
	ds_read_b64 v[24:25], v135
	s_and_b64 vcc, exec, s[4:5]
	v_lshl_add_u64 v[130:131], v[92:93], 0, v[56:57]
	s_waitcnt vmcnt(0) lgkmcnt(0)
	v_pk_mul_f32 v[26:27], v[24:25], v[118:119] op_sel:[0,1]
	v_pk_mul_f32 v[28:29], v[24:25], v[116:117] op_sel:[0,1]
	v_pk_fma_f32 v[30:31], v[24:25], v[118:119], v[26:27] op_sel:[0,0,1] op_sel_hi:[1,1,0] neg_lo:[0,0,1] neg_hi:[0,0,1]
	v_pk_fma_f32 v[26:27], v[24:25], v[118:119], v[26:27] op_sel:[0,0,1] op_sel_hi:[1,0,0]
	v_pk_fma_f32 v[40:41], v[24:25], v[116:117], v[28:29] op_sel:[0,0,1] op_sel_hi:[1,1,0] neg_lo:[0,0,1] neg_hi:[0,0,1]
	v_pk_fma_f32 v[28:29], v[24:25], v[116:117], v[28:29] op_sel:[0,0,1] op_sel_hi:[1,0,0]
	v_mov_b32_e32 v31, v27
	v_pk_mul_f32 v[26:27], v[24:25], v[120:121] op_sel:[0,1]
	v_mov_b32_e32 v41, v29
	v_pk_fma_f32 v[28:29], v[24:25], v[120:121], v[26:27] op_sel:[0,0,1] op_sel_hi:[1,1,0] neg_lo:[0,0,1] neg_hi:[0,0,1]
	v_pk_fma_f32 v[26:27], v[24:25], v[120:121], v[26:27] op_sel:[0,0,1] op_sel_hi:[1,0,0]
	ds_write2_b64 v136, v[30:31], v[40:41] offset1:67
	v_mov_b32_e32 v29, v27
	v_pk_mul_f32 v[26:27], v[24:25], v[122:123] op_sel:[0,1]
	s_nop 0
	v_pk_fma_f32 v[30:31], v[24:25], v[122:123], v[26:27] op_sel:[0,0,1] op_sel_hi:[1,1,0] neg_lo:[0,0,1] neg_hi:[0,0,1]
	v_pk_fma_f32 v[24:25], v[24:25], v[122:123], v[26:27] op_sel:[0,0,1] op_sel_hi:[1,0,0]
	s_nop 0
	v_mov_b32_e32 v31, v25
	ds_write2_b64 v136, v[28:29], v[30:31] offset0:134 offset1:201
	ds_read_b128 v[28:31], v134 offset:256
	ds_read_b128 v[24:27], v134 offset:272
	s_waitcnt lgkmcnt(0)
	s_barrier
	ds_read2_b64 v[44:47], v137 offset1:1
	ds_read2_b64 v[40:43], v137 offset0:2 offset1:3
	s_waitcnt lgkmcnt(0)
	s_barrier
	s_cbranch_vccnz .LBB181_141
; %bb.134:                              ;   in Loop: Header=BB181_92 Depth=1
	v_cmp_gt_i32_e32 vcc, s25, v152
	v_mov_b64_e32 v[124:125], 0
	v_mov_b64_e32 v[126:127], 0
	s_and_saveexec_b64 s[4:5], vcc
	s_cbranch_execz .LBB181_136
; %bb.135:                              ;   in Loop: Header=BB181_92 Depth=1
	flat_load_dwordx2 v[126:127], v[130:131]
.LBB181_136:                            ;   in Loop: Header=BB181_92 Depth=1
	s_or_b64 exec, exec, s[4:5]
	v_cmp_gt_i32_e32 vcc, s25, v153
	s_and_saveexec_b64 s[4:5], vcc
	s_cbranch_execz .LBB181_138
; %bb.137:                              ;   in Loop: Header=BB181_92 Depth=1
	v_lshl_add_u64 v[124:125], v[90:91], 0, v[56:57]
	flat_load_dwordx2 v[124:125], v[124:125]
.LBB181_138:                            ;   in Loop: Header=BB181_92 Depth=1
	s_or_b64 exec, exec, s[4:5]
	v_cmp_gt_i32_e32 vcc, s25, v154
	v_mov_b64_e32 v[128:129], 0
	s_and_saveexec_b64 s[4:5], vcc
	s_cbranch_execz .LBB181_140
; %bb.139:                              ;   in Loop: Header=BB181_92 Depth=1
	v_lshl_add_u64 v[128:129], v[94:95], 0, v[56:57]
	flat_load_dwordx2 v[128:129], v[128:129]
.LBB181_140:                            ;   in Loop: Header=BB181_92 Depth=1
	s_or_b64 exec, exec, s[4:5]
	v_cmp_gt_i32_e64 s[4:5], s25, v155
	s_branch .LBB181_143
.LBB181_141:                            ;   in Loop: Header=BB181_92 Depth=1
	s_mov_b64 s[4:5], 0
                                        ; implicit-def: $vgpr128_vgpr129
                                        ; implicit-def: $vgpr124_vgpr125
                                        ; implicit-def: $vgpr126_vgpr127
	s_cbranch_execz .LBB181_143
; %bb.142:                              ;   in Loop: Header=BB181_92 Depth=1
	s_waitcnt vmcnt(0) lgkmcnt(0)
	v_lshl_add_u64 v[124:125], v[90:91], 0, v[56:57]
	v_lshl_add_u64 v[128:129], v[88:89], 0, v[56:57]
	flat_load_dwordx2 v[126:127], v[130:131]
	s_or_b64 s[4:5], s[4:5], exec
	flat_load_dwordx2 v[124:125], v[124:125]
	s_nop 0
	flat_load_dwordx2 v[128:129], v[128:129]
.LBB181_143:                            ;   in Loop: Header=BB181_92 Depth=1
	v_mov_b64_e32 v[130:131], 0
	s_and_saveexec_b64 s[20:21], s[4:5]
	s_cbranch_execz .LBB181_145
; %bb.144:                              ;   in Loop: Header=BB181_92 Depth=1
	v_lshl_add_u64 v[130:131], v[96:97], 0, v[56:57]
	flat_load_dwordx2 v[130:131], v[130:131]
.LBB181_145:                            ;   in Loop: Header=BB181_92 Depth=1
	s_or_b64 exec, exec, s[20:21]
	v_pk_add_f32 v[44:45], v[44:45], 0 op_sel_hi:[1,0]
	v_pk_add_f32 v[36:37], v[36:37], 0 op_sel_hi:[1,0]
	v_pk_add_f32 v[44:45], v[44:45], v[46:47]
	v_pk_add_f32 v[36:37], v[36:37], v[38:39]
	;; [unrolled: 1-line block ×5, first 2 shown]
	ds_read_b64 v[40:41], v135
	v_pk_add_f32 v[46:47], v[32:33], v[34:35]
	v_pk_add_f32 v[20:21], v[20:21], 0 op_sel_hi:[1,0]
	v_cmp_gt_i32_e32 vcc, s25, v50
	v_pk_add_f32 v[158:159], v[20:21], v[22:23]
	s_waitcnt vmcnt(0) lgkmcnt(0)
	v_pk_mul_f32 v[32:33], v[40:41], v[126:127] op_sel:[0,1]
	v_pk_add_f32 v[16:17], v[158:159], v[16:17]
	v_pk_fma_f32 v[34:35], v[40:41], v[126:127], v[32:33] op_sel:[0,0,1] op_sel_hi:[1,1,0] neg_lo:[0,0,1] neg_hi:[0,0,1]
	v_pk_fma_f32 v[32:33], v[40:41], v[126:127], v[32:33] op_sel:[0,0,1] op_sel_hi:[1,0,0]
	v_pk_add_f32 v[16:17], v[16:17], v[18:19]
	v_mov_b32_e32 v35, v33
	v_pk_mul_f32 v[32:33], v[40:41], v[124:125] op_sel:[0,1]
	s_or_b64 s[4:5], s[14:15], vcc
	v_pk_fma_f32 v[36:37], v[40:41], v[124:125], v[32:33] op_sel:[0,0,1] op_sel_hi:[1,1,0] neg_lo:[0,0,1] neg_hi:[0,0,1]
	v_pk_fma_f32 v[32:33], v[40:41], v[124:125], v[32:33] op_sel:[0,0,1] op_sel_hi:[1,0,0]
	s_and_b64 s[14:15], s[0:1], s[4:5]
	v_mov_b32_e32 v37, v33
	v_pk_mul_f32 v[32:33], v[40:41], v[128:129] op_sel:[0,1]
	ds_write2_b64 v136, v[34:35], v[36:37] offset1:67
	v_pk_fma_f32 v[34:35], v[40:41], v[128:129], v[32:33] op_sel:[0,0,1] op_sel_hi:[1,1,0] neg_lo:[0,0,1] neg_hi:[0,0,1]
	v_pk_fma_f32 v[32:33], v[40:41], v[128:129], v[32:33] op_sel:[0,0,1] op_sel_hi:[1,0,0]
	s_nop 0
	v_mov_b32_e32 v35, v33
	v_pk_mul_f32 v[32:33], v[40:41], v[130:131] op_sel:[0,1]
	s_nop 0
	v_pk_fma_f32 v[36:37], v[40:41], v[130:131], v[32:33] op_sel:[0,0,1] op_sel_hi:[1,1,0] neg_lo:[0,0,1] neg_hi:[0,0,1]
	v_pk_fma_f32 v[32:33], v[40:41], v[130:131], v[32:33] op_sel:[0,0,1] op_sel_hi:[1,0,0]
	s_nop 0
	v_mov_b32_e32 v37, v33
	ds_write2_b64 v136, v[34:35], v[36:37] offset0:134 offset1:201
	ds_read_b128 v[36:39], v134 offset:384
	ds_read_b128 v[32:35], v134 offset:400
	s_waitcnt lgkmcnt(0)
	s_barrier
	ds_read2_b64 v[40:43], v137 offset1:1
	ds_read2_b64 v[20:23], v137 offset0:2 offset1:3
	s_waitcnt lgkmcnt(0)
	s_barrier
	v_pk_add_f32 v[18:19], v[40:41], 0 op_sel_hi:[1,0]
	s_nop 0
	v_pk_add_f32 v[18:19], v[18:19], v[42:43]
	s_nop 0
	v_pk_add_f32 v[18:19], v[18:19], v[20:21]
	;; [unrolled: 2-line block ×3, first 2 shown]
	ds_write2_b64 v141, v[16:17], v[46:47] offset1:16
	ds_write2_b64 v141, v[44:45], v[18:19] offset0:32 offset1:48
	s_waitcnt lgkmcnt(0)
	s_barrier
	s_and_saveexec_b64 s[4:5], s[14:15]
	s_cbranch_execz .LBB181_91
; %bb.146:                              ;   in Loop: Header=BB181_92 Depth=1
	ds_read_b64 v[40:41], v138
	ds_read2_b64 v[16:19], v138 offset0:1 offset1:2
	ds_read2_b64 v[20:23], v138 offset0:3 offset1:4
	v_ashrrev_i32_e32 v99, 31, v98
	v_lshl_add_u64 v[44:45], v[98:99], 3, s[6:7]
	s_waitcnt lgkmcnt(1)
	v_add_f32_e32 v16, v16, v40
	v_add_f32_e32 v17, v17, v41
	;; [unrolled: 1-line block ×4, first 2 shown]
	ds_read2_b64 v[16:19], v138 offset0:5 offset1:6
	s_waitcnt lgkmcnt(1)
	v_add_f32_e32 v20, v40, v20
	v_add_f32_e32 v21, v41, v21
	;; [unrolled: 1-line block ×4, first 2 shown]
	ds_read2_b64 v[20:23], v138 offset0:7 offset1:8
	s_waitcnt lgkmcnt(1)
	v_pk_add_f32 v[16:17], v[40:41], v[16:17]
	ds_read2_b64 v[40:43], v138 offset0:9 offset1:10
	v_pk_add_f32 v[16:17], v[16:17], v[18:19]
	s_waitcnt lgkmcnt(1)
	v_pk_add_f32 v[16:17], v[16:17], v[20:21]
	s_nop 0
	v_pk_add_f32 v[20:21], v[16:17], v[22:23]
	ds_read2_b64 v[16:19], v138 offset0:11 offset1:12
	s_waitcnt lgkmcnt(1)
	v_pk_add_f32 v[40:41], v[20:21], v[40:41]
	ds_read2_b64 v[20:23], v138 offset0:13 offset1:14
	v_pk_add_f32 v[40:41], v[40:41], v[42:43]
	ds_read_b64 v[42:43], v139
	s_waitcnt lgkmcnt(2)
	v_pk_add_f32 v[16:17], v[40:41], v[16:17]
	s_nop 0
	v_pk_add_f32 v[16:17], v[16:17], v[18:19]
	s_waitcnt lgkmcnt(1)
	v_pk_add_f32 v[16:17], v[16:17], v[20:21]
	s_nop 0
	v_pk_add_f32 v[16:17], v[16:17], v[22:23]
	s_waitcnt lgkmcnt(0)
	v_pk_add_f32 v[16:17], v[16:17], v[42:43]
	global_store_dwordx2 v[44:45], v[16:17], off
	s_branch .LBB181_91
.LBB181_147:
	s_movk_i32 s0, 0x218
	v_cmp_gt_i32_e32 vcc, s16, v50
	v_mad_u32_u24 v0, v49, s0, v51
	s_or_b64 s[0:1], s[18:19], vcc
	s_and_b64 s[0:1], s[12:13], s[0:1]
	ds_write_b64 v0, v[52:53]
	s_waitcnt lgkmcnt(0)
	s_barrier
	s_and_saveexec_b64 s[2:3], s[0:1]
	s_cbranch_execz .LBB181_149
; %bb.148:
	ds_read2_b64 v[0:3], v51 offset1:67
	ds_read2_b64 v[4:7], v51 offset0:134 offset1:201
	v_ashrrev_i32_e32 v49, 31, v48
	v_lshl_add_u64 v[8:9], v[48:49], 3, s[6:7]
	s_waitcnt lgkmcnt(1)
	v_pk_add_f32 v[0:1], v[2:3], v[0:1]
	s_waitcnt lgkmcnt(0)
	v_pk_add_f32 v[0:1], v[4:5], v[0:1]
	s_nop 0
	v_pk_add_f32 v[0:1], v[0:1], v[6:7]
	global_store_dwordx2 v[8:9], v[0:1], off
.LBB181_149:
	s_endpgm
	.section	.rodata,"a",@progbits
	.p2align	6, 0x0
	.amdhsa_kernel _ZL26rocblas_hemvn_kernel_upperILb0ELi64ELi4ELi33ELi32ELi16EiPK19rocblas_complex_numIfEPKS3_PS1_EviT6_lT7_lT5_lS8_lS9_lS7_lT8_i
		.amdhsa_group_segment_fixed_size 9600
		.amdhsa_private_segment_fixed_size 0
		.amdhsa_kernarg_size 376
		.amdhsa_user_sgpr_count 2
		.amdhsa_user_sgpr_dispatch_ptr 0
		.amdhsa_user_sgpr_queue_ptr 0
		.amdhsa_user_sgpr_kernarg_segment_ptr 1
		.amdhsa_user_sgpr_dispatch_id 0
		.amdhsa_user_sgpr_kernarg_preload_length 0
		.amdhsa_user_sgpr_kernarg_preload_offset 0
		.amdhsa_user_sgpr_private_segment_size 0
		.amdhsa_uses_dynamic_stack 0
		.amdhsa_enable_private_segment 0
		.amdhsa_system_sgpr_workgroup_id_x 1
		.amdhsa_system_sgpr_workgroup_id_y 0
		.amdhsa_system_sgpr_workgroup_id_z 1
		.amdhsa_system_sgpr_workgroup_info 0
		.amdhsa_system_vgpr_workitem_id 1
		.amdhsa_next_free_vgpr 160
		.amdhsa_next_free_sgpr 44
		.amdhsa_accum_offset 160
		.amdhsa_reserve_vcc 1
		.amdhsa_float_round_mode_32 0
		.amdhsa_float_round_mode_16_64 0
		.amdhsa_float_denorm_mode_32 3
		.amdhsa_float_denorm_mode_16_64 3
		.amdhsa_dx10_clamp 1
		.amdhsa_ieee_mode 1
		.amdhsa_fp16_overflow 0
		.amdhsa_tg_split 0
		.amdhsa_exception_fp_ieee_invalid_op 0
		.amdhsa_exception_fp_denorm_src 0
		.amdhsa_exception_fp_ieee_div_zero 0
		.amdhsa_exception_fp_ieee_overflow 0
		.amdhsa_exception_fp_ieee_underflow 0
		.amdhsa_exception_fp_ieee_inexact 0
		.amdhsa_exception_int_div_zero 0
	.end_amdhsa_kernel
	.section	.text._ZL26rocblas_hemvn_kernel_upperILb0ELi64ELi4ELi33ELi32ELi16EiPK19rocblas_complex_numIfEPKS3_PS1_EviT6_lT7_lT5_lS8_lS9_lS7_lT8_i,"axG",@progbits,_ZL26rocblas_hemvn_kernel_upperILb0ELi64ELi4ELi33ELi32ELi16EiPK19rocblas_complex_numIfEPKS3_PS1_EviT6_lT7_lT5_lS8_lS9_lS7_lT8_i,comdat
.Lfunc_end181:
	.size	_ZL26rocblas_hemvn_kernel_upperILb0ELi64ELi4ELi33ELi32ELi16EiPK19rocblas_complex_numIfEPKS3_PS1_EviT6_lT7_lT5_lS8_lS9_lS7_lT8_i, .Lfunc_end181-_ZL26rocblas_hemvn_kernel_upperILb0ELi64ELi4ELi33ELi32ELi16EiPK19rocblas_complex_numIfEPKS3_PS1_EviT6_lT7_lT5_lS8_lS9_lS7_lT8_i
                                        ; -- End function
	.set _ZL26rocblas_hemvn_kernel_upperILb0ELi64ELi4ELi33ELi32ELi16EiPK19rocblas_complex_numIfEPKS3_PS1_EviT6_lT7_lT5_lS8_lS9_lS7_lT8_i.num_vgpr, 160
	.set _ZL26rocblas_hemvn_kernel_upperILb0ELi64ELi4ELi33ELi32ELi16EiPK19rocblas_complex_numIfEPKS3_PS1_EviT6_lT7_lT5_lS8_lS9_lS7_lT8_i.num_agpr, 0
	.set _ZL26rocblas_hemvn_kernel_upperILb0ELi64ELi4ELi33ELi32ELi16EiPK19rocblas_complex_numIfEPKS3_PS1_EviT6_lT7_lT5_lS8_lS9_lS7_lT8_i.numbered_sgpr, 44
	.set _ZL26rocblas_hemvn_kernel_upperILb0ELi64ELi4ELi33ELi32ELi16EiPK19rocblas_complex_numIfEPKS3_PS1_EviT6_lT7_lT5_lS8_lS9_lS7_lT8_i.num_named_barrier, 0
	.set _ZL26rocblas_hemvn_kernel_upperILb0ELi64ELi4ELi33ELi32ELi16EiPK19rocblas_complex_numIfEPKS3_PS1_EviT6_lT7_lT5_lS8_lS9_lS7_lT8_i.private_seg_size, 0
	.set _ZL26rocblas_hemvn_kernel_upperILb0ELi64ELi4ELi33ELi32ELi16EiPK19rocblas_complex_numIfEPKS3_PS1_EviT6_lT7_lT5_lS8_lS9_lS7_lT8_i.uses_vcc, 1
	.set _ZL26rocblas_hemvn_kernel_upperILb0ELi64ELi4ELi33ELi32ELi16EiPK19rocblas_complex_numIfEPKS3_PS1_EviT6_lT7_lT5_lS8_lS9_lS7_lT8_i.uses_flat_scratch, 0
	.set _ZL26rocblas_hemvn_kernel_upperILb0ELi64ELi4ELi33ELi32ELi16EiPK19rocblas_complex_numIfEPKS3_PS1_EviT6_lT7_lT5_lS8_lS9_lS7_lT8_i.has_dyn_sized_stack, 0
	.set _ZL26rocblas_hemvn_kernel_upperILb0ELi64ELi4ELi33ELi32ELi16EiPK19rocblas_complex_numIfEPKS3_PS1_EviT6_lT7_lT5_lS8_lS9_lS7_lT8_i.has_recursion, 0
	.set _ZL26rocblas_hemvn_kernel_upperILb0ELi64ELi4ELi33ELi32ELi16EiPK19rocblas_complex_numIfEPKS3_PS1_EviT6_lT7_lT5_lS8_lS9_lS7_lT8_i.has_indirect_call, 0
	.section	.AMDGPU.csdata,"",@progbits
; Kernel info:
; codeLenInByte = 8492
; TotalNumSgprs: 50
; NumVgprs: 160
; NumAgprs: 0
; TotalNumVgprs: 160
; ScratchSize: 0
; MemoryBound: 1
; FloatMode: 240
; IeeeMode: 1
; LDSByteSize: 9600 bytes/workgroup (compile time only)
; SGPRBlocks: 6
; VGPRBlocks: 19
; NumSGPRsForWavesPerEU: 50
; NumVGPRsForWavesPerEU: 160
; AccumOffset: 160
; Occupancy: 3
; WaveLimiterHint : 1
; COMPUTE_PGM_RSRC2:SCRATCH_EN: 0
; COMPUTE_PGM_RSRC2:USER_SGPR: 2
; COMPUTE_PGM_RSRC2:TRAP_HANDLER: 0
; COMPUTE_PGM_RSRC2:TGID_X_EN: 1
; COMPUTE_PGM_RSRC2:TGID_Y_EN: 0
; COMPUTE_PGM_RSRC2:TGID_Z_EN: 1
; COMPUTE_PGM_RSRC2:TIDIG_COMP_CNT: 1
; COMPUTE_PGM_RSRC3_GFX90A:ACCUM_OFFSET: 39
; COMPUTE_PGM_RSRC3_GFX90A:TG_SPLIT: 0
	.section	.text._ZL26rocblas_hemvn_kernel_upperILb0ELi64ELi4ELi33ELi32ELi16El19rocblas_complex_numIfEPKPKS1_PS1_EviT6_lT7_lT5_lS8_lS9_lS7_lT8_i,"axG",@progbits,_ZL26rocblas_hemvn_kernel_upperILb0ELi64ELi4ELi33ELi32ELi16El19rocblas_complex_numIfEPKPKS1_PS1_EviT6_lT7_lT5_lS8_lS9_lS7_lT8_i,comdat
	.globl	_ZL26rocblas_hemvn_kernel_upperILb0ELi64ELi4ELi33ELi32ELi16El19rocblas_complex_numIfEPKPKS1_PS1_EviT6_lT7_lT5_lS8_lS9_lS7_lT8_i ; -- Begin function _ZL26rocblas_hemvn_kernel_upperILb0ELi64ELi4ELi33ELi32ELi16El19rocblas_complex_numIfEPKPKS1_PS1_EviT6_lT7_lT5_lS8_lS9_lS7_lT8_i
	.p2align	8
	.type	_ZL26rocblas_hemvn_kernel_upperILb0ELi64ELi4ELi33ELi32ELi16El19rocblas_complex_numIfEPKPKS1_PS1_EviT6_lT7_lT5_lS8_lS9_lS7_lT8_i,@function
_ZL26rocblas_hemvn_kernel_upperILb0ELi64ELi4ELi33ELi32ELi16El19rocblas_complex_numIfEPKPKS1_PS1_EviT6_lT7_lT5_lS8_lS9_lS7_lT8_i: ; @_ZL26rocblas_hemvn_kernel_upperILb0ELi64ELi4ELi33ELi32ELi16El19rocblas_complex_numIfEPKPKS1_PS1_EviT6_lT7_lT5_lS8_lS9_lS7_lT8_i
; %bb.0:
	s_load_dwordx2 s[4:5], s[0:1], 0x84
	s_add_u32 s8, s0, 0x78
	s_mov_b32 s28, s3
	s_addc_u32 s9, s1, 0
	s_waitcnt lgkmcnt(0)
	s_and_b32 s3, s5, 0xffff
	s_lshr_b32 s5, s4, 16
	s_and_b32 s4, s4, 0xffff
	s_mul_i32 s4, s5, s4
	s_mul_i32 s4, s4, s3
	s_cmpk_lg_i32 s4, 0x100
	s_cbranch_scc1 .LBB182_149
; %bb.1:
	s_load_dwordx2 s[4:5], s[0:1], 0x4
	s_waitcnt lgkmcnt(0)
	s_or_b32 s3, s4, s5
	s_bitset0_b32 s3, 31
	s_cmp_lg_u32 s3, 0
	s_mov_b64 s[4:5], -1
	s_cbranch_scc1 .LBB182_3
; %bb.2:
	s_load_dwordx2 s[4:5], s[0:1], 0x58
	s_waitcnt lgkmcnt(0)
	v_cmp_eq_f32_e64 s[6:7], s4, 1.0
	v_cmp_eq_f32_e64 s[4:5], s5, 0
	s_and_b64 s[4:5], s[6:7], s[4:5]
	s_andn2_b64 vcc, exec, s[4:5]
	s_mov_b64 s[4:5], 0
.LBB182_3:
	s_andn2_b64 vcc, exec, s[4:5]
	s_cbranch_vccnz .LBB182_149
; %bb.4:
	s_load_dword s33, s[0:1], 0x0
	s_load_dwordx4 s[4:7], s[0:1], 0x18
	s_load_dwordx2 s[24:25], s[0:1], 0x28
	s_load_dwordx4 s[12:15], s[0:1], 0x38
	s_mov_b32 s29, 0
	s_lshl_b64 s[10:11], s[28:29], 3
	s_waitcnt lgkmcnt(0)
	s_add_u32 s16, s4, s10
	s_addc_u32 s17, s5, s11
	s_add_u32 s10, s12, s10
	s_addc_u32 s11, s13, s11
	s_load_dwordx2 s[12:13], s[10:11], 0x0
	s_load_dword s3, s[8:9], 0x0
	s_load_dwordx2 s[18:19], s[0:1], 0x48
	s_load_dwordx2 s[4:5], s[16:17], 0x0
	s_lshl_b64 s[8:9], s[14:15], 3
	s_waitcnt lgkmcnt(0)
	s_add_u32 s8, s12, s8
	s_addc_u32 s9, s13, s9
	s_ashr_i32 s36, s33, 31
	s_lshr_b32 s11, s36, 26
	v_and_b32_e32 v120, 0x3ff, v0
	s_lshl_b32 s26, s2, 6
	s_add_i32 s11, s33, s11
	s_andn2_b32 s11, s11, 63
	v_add_u32_e32 v48, s26, v120
	s_add_i32 s10, s3, -1
	s_sub_i32 s29, s33, s11
	v_ashrrev_i32_e32 v49, 31, v48
	v_bfe_u32 v121, v0, 10, 10
	s_cmp_eq_u32 s2, s10
	v_mul_lo_u32 v2, s18, v49
	v_mul_lo_u32 v3, s19, v48
	v_mad_u64_u32 v[0:1], s[10:11], s18, v48, 0
	v_add3_u32 v1, v1, v2, v3
	s_cselect_b32 s20, s29, 0
	v_lshl_add_u64 v[12:13], v[0:1], 3, s[8:9]
	v_cmp_eq_u32_e64 s[14:15], 0, v121
	s_and_saveexec_b64 s[8:9], s[14:15]
	s_cbranch_execz .LBB182_9
; %bb.5:
	s_cmp_lg_u32 s20, 0
	s_cselect_b64 s[10:11], -1, 0
	v_cmp_le_i32_e32 vcc, s20, v120
	v_mov_b32_e32 v0, 0x2380
	s_and_b64 s[10:11], s[10:11], vcc
	v_lshl_add_u32 v0, v120, 3, v0
	s_and_saveexec_b64 s[12:13], s[10:11]
	s_xor_b64 s[10:11], exec, s[12:13]
; %bb.6:
	v_mov_b32_e32 v2, 0
	v_mov_b32_e32 v3, v2
	ds_write_b64 v0, v[2:3]
                                        ; implicit-def: $vgpr0
; %bb.7:
	s_andn2_saveexec_b64 s[10:11], s[10:11]
	s_cbranch_execz .LBB182_9
; %bb.8:
	flat_load_dwordx2 v[2:3], v[12:13]
	s_waitcnt vmcnt(0) lgkmcnt(0)
	ds_write_b64 v0, v[2:3]
.LBB182_9:
	s_or_b64 exec, exec, s[8:9]
	s_lshl_b64 s[6:7], s[6:7], 3
	s_add_u32 s6, s4, s6
	s_addc_u32 s7, s5, s7
	s_ashr_i32 s27, s26, 31
	v_lshl_add_u32 v22, v121, 6, v120
	s_lshl_b64 s[4:5], s[26:27], 3
	v_and_b32_e32 v2, 31, v120
	v_lshrrev_b32_e32 v10, 5, v22
	s_add_u32 s4, s6, s4
	v_mov_b32_e32 v3, 0
	s_addc_u32 s5, s7, s5
	v_mad_u64_u32 v[14:15], s[6:7], s24, v10, v[2:3]
	v_mov_b32_e32 v0, v15
	v_mad_u64_u32 v[0:1], s[6:7], s25, v10, v[0:1]
	v_mov_b32_e32 v15, v0
	v_lshl_add_u64 v[0:1], v[14:15], 3, s[4:5]
	s_mul_hi_u32 s4, s24, s26
	s_mul_i32 s5, s24, s27
	s_add_i32 s4, s4, s5
	s_mul_i32 s5, s25, s26
	s_add_i32 s5, s4, s5
	s_cmp_eq_u32 s20, 0
	s_cselect_b64 s[22:23], -1, 0
	s_cmp_lg_u32 s20, 0
	s_mul_i32 s4, s24, s26
	s_cselect_b64 s[30:31], -1, 0
	v_lshl_add_u64 v[6:7], s[4:5], 3, v[0:1]
	s_and_b64 vcc, exec, s[30:31]
	v_cmp_gt_i32_e64 s[4:5], s20, v2
	v_lshlrev_b32_e32 v0, 3, v2
	s_cbranch_vccz .LBB182_25
; %bb.10:
	v_sub_co_u32_e32 v4, vcc, v6, v0
	s_ashr_i32 s21, s20, 31
	s_nop 0
	v_subbrev_co_u32_e32 v5, vcc, 0, v7, vcc
	v_lshl_add_u64 v[4:5], s[20:21], 3, v[4:5]
	v_lshl_add_u64 v[4:5], v[4:5], 0, -8
	v_cndmask_b32_e64 v5, v5, v7, s[4:5]
	v_cndmask_b32_e64 v4, v4, v6, s[4:5]
	v_cmp_gt_i32_e32 vcc, s20, v10
	v_mov_b32_e32 v9, 0
	s_and_saveexec_b64 s[6:7], vcc
	s_cbranch_execz .LBB182_12
; %bb.11:
	flat_load_dwordx2 v[8:9], v[4:5]
	s_waitcnt vmcnt(0) lgkmcnt(0)
	v_mov_b32_e32 v3, v8
.LBB182_12:
	s_or_b64 exec, exec, s[6:7]
	v_lshlrev_b32_e32 v1, 3, v2
	s_movk_i32 s6, 0x108
	v_mov_b32_e32 v8, v3
	v_mad_u32_u24 v3, v10, s6, v1
	v_mul_u32_u24_e32 v11, 0x108, v10
	ds_write_b64 v3, v[8:9]
	v_add_u32_e32 v3, 8, v10
	v_cmp_le_i32_e32 vcc, s20, v3
	v_add_u32_e32 v1, v11, v1
	s_and_saveexec_b64 s[6:7], vcc
	s_xor_b64 s[6:7], exec, s[6:7]
; %bb.13:
	v_mov_b32_e32 v8, 0
	v_mov_b32_e32 v9, v8
	ds_write_b64 v1, v[8:9] offset:2112
; %bb.14:
	s_andn2_saveexec_b64 s[6:7], s[6:7]
	s_cbranch_execz .LBB182_16
; %bb.15:
	s_lshl_b64 s[8:9], s[24:25], 6
	v_lshl_add_u64 v[8:9], v[4:5], 0, s[8:9]
	flat_load_dwordx2 v[8:9], v[8:9]
	s_waitcnt vmcnt(0) lgkmcnt(0)
	ds_write_b64 v1, v[8:9] offset:2112
.LBB182_16:
	s_or_b64 exec, exec, s[6:7]
	v_add_u32_e32 v3, 16, v10
	v_cmp_le_i32_e32 vcc, s20, v3
	s_and_saveexec_b64 s[6:7], vcc
	s_xor_b64 s[6:7], exec, s[6:7]
; %bb.17:
	v_mov_b32_e32 v8, 0
	v_mov_b32_e32 v9, v8
	ds_write_b64 v1, v[8:9] offset:4224
; %bb.18:
	s_andn2_saveexec_b64 s[6:7], s[6:7]
	s_cbranch_execz .LBB182_20
; %bb.19:
	s_lshl_b64 s[8:9], s[24:25], 7
	v_lshl_add_u64 v[8:9], v[4:5], 0, s[8:9]
	flat_load_dwordx2 v[8:9], v[8:9]
	s_waitcnt vmcnt(0) lgkmcnt(0)
	ds_write_b64 v1, v[8:9] offset:4224
.LBB182_20:
	s_or_b64 exec, exec, s[6:7]
	v_add_u32_e32 v3, 24, v10
	v_cmp_le_i32_e32 vcc, s20, v3
	s_and_saveexec_b64 s[6:7], vcc
	s_xor_b64 s[6:7], exec, s[6:7]
; %bb.21:
	v_mov_b32_e32 v8, 0
	v_mov_b32_e32 v9, v8
	ds_write_b64 v1, v[8:9] offset:6336
                                        ; implicit-def: $vgpr1
; %bb.22:
	s_andn2_saveexec_b64 s[6:7], s[6:7]
	s_cbranch_execz .LBB182_24
; %bb.23:
	v_mov_b32_e32 v3, 0xc0
	v_mad_u64_u32 v[8:9], s[8:9], s24, v3, v[4:5]
	s_mul_i32 s8, s25, 0xc0
	s_nop 0
	v_add_u32_e32 v9, s8, v9
	flat_load_dwordx2 v[8:9], v[8:9]
	s_waitcnt vmcnt(0) lgkmcnt(0)
	ds_write_b64 v1, v[8:9] offset:6336
.LBB182_24:
	s_or_b64 exec, exec, s[6:7]
	v_mov_b32_e32 v1, 0
	v_lshl_add_u64 v[4:5], v[4:5], 0, v[0:1]
	s_lshl_b64 s[6:7], s[20:21], 3
	v_mov_b32_e32 v1, s7
	v_subrev_co_u32_e32 v4, vcc, s6, v4
	s_nop 1
	v_subb_co_u32_e32 v5, vcc, v5, v1, vcc
	v_lshl_add_u64 v[4:5], v[4:5], 0, 8
	v_cndmask_b32_e64 v5, v5, v7, s[4:5]
	v_cndmask_b32_e64 v4, v4, v6, s[4:5]
	s_branch .LBB182_27
.LBB182_25:
                                        ; implicit-def: $vgpr4_vgpr5
	s_cbranch_execz .LBB182_27
; %bb.26:
	s_lshl_b64 s[4:5], s[24:25], 6
	v_lshl_add_u64 v[4:5], v[6:7], 0, s[4:5]
	v_lshl_add_u64 v[8:9], v[4:5], 0, s[4:5]
	;; [unrolled: 1-line block ×3, first 2 shown]
	flat_load_dwordx2 v[18:19], v[6:7]
	flat_load_dwordx2 v[20:21], v[4:5]
	;; [unrolled: 1-line block ×4, first 2 shown]
	v_mul_u32_u24_e32 v1, 0x108, v10
	v_lshl_add_u32 v1, v2, 3, v1
	v_mov_b64_e32 v[4:5], v[6:7]
	s_waitcnt vmcnt(0) lgkmcnt(0)
	ds_write_b64 v1, v[18:19]
	ds_write_b64 v1, v[20:21] offset:2112
	ds_write_b64 v1, v[24:25] offset:4224
	;; [unrolled: 1-line block ×3, first 2 shown]
.LBB182_27:
	v_lshlrev_b32_e32 v11, 3, v2
	v_lshlrev_b32_e32 v3, 2, v10
	v_lshl_or_b32 v1, v2, 8, v11
	v_cmp_gt_u32_e64 s[6:7], v3, v2
	v_lshl_add_u32 v1, v3, 3, v1
	s_waitcnt lgkmcnt(0)
	s_barrier
	s_and_saveexec_b64 s[4:5], s[6:7]
	s_cbranch_execz .LBB182_29
; %bb.28:
	s_movk_i32 s8, 0x420
	v_mad_u32_u24 v6, v10, s8, v11
	ds_read_b64 v[6:7], v6
	s_waitcnt lgkmcnt(0)
	ds_write_b64 v1, v[6:7]
.LBB182_29:
	s_or_b64 exec, exec, s[4:5]
	v_or_b32_e32 v16, 1, v3
	v_cmp_ge_u32_e64 s[8:9], v3, v2
	s_and_saveexec_b64 s[4:5], s[8:9]
	s_cbranch_execz .LBB182_31
; %bb.30:
	s_movk_i32 s10, 0x108
	v_mad_u32_u24 v6, v16, s10, v11
	ds_read_b64 v[6:7], v6
	s_waitcnt lgkmcnt(0)
	ds_write_b64 v1, v[6:7] offset:8
.LBB182_31:
	s_or_b64 exec, exec, s[4:5]
	v_or_b32_e32 v6, 2, v3
	v_cmp_gt_u32_e64 s[10:11], v6, v2
	s_and_saveexec_b64 s[4:5], s[10:11]
	s_cbranch_execz .LBB182_33
; %bb.32:
	s_movk_i32 s12, 0x108
	v_mad_u32_u24 v6, v6, s12, v11
	ds_read_b64 v[6:7], v6
	s_waitcnt lgkmcnt(0)
	ds_write_b64 v1, v[6:7] offset:16
.LBB182_33:
	s_or_b64 exec, exec, s[4:5]
	v_or_b32_e32 v7, 3, v3
	v_cmp_gt_u32_e64 s[12:13], v7, v2
	v_cmp_le_u32_e32 vcc, v7, v2
                                        ; implicit-def: $vgpr6
	s_and_saveexec_b64 s[4:5], vcc
	s_xor_b64 s[4:5], exec, s[4:5]
; %bb.34:
	v_mul_u32_u24_e32 v6, 0x108, v7
                                        ; implicit-def: $vgpr7
                                        ; implicit-def: $vgpr1
; %bb.35:
	s_andn2_saveexec_b64 s[4:5], s[4:5]
	s_cbranch_execz .LBB182_37
; %bb.36:
	s_movk_i32 s16, 0x108
	v_mad_u32_u24 v6, v7, s16, v11
	ds_read_b64 v[8:9], v6
	v_mul_u32_u24_e32 v6, 0x108, v7
	s_waitcnt lgkmcnt(0)
	ds_write_b64 v1, v[8:9] offset:24
.LBB182_37:
	s_or_b64 exec, exec, s[4:5]
	s_movk_i32 s4, 0x420
	v_mad_u32_u24 v1, v10, s4, v11
	s_movk_i32 s4, 0x108
	v_mad_u32_u24 v7, v16, s4, v11
	s_waitcnt lgkmcnt(0)
	s_barrier
	v_lshlrev_b32_e32 v17, 3, v3
	ds_read2_b64 v[26:29], v7 offset1:33
	v_add_u32_e32 v18, v11, v6
	ds_read_b64 v[20:21], v1
	ds_read_b128 v[6:9], v17 offset:9088
	ds_read_b64 v[34:35], v18
	ds_read_b128 v[30:33], v17 offset:9104
	v_mul_u32_u24_e32 v19, 33, v2
	v_lshlrev_b32_e32 v23, 3, v19
	v_mov_b32_e32 v50, 0
	s_waitcnt lgkmcnt(2)
	v_pk_mul_f32 v[36:37], v[6:7], v[20:21] op_sel:[1,1] op_sel_hi:[0,1]
	v_pk_fma_f32 v[38:39], v[6:7], v[20:21], v[36:37] neg_lo:[0,0,1] neg_hi:[0,0,1]
	v_pk_fma_f32 v[6:7], v[6:7], v[20:21], v[36:37] op_sel_hi:[1,0,1]
	v_pk_mul_f32 v[20:21], v[8:9], v[26:27] op_sel:[1,1] op_sel_hi:[0,1]
	v_pk_fma_f32 v[36:37], v[8:9], v[26:27], v[20:21] neg_lo:[0,0,1] neg_hi:[0,0,1]
	v_pk_fma_f32 v[8:9], v[8:9], v[26:27], v[20:21] op_sel_hi:[1,0,1]
	v_mov_b32_e32 v39, v7
	v_mov_b32_e32 v37, v9
	s_waitcnt lgkmcnt(0)
	v_pk_mul_f32 v[8:9], v[30:31], v[28:29] op_sel:[1,1] op_sel_hi:[0,1]
	v_pk_add_f32 v[6:7], v[38:39], 0 op_sel_hi:[1,0]
	v_pk_fma_f32 v[20:21], v[30:31], v[28:29], v[8:9] neg_lo:[0,0,1] neg_hi:[0,0,1]
	v_pk_fma_f32 v[8:9], v[30:31], v[28:29], v[8:9] op_sel_hi:[1,0,1]
	v_pk_add_f32 v[6:7], v[6:7], v[36:37]
	v_mov_b32_e32 v21, v9
	v_pk_mul_f32 v[8:9], v[32:33], v[34:35] op_sel:[1,1] op_sel_hi:[0,1]
	v_pk_add_f32 v[6:7], v[6:7], v[20:21]
	v_pk_fma_f32 v[20:21], v[32:33], v[34:35], v[8:9] neg_lo:[0,0,1] neg_hi:[0,0,1]
	v_pk_fma_f32 v[8:9], v[32:33], v[34:35], v[8:9] op_sel_hi:[1,0,1]
	v_lshl_add_u32 v24, v10, 3, v23
	v_mov_b32_e32 v21, v9
	v_mov_b32_e32 v51, v50
	v_pk_add_f32 v[6:7], v[6:7], v[20:21]
	v_cmp_gt_u32_e64 s[4:5], 32, v22
	s_barrier
	ds_write_b64 v24, v[6:7]
	s_waitcnt lgkmcnt(0)
	s_barrier
	s_and_saveexec_b64 s[16:17], s[4:5]
	s_cbranch_execz .LBB182_39
; %bb.38:
	ds_read2_b64 v[6:9], v23 offset1:7
	ds_read2_b64 v[26:29], v23 offset0:1 offset1:2
	ds_read2_b64 v[30:33], v23 offset0:3 offset1:4
	s_waitcnt lgkmcnt(1)
	v_add_f32_e32 v1, v26, v6
	v_add_f32_e32 v6, v27, v7
	;; [unrolled: 1-line block ×4, first 2 shown]
	ds_read2_b64 v[26:29], v23 offset0:5 offset1:6
	s_waitcnt lgkmcnt(1)
	v_add_f32_e32 v1, v1, v30
	v_add_f32_e32 v6, v6, v31
	;; [unrolled: 1-line block ×4, first 2 shown]
	s_waitcnt lgkmcnt(0)
	v_add_f32_e32 v1, v1, v26
	v_add_f32_e32 v7, v6, v27
	;; [unrolled: 1-line block ×4, first 2 shown]
	v_pk_add_f32 v[50:51], v[6:7], v[8:9]
.LBB182_39:
	s_or_b64 exec, exec, s[16:17]
	s_lshl_b64 s[16:17], s[24:25], 8
	v_lshl_add_u64 v[6:7], v[4:5], 0, s[16:17]
	s_mov_b64 s[16:17], 0x100
	v_lshl_add_u64 v[4:5], v[6:7], 0, s[16:17]
	s_and_b64 vcc, exec, s[30:31]
	s_barrier
	s_cbranch_vccz .LBB182_55
; %bb.40:
	v_sub_co_u32_e32 v8, vcc, v6, v0
	s_ashr_i32 s21, s20, 31
	s_nop 0
	v_subbrev_co_u32_e32 v9, vcc, 0, v7, vcc
	v_or_b32_e32 v1, 32, v2
	v_lshl_add_u64 v[8:9], s[20:21], 3, v[8:9]
	v_mov_b32_e32 v20, 0
	v_lshl_add_u64 v[8:9], v[8:9], 0, -8
	v_cmp_gt_i32_e32 vcc, s20, v1
	s_sub_i32 s37, s20, 32
	v_cmp_gt_i32_e64 s[16:17], s37, v10
	v_cndmask_b32_e32 v9, v9, v5, vcc
	v_cndmask_b32_e32 v8, v8, v4, vcc
	v_mov_b32_e32 v21, v20
	s_and_saveexec_b64 s[34:35], s[16:17]
	s_cbranch_execz .LBB182_42
; %bb.41:
	flat_load_dwordx2 v[20:21], v[8:9]
.LBB182_42:
	s_or_b64 exec, exec, s[34:35]
	s_movk_i32 s16, 0x108
	v_mad_u32_u24 v19, v10, s16, v11
	v_mul_u32_u24_e32 v1, 0x108, v10
	s_waitcnt vmcnt(0) lgkmcnt(0)
	ds_write_b64 v19, v[20:21]
	v_add_u32_e32 v19, 8, v10
	v_cmp_le_i32_e64 s[16:17], s37, v19
	v_add_u32_e32 v1, v1, v11
	s_and_saveexec_b64 s[34:35], s[16:17]
	s_xor_b64 s[16:17], exec, s[34:35]
; %bb.43:
	v_mov_b32_e32 v20, 0
	v_mov_b32_e32 v21, v20
	ds_write_b64 v1, v[20:21] offset:2112
; %bb.44:
	s_andn2_saveexec_b64 s[16:17], s[16:17]
	s_cbranch_execz .LBB182_46
; %bb.45:
	s_lshl_b64 s[34:35], s[24:25], 6
	v_lshl_add_u64 v[20:21], v[8:9], 0, s[34:35]
	flat_load_dwordx2 v[20:21], v[20:21]
	s_waitcnt vmcnt(0) lgkmcnt(0)
	ds_write_b64 v1, v[20:21] offset:2112
.LBB182_46:
	s_or_b64 exec, exec, s[16:17]
	v_add_u32_e32 v19, 16, v10
	v_cmp_le_i32_e64 s[16:17], s37, v19
	s_and_saveexec_b64 s[34:35], s[16:17]
	s_xor_b64 s[16:17], exec, s[34:35]
; %bb.47:
	v_mov_b32_e32 v20, 0
	v_mov_b32_e32 v21, v20
	ds_write_b64 v1, v[20:21] offset:4224
; %bb.48:
	s_andn2_saveexec_b64 s[16:17], s[16:17]
	s_cbranch_execz .LBB182_50
; %bb.49:
	s_lshl_b64 s[34:35], s[24:25], 7
	v_lshl_add_u64 v[20:21], v[8:9], 0, s[34:35]
	flat_load_dwordx2 v[20:21], v[20:21]
	s_waitcnt vmcnt(0) lgkmcnt(0)
	ds_write_b64 v1, v[20:21] offset:4224
.LBB182_50:
	s_or_b64 exec, exec, s[16:17]
	v_add_u32_e32 v19, 24, v10
	v_cmp_le_i32_e64 s[16:17], s37, v19
	s_and_saveexec_b64 s[34:35], s[16:17]
	s_xor_b64 s[16:17], exec, s[34:35]
; %bb.51:
	v_mov_b32_e32 v20, 0
	v_mov_b32_e32 v21, v20
	ds_write_b64 v1, v[20:21] offset:6336
                                        ; implicit-def: $vgpr1
; %bb.52:
	s_andn2_saveexec_b64 s[16:17], s[16:17]
	s_cbranch_execz .LBB182_54
; %bb.53:
	v_mov_b32_e32 v19, 0xc0
	v_mad_u64_u32 v[20:21], s[34:35], s24, v19, v[8:9]
	s_mul_i32 s34, s25, 0xc0
	s_nop 0
	v_add_u32_e32 v21, s34, v21
	flat_load_dwordx2 v[20:21], v[20:21]
	s_waitcnt vmcnt(0) lgkmcnt(0)
	ds_write_b64 v1, v[20:21] offset:6336
.LBB182_54:
	s_or_b64 exec, exec, s[16:17]
	v_mov_b32_e32 v1, 0
	v_lshl_add_u64 v[8:9], v[8:9], 0, v[0:1]
	s_lshl_b64 s[16:17], s[20:21], 3
	v_mov_b32_e32 v1, s17
	v_subrev_co_u32_e64 v8, s[16:17], s16, v8
	s_nop 1
	v_subb_co_u32_e64 v9, s[16:17], v9, v1, s[16:17]
	s_mov_b64 s[16:17], 0x108
	s_nop 0
	v_lshl_add_u64 v[8:9], v[8:9], 0, s[16:17]
	v_cndmask_b32_e32 v9, v9, v5, vcc
	v_cndmask_b32_e32 v8, v8, v4, vcc
	v_mul_u32_u24_e32 v1, 0x420, v10
	s_branch .LBB182_57
.LBB182_55:
                                        ; implicit-def: $vgpr8_vgpr9
	v_mul_u32_u24_e32 v1, 0x420, v10
	s_cbranch_execz .LBB182_57
; %bb.56:
	s_lshl_b64 s[16:17], s[24:25], 6
	v_lshl_add_u64 v[8:9], v[6:7], 0, s[16:17]
	v_lshl_add_u64 v[20:21], v[8:9], 0, s[16:17]
	;; [unrolled: 1-line block ×3, first 2 shown]
	flat_load_dwordx2 v[28:29], v[6:7] offset:256
	flat_load_dwordx2 v[30:31], v[8:9] offset:256
	;; [unrolled: 1-line block ×4, first 2 shown]
	s_movk_i32 s16, 0x108
	v_mad_u32_u24 v6, v10, s16, v11
	v_mov_b64_e32 v[8:9], v[4:5]
	s_waitcnt vmcnt(0) lgkmcnt(0)
	ds_write_b64 v6, v[28:29]
	ds_write_b64 v6, v[30:31] offset:2112
	ds_write_b64 v6, v[32:33] offset:4224
	;; [unrolled: 1-line block ×3, first 2 shown]
.LBB182_57:
	v_mul_u32_u24_e32 v4, 0x108, v16
	v_add_u32_e32 v6, v11, v1
	v_lshl_add_u32 v1, v3, 3, v23
	s_waitcnt lgkmcnt(0)
	s_barrier
	s_and_saveexec_b64 s[16:17], s[6:7]
	s_cbranch_execnz .LBB182_80
; %bb.58:
	s_or_b64 exec, exec, s[16:17]
	v_add_u32_e32 v7, v11, v4
	s_and_saveexec_b64 s[6:7], s[8:9]
	s_cbranch_execnz .LBB182_81
.LBB182_59:
	s_or_b64 exec, exec, s[6:7]
	s_and_saveexec_b64 s[6:7], s[10:11]
	s_cbranch_execnz .LBB182_82
.LBB182_60:
	s_or_b64 exec, exec, s[6:7]
	v_add_u32_e32 v19, 0x2380, v17
	s_and_saveexec_b64 s[6:7], s[12:13]
	s_cbranch_execz .LBB182_62
.LBB182_61:
	ds_read_b64 v[4:5], v18
	s_waitcnt lgkmcnt(0)
	ds_write_b64 v1, v[4:5] offset:24
.LBB182_62:
	s_or_b64 exec, exec, s[6:7]
	s_waitcnt lgkmcnt(0)
	s_barrier
	ds_read_b64 v[4:5], v6
	ds_read_b128 v[26:29], v19 offset:256
	ds_read2_b64 v[30:33], v7 offset1:33
	ds_read_b64 v[16:17], v18
	ds_read_b128 v[34:37], v19 offset:272
	v_cmp_eq_u32_e64 s[6:7], 1, v10
	s_waitcnt lgkmcnt(3)
	v_pk_mul_f32 v[20:21], v[26:27], v[4:5] op_sel:[1,1] op_sel_hi:[0,1]
	v_pk_fma_f32 v[38:39], v[26:27], v[4:5], v[20:21] neg_lo:[0,0,1] neg_hi:[0,0,1]
	v_pk_fma_f32 v[4:5], v[26:27], v[4:5], v[20:21] op_sel_hi:[1,0,1]
	s_waitcnt lgkmcnt(2)
	v_pk_mul_f32 v[20:21], v[28:29], v[30:31] op_sel:[1,1] op_sel_hi:[0,1]
	v_mov_b32_e32 v39, v5
	v_pk_fma_f32 v[26:27], v[28:29], v[30:31], v[20:21] neg_lo:[0,0,1] neg_hi:[0,0,1]
	v_pk_fma_f32 v[20:21], v[28:29], v[30:31], v[20:21] op_sel_hi:[1,0,1]
	v_pk_add_f32 v[4:5], v[38:39], 0 op_sel_hi:[1,0]
	v_mov_b32_e32 v27, v21
	s_waitcnt lgkmcnt(0)
	v_pk_mul_f32 v[20:21], v[34:35], v[32:33] op_sel:[1,1] op_sel_hi:[0,1]
	v_pk_add_f32 v[4:5], v[4:5], v[26:27]
	v_pk_fma_f32 v[26:27], v[34:35], v[32:33], v[20:21] neg_lo:[0,0,1] neg_hi:[0,0,1]
	v_pk_fma_f32 v[20:21], v[34:35], v[32:33], v[20:21] op_sel_hi:[1,0,1]
	s_nop 0
	v_mov_b32_e32 v27, v21
	v_pk_mul_f32 v[20:21], v[36:37], v[16:17] op_sel:[1,1] op_sel_hi:[0,1]
	v_pk_add_f32 v[4:5], v[4:5], v[26:27]
	v_pk_fma_f32 v[26:27], v[36:37], v[16:17], v[20:21] neg_lo:[0,0,1] neg_hi:[0,0,1]
	v_pk_fma_f32 v[16:17], v[36:37], v[16:17], v[20:21] op_sel_hi:[1,0,1]
	s_barrier
	v_mov_b32_e32 v27, v17
	v_pk_add_f32 v[4:5], v[4:5], v[26:27]
	ds_write_b64 v24, v[4:5]
	s_waitcnt lgkmcnt(0)
	s_barrier
	s_and_saveexec_b64 s[8:9], s[6:7]
	s_cbranch_execz .LBB182_64
; %bb.63:
	ds_read2_b64 v[26:29], v23 offset1:7
	ds_read2_b64 v[30:33], v23 offset0:1 offset1:2
	ds_read2_b64 v[34:37], v23 offset0:3 offset1:4
	s_waitcnt lgkmcnt(1)
	v_add_f32_e32 v1, v30, v26
	v_add_f32_e32 v3, v31, v27
	;; [unrolled: 1-line block ×4, first 2 shown]
	ds_read2_b64 v[30:33], v23 offset0:5 offset1:6
	s_waitcnt lgkmcnt(1)
	v_add_f32_e32 v1, v1, v34
	v_add_f32_e32 v3, v3, v35
	;; [unrolled: 1-line block ×4, first 2 shown]
	s_waitcnt lgkmcnt(0)
	v_add_f32_e32 v4, v1, v30
	v_add_f32_e32 v5, v3, v31
	v_pk_add_f32 v[4:5], v[4:5], v[32:33]
	s_nop 0
	v_pk_add_f32 v[50:51], v[4:5], v[28:29]
.LBB182_64:
	s_or_b64 exec, exec, s[8:9]
	s_movk_i32 s8, 0xff00
	s_mov_b32 s9, -1
	v_lshl_add_u64 v[4:5], v[8:9], 0, s[8:9]
	s_and_b64 vcc, exec, s[30:31]
	s_barrier
	s_cbranch_vccz .LBB182_83
; %bb.65:
	v_sub_co_u32_e32 v16, vcc, v4, v0
	s_ashr_i32 s21, s20, 31
	s_nop 0
	v_subbrev_co_u32_e32 v17, vcc, 0, v5, vcc
	v_lshl_add_u64 v[16:17], s[20:21], 3, v[16:17]
	v_mov_b32_e32 v8, 0
	v_lshl_add_u64 v[16:17], v[16:17], 0, -8
	v_cmp_gt_i32_e32 vcc, s20, v2
	s_sub_i32 s12, s20, 32
	v_cmp_gt_i32_e64 s[8:9], s12, v10
	v_cndmask_b32_e32 v3, v17, v5, vcc
	v_cndmask_b32_e32 v2, v16, v4, vcc
	v_mov_b32_e32 v9, v8
	s_and_saveexec_b64 s[10:11], s[8:9]
	s_cbranch_execz .LBB182_67
; %bb.66:
	flat_load_dwordx2 v[8:9], v[2:3]
.LBB182_67:
	s_or_b64 exec, exec, s[10:11]
	s_movk_i32 s8, 0x108
	v_mad_u32_u24 v16, v10, s8, v11
	v_mul_u32_u24_e32 v1, 0x108, v10
	s_waitcnt vmcnt(0) lgkmcnt(0)
	ds_write_b64 v16, v[8:9]
	v_add_u32_e32 v8, 8, v10
	v_cmp_le_i32_e64 s[8:9], s12, v8
	v_add_u32_e32 v1, v1, v11
	s_and_saveexec_b64 s[10:11], s[8:9]
	s_xor_b64 s[8:9], exec, s[10:11]
; %bb.68:
	v_mov_b32_e32 v16, 0
	v_mov_b32_e32 v17, v16
	ds_write_b64 v1, v[16:17] offset:2112
; %bb.69:
	s_andn2_saveexec_b64 s[8:9], s[8:9]
	s_cbranch_execz .LBB182_71
; %bb.70:
	s_lshl_b64 s[10:11], s[24:25], 6
	v_lshl_add_u64 v[16:17], v[2:3], 0, s[10:11]
	flat_load_dwordx2 v[16:17], v[16:17]
	s_waitcnt vmcnt(0) lgkmcnt(0)
	ds_write_b64 v1, v[16:17] offset:2112
.LBB182_71:
	s_or_b64 exec, exec, s[8:9]
	v_add_u32_e32 v9, 16, v10
	v_cmp_le_i32_e64 s[8:9], s12, v9
	s_and_saveexec_b64 s[10:11], s[8:9]
	s_xor_b64 s[8:9], exec, s[10:11]
; %bb.72:
	v_mov_b32_e32 v16, 0
	v_mov_b32_e32 v17, v16
	ds_write_b64 v1, v[16:17] offset:4224
; %bb.73:
	s_andn2_saveexec_b64 s[8:9], s[8:9]
	s_cbranch_execz .LBB182_75
; %bb.74:
	s_lshl_b64 s[10:11], s[24:25], 7
	v_lshl_add_u64 v[16:17], v[2:3], 0, s[10:11]
	flat_load_dwordx2 v[16:17], v[16:17]
	s_waitcnt vmcnt(0) lgkmcnt(0)
	ds_write_b64 v1, v[16:17] offset:4224
.LBB182_75:
	s_or_b64 exec, exec, s[8:9]
	v_add_u32_e32 v20, 24, v10
	v_cmp_le_i32_e64 s[8:9], s12, v20
	s_and_saveexec_b64 s[10:11], s[8:9]
	s_xor_b64 s[8:9], exec, s[10:11]
; %bb.76:
	v_mov_b32_e32 v16, 0
	v_mov_b32_e32 v17, v16
	ds_write_b64 v1, v[16:17] offset:6336
                                        ; implicit-def: $vgpr1
; %bb.77:
	s_andn2_saveexec_b64 s[8:9], s[8:9]
	s_cbranch_execz .LBB182_79
; %bb.78:
	v_mov_b32_e32 v16, 0xc0
	v_mad_u64_u32 v[16:17], s[10:11], s24, v16, v[2:3]
	s_mul_i32 s10, s25, 0xc0
	s_nop 0
	v_add_u32_e32 v17, s10, v17
	flat_load_dwordx2 v[16:17], v[16:17]
	s_waitcnt vmcnt(0) lgkmcnt(0)
	ds_write_b64 v1, v[16:17] offset:6336
.LBB182_79:
	s_or_b64 exec, exec, s[8:9]
	v_mov_b32_e32 v1, 0
	v_lshl_add_u64 v[0:1], v[2:3], 0, v[0:1]
	s_lshl_b64 s[8:9], s[20:21], 3
	v_mov_b32_e32 v2, s9
	v_subrev_co_u32_e64 v0, s[8:9], s8, v0
	s_nop 1
	v_subb_co_u32_e64 v1, s[8:9], v1, v2, s[8:9]
	v_lshl_add_u64 v[0:1], v[0:1], 0, 8
	v_cndmask_b32_e32 v17, v1, v5, vcc
	v_cndmask_b32_e32 v16, v0, v4, vcc
	s_branch .LBB182_85
.LBB182_80:
	ds_read_b64 v[20:21], v6
	s_waitcnt lgkmcnt(0)
	ds_write_b64 v1, v[20:21]
	s_or_b64 exec, exec, s[16:17]
	v_add_u32_e32 v7, v11, v4
	s_and_saveexec_b64 s[6:7], s[8:9]
	s_cbranch_execz .LBB182_59
.LBB182_81:
	ds_read_b64 v[4:5], v7
	s_waitcnt lgkmcnt(0)
	ds_write_b64 v1, v[4:5] offset:8
	s_or_b64 exec, exec, s[6:7]
	s_and_saveexec_b64 s[6:7], s[10:11]
	s_cbranch_execz .LBB182_60
.LBB182_82:
	ds_read_b64 v[4:5], v7 offset:264
	s_waitcnt lgkmcnt(0)
	ds_write_b64 v1, v[4:5] offset:16
	s_or_b64 exec, exec, s[6:7]
	v_add_u32_e32 v19, 0x2380, v17
	s_and_saveexec_b64 s[6:7], s[12:13]
	s_cbranch_execnz .LBB182_61
	s_branch .LBB182_62
.LBB182_83:
                                        ; implicit-def: $vgpr16_vgpr17
                                        ; implicit-def: $vgpr8
                                        ; implicit-def: $vgpr9
                                        ; implicit-def: $vgpr20
	s_cbranch_execz .LBB182_85
; %bb.84:
	s_lshl_b64 s[8:9], s[24:25], 6
	v_lshl_add_u64 v[0:1], v[4:5], 0, s[8:9]
	v_lshl_add_u64 v[2:3], v[0:1], 0, s[8:9]
	;; [unrolled: 1-line block ×3, first 2 shown]
	flat_load_dwordx2 v[16:17], v[4:5]
	flat_load_dwordx2 v[26:27], v[0:1]
	;; [unrolled: 1-line block ×4, first 2 shown]
	s_movk_i32 s8, 0x108
	v_mad_u32_u24 v0, v10, s8, v11
	v_add_u32_e32 v8, 8, v10
	v_add_u32_e32 v9, 16, v10
	;; [unrolled: 1-line block ×3, first 2 shown]
	s_waitcnt vmcnt(0) lgkmcnt(0)
	ds_write_b64 v0, v[16:17]
	ds_write_b64 v0, v[26:27] offset:2112
	ds_write_b64 v0, v[28:29] offset:4224
	;; [unrolled: 1-line block ×3, first 2 shown]
	v_mov_b64_e32 v[16:17], v[4:5]
.LBB182_85:
	v_lshlrev_b32_e32 v25, 3, v10
	v_lshlrev_b32_e32 v30, 3, v8
	;; [unrolled: 1-line block ×4, first 2 shown]
	v_add_u32_e32 v28, v23, v25
	v_add_u32_e32 v34, v23, v30
	;; [unrolled: 1-line block ×4, first 2 shown]
	s_waitcnt lgkmcnt(0)
	s_barrier
	ds_read_b64 v[26:27], v0
	ds_read_b64 v[20:21], v6
	ds_read2_b64 v[4:7], v7 offset1:33
	ds_read_b128 v[8:11], v19 offset:256
	ds_read_b128 v[0:3], v19 offset:272
	ds_read_b64 v[28:29], v28
	ds_read_b64 v[18:19], v18
	ds_read_b64 v[30:31], v30 offset:9088
	ds_read_b64 v[32:33], v25 offset:9088
	ds_read_b64 v[34:35], v34
	ds_read_b64 v[36:37], v36
	ds_read_b64 v[38:39], v38 offset:9088
	ds_read_b64 v[40:41], v40 offset:9088
	s_waitcnt lgkmcnt(4)
	v_pk_mul_f32 v[42:43], v[32:33], v[28:29] op_sel:[1,1] op_sel_hi:[0,1]
	v_pk_fma_f32 v[44:45], v[32:33], v[28:29], v[42:43] neg_lo:[0,0,1] neg_hi:[0,0,1]
	v_pk_fma_f32 v[28:29], v[32:33], v[28:29], v[42:43] op_sel_hi:[1,0,1]
	s_waitcnt lgkmcnt(3)
	v_pk_mul_f32 v[32:33], v[30:31], v[34:35] op_sel:[1,1] op_sel_hi:[0,1]
	v_pk_fma_f32 v[42:43], v[30:31], v[34:35], v[32:33] neg_lo:[0,0,1] neg_hi:[0,0,1]
	v_pk_fma_f32 v[30:31], v[30:31], v[34:35], v[32:33] op_sel_hi:[1,0,1]
	v_mov_b32_e32 v45, v29
	v_mov_b32_e32 v43, v31
	s_waitcnt lgkmcnt(0)
	v_pk_mul_f32 v[30:31], v[40:41], v[36:37] op_sel:[1,1] op_sel_hi:[0,1]
	v_pk_add_f32 v[28:29], v[44:45], 0 op_sel_hi:[1,0]
	v_pk_fma_f32 v[32:33], v[40:41], v[36:37], v[30:31] neg_lo:[0,0,1] neg_hi:[0,0,1]
	v_pk_fma_f32 v[30:31], v[40:41], v[36:37], v[30:31] op_sel_hi:[1,0,1]
	v_pk_add_f32 v[28:29], v[28:29], v[42:43]
	v_mov_b32_e32 v33, v31
	v_pk_mul_f32 v[30:31], v[38:39], v[26:27] op_sel:[1,1] op_sel_hi:[0,1]
	v_pk_add_f32 v[28:29], v[28:29], v[32:33]
	v_pk_fma_f32 v[32:33], v[38:39], v[26:27], v[30:31] neg_lo:[0,0,1] neg_hi:[0,0,1]
	v_pk_fma_f32 v[26:27], v[38:39], v[26:27], v[30:31] op_sel_hi:[1,0,1]
	s_nop 0
	v_mov_b32_e32 v33, v27
	v_pk_add_f32 v[26:27], v[28:29], v[32:33]
	s_barrier
	ds_write_b64 v24, v[26:27]
	s_waitcnt lgkmcnt(0)
	s_barrier
	s_and_saveexec_b64 s[8:9], s[6:7]
	s_cbranch_execz .LBB182_87
; %bb.86:
	ds_read2_b64 v[26:29], v23 offset1:1
	ds_read2_b64 v[30:33], v23 offset0:2 offset1:3
	ds_read2_b64 v[34:37], v23 offset0:4 offset1:5
	s_waitcnt lgkmcnt(2)
	v_pk_add_f32 v[26:27], v[50:51], v[26:27]
	s_nop 0
	v_pk_add_f32 v[38:39], v[26:27], v[28:29]
	ds_read2_b64 v[26:29], v23 offset0:6 offset1:7
	s_waitcnt lgkmcnt(2)
	v_pk_add_f32 v[30:31], v[38:39], v[30:31]
	s_nop 0
	v_pk_add_f32 v[30:31], v[30:31], v[32:33]
	s_waitcnt lgkmcnt(1)
	v_pk_add_f32 v[30:31], v[30:31], v[34:35]
	s_nop 0
	v_pk_add_f32 v[30:31], v[30:31], v[36:37]
	;; [unrolled: 4-line block ×3, first 2 shown]
.LBB182_87:
	s_or_b64 exec, exec, s[8:9]
	v_pk_mul_f32 v[26:27], v[8:9], v[20:21] op_sel:[1,1] op_sel_hi:[0,1]
	v_pk_fma_f32 v[28:29], v[8:9], v[20:21], v[26:27] neg_lo:[0,0,1] neg_hi:[0,0,1]
	v_pk_fma_f32 v[8:9], v[8:9], v[20:21], v[26:27] op_sel_hi:[1,0,1]
	v_pk_mul_f32 v[20:21], v[10:11], v[4:5] op_sel:[1,1] op_sel_hi:[0,1]
	v_mov_b32_e32 v29, v9
	v_pk_fma_f32 v[26:27], v[10:11], v[4:5], v[20:21] neg_lo:[0,0,1] neg_hi:[0,0,1]
	v_pk_fma_f32 v[4:5], v[10:11], v[4:5], v[20:21] op_sel_hi:[1,0,1]
	v_pk_add_f32 v[8:9], v[28:29], 0 op_sel_hi:[1,0]
	v_mov_b32_e32 v27, v5
	v_pk_add_f32 v[4:5], v[8:9], v[26:27]
	v_pk_mul_f32 v[8:9], v[0:1], v[6:7] op_sel:[1,1] op_sel_hi:[0,1]
	v_pk_fma_f32 v[10:11], v[0:1], v[6:7], v[8:9] neg_lo:[0,0,1] neg_hi:[0,0,1]
	v_pk_fma_f32 v[0:1], v[0:1], v[6:7], v[8:9] op_sel_hi:[1,0,1]
	s_nop 0
	v_mov_b32_e32 v11, v1
	v_pk_add_f32 v[0:1], v[4:5], v[10:11]
	v_pk_mul_f32 v[4:5], v[2:3], v[18:19] op_sel:[1,1] op_sel_hi:[0,1]
	v_pk_fma_f32 v[6:7], v[2:3], v[18:19], v[4:5] neg_lo:[0,0,1] neg_hi:[0,0,1]
	v_pk_fma_f32 v[2:3], v[2:3], v[18:19], v[4:5] op_sel_hi:[1,0,1]
	s_barrier
	v_mov_b32_e32 v7, v3
	v_pk_add_f32 v[0:1], v[0:1], v[6:7]
	ds_write_b64 v24, v[0:1]
	s_waitcnt lgkmcnt(0)
	s_barrier
	s_and_saveexec_b64 s[6:7], s[4:5]
	s_cbranch_execz .LBB182_89
; %bb.88:
	ds_read2_b64 v[0:3], v23 offset1:1
	ds_read2_b64 v[4:7], v23 offset0:2 offset1:3
	ds_read2_b64 v[8:11], v23 offset0:4 offset1:5
	s_waitcnt lgkmcnt(2)
	v_pk_add_f32 v[0:1], v[50:51], v[0:1]
	s_nop 0
	v_pk_add_f32 v[18:19], v[0:1], v[2:3]
	ds_read2_b64 v[0:3], v23 offset0:6 offset1:7
	s_waitcnt lgkmcnt(2)
	v_pk_add_f32 v[4:5], v[18:19], v[4:5]
	s_nop 0
	v_pk_add_f32 v[4:5], v[4:5], v[6:7]
	s_waitcnt lgkmcnt(1)
	v_pk_add_f32 v[4:5], v[4:5], v[8:9]
	s_nop 0
	v_pk_add_f32 v[4:5], v[4:5], v[10:11]
	;; [unrolled: 4-line block ×3, first 2 shown]
.LBB182_89:
	s_or_b64 exec, exec, s[6:7]
	s_load_dwordx2 s[0:1], s[0:1], 0x68
	s_mul_hi_u32 s4, s33, s28
	s_mul_i32 s36, s36, s28
	s_add_i32 s4, s4, s36
	s_mul_i32 s6, s33, s28
	s_mul_i32 s4, s4, s3
	s_mul_hi_u32 s5, s6, s3
	s_add_i32 s5, s5, s4
	s_mul_i32 s4, s6, s3
	s_lshl_b64 s[4:5], s[4:5], 3
	s_waitcnt lgkmcnt(0)
	s_add_u32 s4, s0, s4
	s_addc_u32 s5, s1, s5
	s_mul_hi_i32 s1, s33, s2
	s_mul_i32 s0, s33, s2
	s_lshl_b64 s[0:1], s[0:1], 3
	s_add_u32 s6, s4, s0
	s_addc_u32 s7, s5, s1
	s_add_i32 s0, s2, 1
	s_cmp_ge_u32 s0, s3
	v_lshlrev_b32_e32 v52, 3, v120
	s_barrier
	s_cbranch_scc1 .LBB182_147
; %bb.90:
	s_mul_i32 s0, s18, s27
	s_mul_hi_u32 s1, s18, s26
	s_add_i32 s0, s1, s0
	s_mul_i32 s1, s19, s26
	s_add_i32 s1, s0, s1
	s_mul_i32 s0, s18, s26
	s_lshl_b64 s[0:1], s[0:1], 3
	v_mov_b32_e32 v0, s1
	v_subrev_co_u32_e32 v54, vcc, s0, v12
	v_and_b32_e32 v1, 15, v120
	s_nop 0
	v_subb_co_u32_e32 v55, vcc, v13, v0, vcc
	v_lshrrev_b32_e32 v0, 4, v22
	v_lshlrev_b32_e32 v2, 5, v0
	v_mul_i32_i24_e32 v38, 0xffffffe8, v0
	v_and_b32_e32 v0, 48, v120
	v_lshlrev_b32_e32 v36, 5, v121
	s_movk_i32 s4, 0x218
	v_lshlrev_b32_e32 v0, 3, v0
	v_mad_u32_u24 v128, v1, s4, v0
	v_or_b32_e32 v0, 0x78, v52
	v_add_u32_e32 v3, 0x110, v36
	v_mad_u32_u24 v127, v1, s4, v2
	v_mad_u32_u24 v129, v1, s4, v0
	v_mad_u64_u32 v[0:1], s[4:5], s24, v3, 0
	v_mov_b32_e32 v2, v1
	v_lshlrev_b64 v[4:5], 3, v[14:15]
	v_mad_u64_u32 v[2:3], s[4:5], s25, v3, v[2:3]
	v_sub_co_u32_e32 v0, vcc, v0, v4
	v_add_u32_e32 v7, 0x108, v36
	s_nop 0
	v_subb_co_u32_e32 v1, vcc, v2, v5, vcc
	v_mad_u64_u32 v[2:3], s[4:5], s24, v7, 0
	v_mov_b32_e32 v6, v3
	v_mad_u64_u32 v[6:7], s[4:5], s25, v7, v[6:7]
	v_sub_co_u32_e32 v2, vcc, v2, v4
	v_add_u32_e32 v9, 0x100, v36
	s_nop 0
	v_subb_co_u32_e32 v3, vcc, v6, v5, vcc
	v_mad_u64_u32 v[6:7], s[4:5], s24, v9, 0
	v_mov_b32_e32 v8, v7
	;; [unrolled: 7-line block ×7, first 2 shown]
	v_mad_u64_u32 v[20:21], s[4:5], s25, v21, v[20:21]
	v_sub_co_u32_e32 v18, vcc, v18, v4
	v_add_u32_e32 v23, 0x210, v36
	s_movk_i32 s0, 0x860
	v_subb_co_u32_e32 v19, vcc, v20, v5, vcc
	v_mad_u64_u32 v[20:21], s[4:5], s24, v23, 0
	v_mad_u32_u24 v126, v121, s0, v52
	v_cmp_gt_u32_e64 s[0:1], 64, v22
	v_mov_b32_e32 v22, v21
	v_mad_u64_u32 v[22:23], s[4:5], s25, v23, v[22:23]
	v_sub_co_u32_e32 v20, vcc, v20, v4
	v_add_u32_e32 v25, 0x208, v36
	s_nop 0
	v_subb_co_u32_e32 v21, vcc, v22, v5, vcc
	v_mad_u64_u32 v[22:23], s[4:5], s24, v25, 0
	v_mov_b32_e32 v24, v23
	v_mad_u64_u32 v[24:25], s[4:5], s25, v25, v[24:25]
	v_sub_co_u32_e32 v22, vcc, v22, v4
	v_add_u32_e32 v27, 0x200, v36
	s_nop 0
	v_subb_co_u32_e32 v23, vcc, v24, v5, vcc
	v_mad_u64_u32 v[24:25], s[4:5], s24, v27, 0
	;; [unrolled: 7-line block ×7, first 2 shown]
	v_add_u32_e32 v124, 0x2180, v36
	v_mov_b32_e32 v36, v35
	v_mad_u64_u32 v[36:37], s[4:5], s25, v37, v[36:37]
	v_sub_co_u32_e32 v4, vcc, v34, v4
	v_lshlrev_b32_e32 v122, 2, v121
	s_nop 0
	v_subb_co_u32_e32 v5, vcc, v36, v5, vcc
	v_mov_b32_e32 v53, 0
	s_add_i32 s21, s3, -2
	v_add_u32_e32 v123, 0x2180, v52
	v_add_u32_e32 v125, 0x2380, v52
	v_or_b32_e32 v130, 1, v122
	v_or_b32_e32 v131, 2, v122
	;; [unrolled: 1-line block ×3, first 2 shown]
	v_add_u32_e32 v133, 16, v122
	v_add_u32_e32 v134, 17, v122
	;; [unrolled: 1-line block ×8, first 2 shown]
	v_lshl_add_u64 v[56:57], v[16:17], 0, v[0:1]
	v_lshl_add_u64 v[58:59], v[16:17], 0, v[2:3]
	;; [unrolled: 1-line block ×16, first 2 shown]
	v_add_u32_e32 v141, 48, v122
	v_add_u32_e32 v142, 49, v122
	s_add_i32 s26, s26, 64
	s_lshl_b64 s[8:9], s[24:25], 9
	v_add_u32_e32 v143, v127, v38
	v_mov_b32_e32 v146, v53
	v_mov_b32_e32 v147, v53
	v_add_u32_e32 v144, 50, v122
	v_add_u32_e32 v145, 51, v122
	s_branch .LBB182_92
.LBB182_91:                             ;   in Loop: Header=BB182_92 Depth=1
	s_or_b64 exec, exec, s[4:5]
	v_mul_f32_e32 v148, v5, v91
	v_fma_f32 v148, v4, v90, -v148
	v_mul_f32_e32 v5, v5, v90
	v_mul_f32_e32 v90, v7, v89
	v_add_f32_e32 v50, v50, v148
	v_fma_f32 v90, v6, v88, -v90
	v_mul_f32_e32 v7, v7, v88
	v_mul_f32_e32 v88, v1, v93
	v_fmac_f32_e32 v5, v4, v91
	v_add_f32_e32 v50, v50, v90
	v_fma_f32 v88, v0, v92, -v88
	v_mul_f32_e32 v1, v1, v92
	v_add_f32_e32 v4, v51, v5
	v_fmac_f32_e32 v7, v6, v89
	v_add_f32_e32 v50, v50, v88
	v_mul_f32_e32 v88, v3, v95
	v_mul_f32_e32 v3, v3, v94
	v_add_f32_e32 v4, v4, v7
	v_fmac_f32_e32 v1, v0, v93
	v_add_f32_e32 v0, v4, v1
	v_fmac_f32_e32 v3, v2, v95
	v_fma_f32 v88, v2, v94, -v88
	v_add_f32_e32 v1, v0, v3
	v_mul_f32_e32 v0, v13, v99
	v_add_f32_e32 v50, v50, v88
	v_fma_f32 v0, v12, v98, -v0
	v_mul_f32_e32 v6, v13, v98
	v_mul_f32_e32 v2, v15, v97
	v_add_f32_e32 v0, v50, v0
	v_fma_f32 v2, v14, v96, -v2
	v_mul_f32_e32 v7, v15, v96
	v_fmac_f32_e32 v6, v12, v99
	v_add_f32_e32 v0, v0, v2
	v_mul_f32_e32 v2, v9, v101
	v_mul_f32_e32 v3, v9, v100
	v_add_f32_e32 v1, v1, v6
	v_fmac_f32_e32 v7, v14, v97
	v_mov_b32_e32 v16, v107
	v_mov_b32_e32 v17, v107
	v_fma_f32 v2, v8, v100, -v2
	v_mul_f32_e32 v4, v11, v103
	v_mul_f32_e32 v5, v11, v102
	v_add_f32_e32 v1, v1, v7
	v_fmac_f32_e32 v3, v8, v101
	v_mov_b32_e32 v107, v106
	v_fma_f32 v4, v10, v102, -v4
	v_pk_add_f32 v[0:1], v[0:1], v[2:3]
	v_fmac_f32_e32 v5, v10, v103
	v_pk_mul_f32 v[2:3], v[28:29], v[16:17]
	v_mov_b32_e32 v18, v105
	v_mov_b32_e32 v19, v105
	v_pk_add_f32 v[0:1], v[0:1], v[4:5]
	v_pk_fma_f32 v[4:5], v[28:29], v[106:107], v[2:3] op_sel:[0,0,1] op_sel_hi:[1,1,0] neg_lo:[0,0,1] neg_hi:[0,0,1]
	v_pk_fma_f32 v[2:3], v[28:29], v[106:107], v[2:3] op_sel:[0,0,1] op_sel_hi:[1,1,0]
	v_mov_b32_e32 v105, v104
	v_mov_b32_e32 v5, v3
	v_pk_mul_f32 v[2:3], v[30:31], v[18:19]
	v_mov_b32_e32 v20, v109
	v_mov_b32_e32 v21, v109
	v_pk_add_f32 v[0:1], v[0:1], v[4:5]
	v_pk_fma_f32 v[4:5], v[30:31], v[104:105], v[2:3] op_sel:[0,0,1] op_sel_hi:[1,1,0] neg_lo:[0,0,1] neg_hi:[0,0,1]
	v_pk_fma_f32 v[2:3], v[30:31], v[104:105], v[2:3] op_sel:[0,0,1] op_sel_hi:[1,1,0]
	v_mov_b32_e32 v109, v108
	v_mov_b32_e32 v5, v3
	;; [unrolled: 8-line block ×5, first 2 shown]
	v_pk_mul_f32 v[2:3], v[38:39], v[42:43]
	v_mov_b32_e32 v44, v117
	v_mov_b32_e32 v45, v117
	v_pk_fma_f32 v[6:7], v[38:39], v[112:113], v[2:3] op_sel:[0,0,1] op_sel_hi:[1,1,0] neg_lo:[0,0,1] neg_hi:[0,0,1]
	v_pk_fma_f32 v[2:3], v[38:39], v[112:113], v[2:3] op_sel:[0,0,1] op_sel_hi:[1,1,0]
	v_mov_b32_e32 v117, v116
	v_mov_b32_e32 v7, v3
	v_pk_mul_f32 v[2:3], v[32:33], v[44:45]
	v_mov_b32_e32 v46, v119
	v_mov_b32_e32 v47, v119
	v_pk_fma_f32 v[8:9], v[32:33], v[116:117], v[2:3] op_sel:[0,0,1] op_sel_hi:[1,1,0] neg_lo:[0,0,1] neg_hi:[0,0,1]
	v_pk_fma_f32 v[2:3], v[32:33], v[116:117], v[2:3] op_sel:[0,0,1] op_sel_hi:[1,1,0]
	v_mov_b32_e32 v119, v118
	v_mov_b32_e32 v9, v3
	v_pk_mul_f32 v[2:3], v[34:35], v[46:47]
	v_pk_add_f32 v[0:1], v[0:1], v[4:5]
	v_pk_fma_f32 v[10:11], v[34:35], v[118:119], v[2:3] op_sel:[0,0,1] op_sel_hi:[1,1,0] neg_lo:[0,0,1] neg_hi:[0,0,1]
	v_pk_fma_f32 v[2:3], v[34:35], v[118:119], v[2:3] op_sel:[0,0,1] op_sel_hi:[1,1,0]
	v_pk_add_f32 v[0:1], v[0:1], v[6:7]
	v_mov_b32_e32 v11, v3
	v_pk_add_f32 v[0:1], v[0:1], v[8:9]
	s_add_i32 s4, s2, 1
	s_add_i32 s26, s26, 64
	;; [unrolled: 1-line block ×3, first 2 shown]
	v_pk_add_f32 v[50:51], v[0:1], v[10:11]
	v_lshl_add_u64 v[56:57], v[56:57], 0, s[8:9]
	v_lshl_add_u64 v[58:59], v[58:59], 0, s[8:9]
	v_lshl_add_u64 v[60:61], v[60:61], 0, s[8:9]
	v_lshl_add_u64 v[62:63], v[62:63], 0, s[8:9]
	v_lshl_add_u64 v[64:65], v[64:65], 0, s[8:9]
	v_lshl_add_u64 v[66:67], v[66:67], 0, s[8:9]
	v_lshl_add_u64 v[68:69], v[68:69], 0, s[8:9]
	v_lshl_add_u64 v[70:71], v[70:71], 0, s[8:9]
	v_lshl_add_u64 v[72:73], v[72:73], 0, s[8:9]
	v_lshl_add_u64 v[74:75], v[74:75], 0, s[8:9]
	v_lshl_add_u64 v[76:77], v[76:77], 0, s[8:9]
	v_lshl_add_u64 v[78:79], v[78:79], 0, s[8:9]
	v_lshl_add_u64 v[80:81], v[80:81], 0, s[8:9]
	v_lshl_add_u64 v[82:83], v[82:83], 0, s[8:9]
	v_lshl_add_u64 v[84:85], v[84:85], 0, s[8:9]
	v_lshl_add_u64 v[86:87], v[86:87], 0, s[8:9]
	s_cmp_ge_u32 s2, s3
	s_mov_b32 s2, s4
	s_barrier
	s_cbranch_scc1 .LBB182_147
.LBB182_92:                             ; =>This Inner Loop Header: Depth=1
	s_cmp_eq_u32 s21, s2
	s_cselect_b32 s24, s29, 0
	s_and_saveexec_b64 s[4:5], s[14:15]
	s_cbranch_execz .LBB182_97
; %bb.93:                               ;   in Loop: Header=BB182_92 Depth=1
	s_cmp_lg_u32 s24, 0
	s_cselect_b64 s[10:11], -1, 0
	v_cmp_le_i32_e32 vcc, s24, v120
	s_and_b64 s[10:11], s[10:11], vcc
	s_and_saveexec_b64 s[12:13], s[10:11]
	s_xor_b64 s[10:11], exec, s[12:13]
; %bb.94:                               ;   in Loop: Header=BB182_92 Depth=1
	ds_write_b64 v123, v[146:147]
; %bb.95:                               ;   in Loop: Header=BB182_92 Depth=1
	s_andn2_saveexec_b64 s[10:11], s[10:11]
	s_cbranch_execz .LBB182_97
; %bb.96:                               ;   in Loop: Header=BB182_92 Depth=1
	s_ashr_i32 s10, s26, 31
	s_mul_hi_u32 s11, s18, s26
	s_mul_i32 s10, s18, s10
	s_add_i32 s10, s11, s10
	s_mul_i32 s11, s19, s26
	s_add_i32 s11, s10, s11
	s_mul_i32 s10, s18, s26
	v_lshl_add_u64 v[0:1], s[10:11], 3, v[54:55]
	flat_load_dwordx2 v[0:1], v[0:1]
	s_waitcnt vmcnt(0) lgkmcnt(0)
	ds_write_b64 v123, v[0:1]
.LBB182_97:                             ;   in Loop: Header=BB182_92 Depth=1
	s_or_b64 exec, exec, s[4:5]
	s_cmp_eq_u32 s24, 0
	s_cselect_b64 s[10:11], -1, 0
	s_cmp_lg_u32 s24, 0
	s_cselect_b64 s[12:13], -1, 0
	v_lshl_add_u64 v[0:1], v[60:61], 0, v[52:53]
	s_and_b64 vcc, exec, s[12:13]
	s_waitcnt lgkmcnt(0)
	s_barrier
	s_cbranch_vccz .LBB182_105
; %bb.98:                               ;   in Loop: Header=BB182_92 Depth=1
	v_cmp_gt_i32_e32 vcc, s24, v122
	v_mov_b64_e32 v[88:89], 0
	v_mov_b64_e32 v[90:91], 0
	s_and_saveexec_b64 s[4:5], vcc
	s_cbranch_execz .LBB182_100
; %bb.99:                               ;   in Loop: Header=BB182_92 Depth=1
	flat_load_dwordx2 v[90:91], v[0:1]
.LBB182_100:                            ;   in Loop: Header=BB182_92 Depth=1
	s_or_b64 exec, exec, s[4:5]
	v_cmp_gt_i32_e32 vcc, s24, v130
	s_and_saveexec_b64 s[4:5], vcc
	s_cbranch_execz .LBB182_102
; %bb.101:                              ;   in Loop: Header=BB182_92 Depth=1
	v_lshl_add_u64 v[2:3], v[58:59], 0, v[52:53]
	flat_load_dwordx2 v[88:89], v[2:3]
.LBB182_102:                            ;   in Loop: Header=BB182_92 Depth=1
	s_or_b64 exec, exec, s[4:5]
	v_cmp_gt_i32_e32 vcc, s24, v131
	v_mov_b64_e32 v[92:93], 0
	s_and_saveexec_b64 s[4:5], vcc
	s_cbranch_execz .LBB182_104
; %bb.103:                              ;   in Loop: Header=BB182_92 Depth=1
	v_lshl_add_u64 v[2:3], v[56:57], 0, v[52:53]
	flat_load_dwordx2 v[92:93], v[2:3]
.LBB182_104:                            ;   in Loop: Header=BB182_92 Depth=1
	s_or_b64 exec, exec, s[4:5]
	v_cmp_gt_i32_e64 s[4:5], s24, v132
	s_branch .LBB182_107
.LBB182_105:                            ;   in Loop: Header=BB182_92 Depth=1
	s_mov_b64 s[4:5], 0
                                        ; implicit-def: $vgpr92_vgpr93
                                        ; implicit-def: $vgpr88_vgpr89
                                        ; implicit-def: $vgpr90_vgpr91
	s_cbranch_execz .LBB182_107
; %bb.106:                              ;   in Loop: Header=BB182_92 Depth=1
	s_waitcnt vmcnt(0) lgkmcnt(0)
	flat_load_dwordx2 v[90:91], v[0:1]
	v_lshl_add_u64 v[0:1], v[58:59], 0, v[52:53]
	flat_load_dwordx2 v[88:89], v[0:1]
	v_lshl_add_u64 v[0:1], v[56:57], 0, v[52:53]
	flat_load_dwordx2 v[92:93], v[0:1]
	s_or_b64 s[4:5], s[4:5], exec
.LBB182_107:                            ;   in Loop: Header=BB182_92 Depth=1
	v_mov_b64_e32 v[94:95], 0
	s_and_saveexec_b64 s[16:17], s[4:5]
	s_cbranch_execz .LBB182_109
; %bb.108:                              ;   in Loop: Header=BB182_92 Depth=1
	v_lshl_add_u64 v[0:1], v[62:63], 0, v[52:53]
	flat_load_dwordx2 v[94:95], v[0:1]
.LBB182_109:                            ;   in Loop: Header=BB182_92 Depth=1
	s_or_b64 exec, exec, s[16:17]
	ds_read_b64 v[8:9], v125
	ds_read_b128 v[4:7], v124
	ds_read_b128 v[0:3], v124 offset:16
	s_andn2_b64 vcc, exec, s[12:13]
	s_waitcnt vmcnt(0) lgkmcnt(0)
	v_pk_mul_f32 v[10:11], v[8:9], v[90:91] op_sel:[1,1] op_sel_hi:[0,1]
	v_pk_mul_f32 v[12:13], v[8:9], v[88:89] op_sel:[1,1] op_sel_hi:[0,1]
	v_pk_fma_f32 v[14:15], v[8:9], v[90:91], v[10:11] neg_lo:[0,0,1] neg_hi:[0,0,1]
	v_pk_fma_f32 v[10:11], v[8:9], v[90:91], v[10:11] op_sel_hi:[1,0,1]
	s_nop 0
	v_mov_b32_e32 v15, v11
	v_pk_fma_f32 v[10:11], v[8:9], v[88:89], v[12:13] neg_lo:[0,0,1] neg_hi:[0,0,1]
	v_pk_fma_f32 v[12:13], v[8:9], v[88:89], v[12:13] op_sel_hi:[1,0,1]
	s_nop 0
	v_mov_b32_e32 v11, v13
	ds_write2_b64 v126, v[14:15], v[10:11] offset1:67
	v_pk_mul_f32 v[10:11], v[8:9], v[92:93] op_sel:[1,1] op_sel_hi:[0,1]
	v_pk_fma_f32 v[12:13], v[8:9], v[92:93], v[10:11] neg_lo:[0,0,1] neg_hi:[0,0,1]
	v_pk_fma_f32 v[10:11], v[8:9], v[92:93], v[10:11] op_sel_hi:[1,0,1]
	s_nop 0
	v_mov_b32_e32 v13, v11
	v_pk_mul_f32 v[10:11], v[8:9], v[94:95] op_sel:[1,1] op_sel_hi:[0,1]
	v_pk_fma_f32 v[14:15], v[8:9], v[94:95], v[10:11] neg_lo:[0,0,1] neg_hi:[0,0,1]
	v_pk_fma_f32 v[8:9], v[8:9], v[94:95], v[10:11] op_sel_hi:[1,0,1]
	s_nop 0
	v_mov_b32_e32 v15, v9
	ds_write2_b64 v126, v[12:13], v[14:15] offset0:134 offset1:201
	s_waitcnt lgkmcnt(0)
	s_barrier
	ds_read2_b64 v[20:23], v127 offset1:1
	ds_read2_b64 v[16:19], v127 offset0:2 offset1:3
	v_cndmask_b32_e64 v8, 0, 1, s[12:13]
	v_cmp_ne_u32_e64 s[4:5], 1, v8
	v_lshl_add_u64 v[8:9], v[68:69], 0, v[52:53]
	s_waitcnt lgkmcnt(0)
	s_barrier
	s_cbranch_vccnz .LBB182_117
; %bb.110:                              ;   in Loop: Header=BB182_92 Depth=1
	v_cmp_gt_i32_e32 vcc, s24, v133
	v_mov_b64_e32 v[96:97], 0
	v_mov_b64_e32 v[98:99], 0
	s_and_saveexec_b64 s[12:13], vcc
	s_cbranch_execz .LBB182_112
; %bb.111:                              ;   in Loop: Header=BB182_92 Depth=1
	flat_load_dwordx2 v[98:99], v[8:9]
.LBB182_112:                            ;   in Loop: Header=BB182_92 Depth=1
	s_or_b64 exec, exec, s[12:13]
	v_cmp_gt_i32_e32 vcc, s24, v134
	s_and_saveexec_b64 s[12:13], vcc
	s_cbranch_execz .LBB182_114
; %bb.113:                              ;   in Loop: Header=BB182_92 Depth=1
	v_lshl_add_u64 v[10:11], v[66:67], 0, v[52:53]
	flat_load_dwordx2 v[96:97], v[10:11]
.LBB182_114:                            ;   in Loop: Header=BB182_92 Depth=1
	s_or_b64 exec, exec, s[12:13]
	v_cmp_gt_i32_e32 vcc, s24, v135
	v_mov_b64_e32 v[100:101], 0
	s_and_saveexec_b64 s[12:13], vcc
	s_cbranch_execz .LBB182_116
; %bb.115:                              ;   in Loop: Header=BB182_92 Depth=1
	v_lshl_add_u64 v[10:11], v[64:65], 0, v[52:53]
	flat_load_dwordx2 v[100:101], v[10:11]
.LBB182_116:                            ;   in Loop: Header=BB182_92 Depth=1
	s_or_b64 exec, exec, s[12:13]
	v_cmp_gt_i32_e64 s[12:13], s24, v136
	s_branch .LBB182_119
.LBB182_117:                            ;   in Loop: Header=BB182_92 Depth=1
	s_mov_b64 s[12:13], 0
                                        ; implicit-def: $vgpr100_vgpr101
                                        ; implicit-def: $vgpr96_vgpr97
                                        ; implicit-def: $vgpr98_vgpr99
	s_cbranch_execz .LBB182_119
; %bb.118:                              ;   in Loop: Header=BB182_92 Depth=1
	s_waitcnt vmcnt(0) lgkmcnt(0)
	flat_load_dwordx2 v[98:99], v[8:9]
	v_lshl_add_u64 v[8:9], v[66:67], 0, v[52:53]
	flat_load_dwordx2 v[96:97], v[8:9]
	v_lshl_add_u64 v[8:9], v[64:65], 0, v[52:53]
	flat_load_dwordx2 v[100:101], v[8:9]
	s_or_b64 s[12:13], s[12:13], exec
.LBB182_119:                            ;   in Loop: Header=BB182_92 Depth=1
	v_mov_b64_e32 v[102:103], 0
	s_and_saveexec_b64 s[16:17], s[12:13]
	s_cbranch_execz .LBB182_121
; %bb.120:                              ;   in Loop: Header=BB182_92 Depth=1
	v_lshl_add_u64 v[8:9], v[70:71], 0, v[52:53]
	flat_load_dwordx2 v[102:103], v[8:9]
.LBB182_121:                            ;   in Loop: Header=BB182_92 Depth=1
	s_or_b64 exec, exec, s[16:17]
	ds_read_b64 v[24:25], v125
	ds_read_b128 v[12:15], v124 offset:128
	ds_read_b128 v[8:11], v124 offset:144
	s_and_b64 vcc, exec, s[4:5]
	s_waitcnt vmcnt(0) lgkmcnt(0)
	v_pk_mul_f32 v[26:27], v[24:25], v[98:99] op_sel:[1,1] op_sel_hi:[0,1]
	v_pk_mul_f32 v[28:29], v[24:25], v[96:97] op_sel:[1,1] op_sel_hi:[0,1]
	v_pk_fma_f32 v[30:31], v[24:25], v[98:99], v[26:27] neg_lo:[0,0,1] neg_hi:[0,0,1]
	v_pk_fma_f32 v[26:27], v[24:25], v[98:99], v[26:27] op_sel_hi:[1,0,1]
	s_nop 0
	v_mov_b32_e32 v31, v27
	v_pk_fma_f32 v[26:27], v[24:25], v[96:97], v[28:29] neg_lo:[0,0,1] neg_hi:[0,0,1]
	v_pk_fma_f32 v[28:29], v[24:25], v[96:97], v[28:29] op_sel_hi:[1,0,1]
	s_nop 0
	v_mov_b32_e32 v27, v29
	ds_write2_b64 v126, v[30:31], v[26:27] offset1:67
	v_pk_mul_f32 v[26:27], v[24:25], v[100:101] op_sel:[1,1] op_sel_hi:[0,1]
	v_pk_fma_f32 v[28:29], v[24:25], v[100:101], v[26:27] neg_lo:[0,0,1] neg_hi:[0,0,1]
	v_pk_fma_f32 v[26:27], v[24:25], v[100:101], v[26:27] op_sel_hi:[1,0,1]
	s_nop 0
	v_mov_b32_e32 v29, v27
	v_pk_mul_f32 v[26:27], v[24:25], v[102:103] op_sel:[1,1] op_sel_hi:[0,1]
	v_pk_fma_f32 v[30:31], v[24:25], v[102:103], v[26:27] neg_lo:[0,0,1] neg_hi:[0,0,1]
	v_pk_fma_f32 v[24:25], v[24:25], v[102:103], v[26:27] op_sel_hi:[1,0,1]
	s_nop 0
	v_mov_b32_e32 v31, v25
	ds_write2_b64 v126, v[28:29], v[30:31] offset0:134 offset1:201
	s_waitcnt lgkmcnt(0)
	s_barrier
	ds_read2_b64 v[36:39], v127 offset1:1
	ds_read2_b64 v[32:35], v127 offset0:2 offset1:3
	v_lshl_add_u64 v[24:25], v[76:77], 0, v[52:53]
	s_waitcnt lgkmcnt(0)
	s_barrier
	s_cbranch_vccnz .LBB182_129
; %bb.122:                              ;   in Loop: Header=BB182_92 Depth=1
	v_cmp_gt_i32_e32 vcc, s24, v137
	v_mov_b64_e32 v[104:105], 0
	v_mov_b64_e32 v[106:107], 0
	s_and_saveexec_b64 s[12:13], vcc
	s_cbranch_execz .LBB182_124
; %bb.123:                              ;   in Loop: Header=BB182_92 Depth=1
	flat_load_dwordx2 v[106:107], v[24:25]
.LBB182_124:                            ;   in Loop: Header=BB182_92 Depth=1
	s_or_b64 exec, exec, s[12:13]
	v_cmp_gt_i32_e32 vcc, s24, v138
	s_and_saveexec_b64 s[12:13], vcc
	s_cbranch_execz .LBB182_126
; %bb.125:                              ;   in Loop: Header=BB182_92 Depth=1
	v_lshl_add_u64 v[26:27], v[74:75], 0, v[52:53]
	flat_load_dwordx2 v[104:105], v[26:27]
.LBB182_126:                            ;   in Loop: Header=BB182_92 Depth=1
	s_or_b64 exec, exec, s[12:13]
	v_cmp_gt_i32_e32 vcc, s24, v139
	v_mov_b64_e32 v[108:109], 0
	s_and_saveexec_b64 s[12:13], vcc
	s_cbranch_execz .LBB182_128
; %bb.127:                              ;   in Loop: Header=BB182_92 Depth=1
	v_lshl_add_u64 v[26:27], v[72:73], 0, v[52:53]
	flat_load_dwordx2 v[108:109], v[26:27]
.LBB182_128:                            ;   in Loop: Header=BB182_92 Depth=1
	s_or_b64 exec, exec, s[12:13]
	v_cmp_gt_i32_e64 s[12:13], s24, v140
	s_branch .LBB182_131
.LBB182_129:                            ;   in Loop: Header=BB182_92 Depth=1
	s_mov_b64 s[12:13], 0
                                        ; implicit-def: $vgpr108_vgpr109
                                        ; implicit-def: $vgpr104_vgpr105
                                        ; implicit-def: $vgpr106_vgpr107
	s_cbranch_execz .LBB182_131
; %bb.130:                              ;   in Loop: Header=BB182_92 Depth=1
	s_waitcnt vmcnt(0) lgkmcnt(0)
	flat_load_dwordx2 v[106:107], v[24:25]
	v_lshl_add_u64 v[24:25], v[74:75], 0, v[52:53]
	flat_load_dwordx2 v[104:105], v[24:25]
	v_lshl_add_u64 v[24:25], v[72:73], 0, v[52:53]
	flat_load_dwordx2 v[108:109], v[24:25]
	s_or_b64 s[12:13], s[12:13], exec
.LBB182_131:                            ;   in Loop: Header=BB182_92 Depth=1
	v_mov_b64_e32 v[110:111], 0
	s_and_saveexec_b64 s[16:17], s[12:13]
	s_cbranch_execz .LBB182_133
; %bb.132:                              ;   in Loop: Header=BB182_92 Depth=1
	v_lshl_add_u64 v[24:25], v[78:79], 0, v[52:53]
	flat_load_dwordx2 v[110:111], v[24:25]
.LBB182_133:                            ;   in Loop: Header=BB182_92 Depth=1
	s_or_b64 exec, exec, s[16:17]
	ds_read_b64 v[24:25], v125
	s_and_b64 vcc, exec, s[4:5]
	v_lshl_add_u64 v[118:119], v[84:85], 0, v[52:53]
	s_waitcnt vmcnt(0) lgkmcnt(0)
	v_pk_mul_f32 v[26:27], v[24:25], v[106:107] op_sel:[0,1]
	v_pk_mul_f32 v[28:29], v[24:25], v[104:105] op_sel:[0,1]
	v_pk_fma_f32 v[30:31], v[24:25], v[106:107], v[26:27] op_sel:[0,0,1] op_sel_hi:[1,1,0] neg_lo:[0,0,1] neg_hi:[0,0,1]
	v_pk_fma_f32 v[26:27], v[24:25], v[106:107], v[26:27] op_sel:[0,0,1] op_sel_hi:[1,0,0]
	v_pk_fma_f32 v[40:41], v[24:25], v[104:105], v[28:29] op_sel:[0,0,1] op_sel_hi:[1,1,0] neg_lo:[0,0,1] neg_hi:[0,0,1]
	v_pk_fma_f32 v[28:29], v[24:25], v[104:105], v[28:29] op_sel:[0,0,1] op_sel_hi:[1,0,0]
	v_mov_b32_e32 v31, v27
	v_pk_mul_f32 v[26:27], v[24:25], v[108:109] op_sel:[0,1]
	v_mov_b32_e32 v41, v29
	v_pk_fma_f32 v[28:29], v[24:25], v[108:109], v[26:27] op_sel:[0,0,1] op_sel_hi:[1,1,0] neg_lo:[0,0,1] neg_hi:[0,0,1]
	v_pk_fma_f32 v[26:27], v[24:25], v[108:109], v[26:27] op_sel:[0,0,1] op_sel_hi:[1,0,0]
	ds_write2_b64 v126, v[30:31], v[40:41] offset1:67
	v_mov_b32_e32 v29, v27
	v_pk_mul_f32 v[26:27], v[24:25], v[110:111] op_sel:[0,1]
	s_nop 0
	v_pk_fma_f32 v[30:31], v[24:25], v[110:111], v[26:27] op_sel:[0,0,1] op_sel_hi:[1,1,0] neg_lo:[0,0,1] neg_hi:[0,0,1]
	v_pk_fma_f32 v[24:25], v[24:25], v[110:111], v[26:27] op_sel:[0,0,1] op_sel_hi:[1,0,0]
	s_nop 0
	v_mov_b32_e32 v31, v25
	ds_write2_b64 v126, v[28:29], v[30:31] offset0:134 offset1:201
	ds_read_b128 v[28:31], v124 offset:256
	ds_read_b128 v[24:27], v124 offset:272
	s_waitcnt lgkmcnt(0)
	s_barrier
	ds_read2_b64 v[44:47], v127 offset1:1
	ds_read2_b64 v[40:43], v127 offset0:2 offset1:3
	s_waitcnt lgkmcnt(0)
	s_barrier
	s_cbranch_vccnz .LBB182_141
; %bb.134:                              ;   in Loop: Header=BB182_92 Depth=1
	v_cmp_gt_i32_e32 vcc, s24, v141
	v_mov_b64_e32 v[112:113], 0
	v_mov_b64_e32 v[114:115], 0
	s_and_saveexec_b64 s[4:5], vcc
	s_cbranch_execz .LBB182_136
; %bb.135:                              ;   in Loop: Header=BB182_92 Depth=1
	flat_load_dwordx2 v[114:115], v[118:119]
.LBB182_136:                            ;   in Loop: Header=BB182_92 Depth=1
	s_or_b64 exec, exec, s[4:5]
	v_cmp_gt_i32_e32 vcc, s24, v142
	s_and_saveexec_b64 s[4:5], vcc
	s_cbranch_execz .LBB182_138
; %bb.137:                              ;   in Loop: Header=BB182_92 Depth=1
	v_lshl_add_u64 v[112:113], v[82:83], 0, v[52:53]
	flat_load_dwordx2 v[112:113], v[112:113]
.LBB182_138:                            ;   in Loop: Header=BB182_92 Depth=1
	s_or_b64 exec, exec, s[4:5]
	v_cmp_gt_i32_e32 vcc, s24, v144
	v_mov_b64_e32 v[116:117], 0
	s_and_saveexec_b64 s[4:5], vcc
	s_cbranch_execz .LBB182_140
; %bb.139:                              ;   in Loop: Header=BB182_92 Depth=1
	v_lshl_add_u64 v[116:117], v[80:81], 0, v[52:53]
	flat_load_dwordx2 v[116:117], v[116:117]
.LBB182_140:                            ;   in Loop: Header=BB182_92 Depth=1
	s_or_b64 exec, exec, s[4:5]
	v_cmp_gt_i32_e64 s[4:5], s24, v145
	s_branch .LBB182_143
.LBB182_141:                            ;   in Loop: Header=BB182_92 Depth=1
	s_mov_b64 s[4:5], 0
                                        ; implicit-def: $vgpr116_vgpr117
                                        ; implicit-def: $vgpr112_vgpr113
                                        ; implicit-def: $vgpr114_vgpr115
	s_cbranch_execz .LBB182_143
; %bb.142:                              ;   in Loop: Header=BB182_92 Depth=1
	s_waitcnt vmcnt(0) lgkmcnt(0)
	v_lshl_add_u64 v[112:113], v[82:83], 0, v[52:53]
	v_lshl_add_u64 v[116:117], v[80:81], 0, v[52:53]
	flat_load_dwordx2 v[114:115], v[118:119]
	s_or_b64 s[4:5], s[4:5], exec
	flat_load_dwordx2 v[112:113], v[112:113]
	s_nop 0
	flat_load_dwordx2 v[116:117], v[116:117]
.LBB182_143:                            ;   in Loop: Header=BB182_92 Depth=1
	v_mov_b64_e32 v[118:119], 0
	s_and_saveexec_b64 s[12:13], s[4:5]
	s_cbranch_execz .LBB182_145
; %bb.144:                              ;   in Loop: Header=BB182_92 Depth=1
	v_lshl_add_u64 v[118:119], v[86:87], 0, v[52:53]
	flat_load_dwordx2 v[118:119], v[118:119]
.LBB182_145:                            ;   in Loop: Header=BB182_92 Depth=1
	s_or_b64 exec, exec, s[12:13]
	v_pk_add_f32 v[44:45], v[44:45], 0 op_sel_hi:[1,0]
	v_pk_add_f32 v[36:37], v[36:37], 0 op_sel_hi:[1,0]
	v_pk_add_f32 v[44:45], v[44:45], v[46:47]
	v_pk_add_f32 v[36:37], v[36:37], v[38:39]
	;; [unrolled: 1-line block ×5, first 2 shown]
	ds_read_b64 v[40:41], v125
	v_pk_add_f32 v[46:47], v[32:33], v[34:35]
	v_pk_add_f32 v[20:21], v[20:21], 0 op_sel_hi:[1,0]
	v_cmp_gt_i32_e32 vcc, s24, v120
	v_pk_add_f32 v[148:149], v[20:21], v[22:23]
	s_waitcnt vmcnt(0) lgkmcnt(0)
	v_pk_mul_f32 v[32:33], v[40:41], v[114:115] op_sel:[0,1]
	v_pk_add_f32 v[16:17], v[148:149], v[16:17]
	v_pk_fma_f32 v[34:35], v[40:41], v[114:115], v[32:33] op_sel:[0,0,1] op_sel_hi:[1,1,0] neg_lo:[0,0,1] neg_hi:[0,0,1]
	v_pk_fma_f32 v[32:33], v[40:41], v[114:115], v[32:33] op_sel:[0,0,1] op_sel_hi:[1,0,0]
	v_pk_add_f32 v[16:17], v[16:17], v[18:19]
	v_mov_b32_e32 v35, v33
	v_pk_mul_f32 v[32:33], v[40:41], v[112:113] op_sel:[0,1]
	s_or_b64 s[4:5], s[10:11], vcc
	v_pk_fma_f32 v[36:37], v[40:41], v[112:113], v[32:33] op_sel:[0,0,1] op_sel_hi:[1,1,0] neg_lo:[0,0,1] neg_hi:[0,0,1]
	v_pk_fma_f32 v[32:33], v[40:41], v[112:113], v[32:33] op_sel:[0,0,1] op_sel_hi:[1,0,0]
	s_and_b64 s[10:11], s[0:1], s[4:5]
	v_mov_b32_e32 v37, v33
	v_pk_mul_f32 v[32:33], v[40:41], v[116:117] op_sel:[0,1]
	ds_write2_b64 v126, v[34:35], v[36:37] offset1:67
	v_pk_fma_f32 v[34:35], v[40:41], v[116:117], v[32:33] op_sel:[0,0,1] op_sel_hi:[1,1,0] neg_lo:[0,0,1] neg_hi:[0,0,1]
	v_pk_fma_f32 v[32:33], v[40:41], v[116:117], v[32:33] op_sel:[0,0,1] op_sel_hi:[1,0,0]
	s_nop 0
	v_mov_b32_e32 v35, v33
	v_pk_mul_f32 v[32:33], v[40:41], v[118:119] op_sel:[0,1]
	s_nop 0
	v_pk_fma_f32 v[36:37], v[40:41], v[118:119], v[32:33] op_sel:[0,0,1] op_sel_hi:[1,1,0] neg_lo:[0,0,1] neg_hi:[0,0,1]
	v_pk_fma_f32 v[32:33], v[40:41], v[118:119], v[32:33] op_sel:[0,0,1] op_sel_hi:[1,0,0]
	s_nop 0
	v_mov_b32_e32 v37, v33
	ds_write2_b64 v126, v[34:35], v[36:37] offset0:134 offset1:201
	ds_read_b128 v[36:39], v124 offset:384
	ds_read_b128 v[32:35], v124 offset:400
	s_waitcnt lgkmcnt(0)
	s_barrier
	ds_read2_b64 v[40:43], v127 offset1:1
	ds_read2_b64 v[20:23], v127 offset0:2 offset1:3
	s_waitcnt lgkmcnt(0)
	s_barrier
	v_pk_add_f32 v[18:19], v[40:41], 0 op_sel_hi:[1,0]
	s_nop 0
	v_pk_add_f32 v[18:19], v[18:19], v[42:43]
	s_nop 0
	v_pk_add_f32 v[18:19], v[18:19], v[20:21]
	;; [unrolled: 2-line block ×3, first 2 shown]
	ds_write2_b64 v143, v[16:17], v[46:47] offset1:16
	ds_write2_b64 v143, v[44:45], v[18:19] offset0:32 offset1:48
	s_waitcnt lgkmcnt(0)
	s_barrier
	s_and_saveexec_b64 s[4:5], s[10:11]
	s_cbranch_execz .LBB182_91
; %bb.146:                              ;   in Loop: Header=BB182_92 Depth=1
	ds_read_b64 v[40:41], v128
	ds_read2_b64 v[16:19], v128 offset0:1 offset1:2
	ds_read2_b64 v[20:23], v128 offset0:3 offset1:4
	v_add_u32_e32 v42, s26, v120
	v_ashrrev_i32_e32 v43, 31, v42
	v_lshl_add_u64 v[44:45], v[42:43], 3, s[6:7]
	s_waitcnt lgkmcnt(1)
	v_add_f32_e32 v16, v16, v40
	v_add_f32_e32 v17, v17, v41
	;; [unrolled: 1-line block ×4, first 2 shown]
	ds_read2_b64 v[16:19], v128 offset0:5 offset1:6
	s_waitcnt lgkmcnt(1)
	v_add_f32_e32 v20, v40, v20
	v_add_f32_e32 v21, v41, v21
	;; [unrolled: 1-line block ×4, first 2 shown]
	ds_read2_b64 v[20:23], v128 offset0:7 offset1:8
	s_waitcnt lgkmcnt(1)
	v_pk_add_f32 v[16:17], v[40:41], v[16:17]
	ds_read2_b64 v[40:43], v128 offset0:9 offset1:10
	v_pk_add_f32 v[16:17], v[16:17], v[18:19]
	s_waitcnt lgkmcnt(1)
	v_pk_add_f32 v[16:17], v[16:17], v[20:21]
	s_nop 0
	v_pk_add_f32 v[20:21], v[16:17], v[22:23]
	ds_read2_b64 v[16:19], v128 offset0:11 offset1:12
	s_waitcnt lgkmcnt(1)
	v_pk_add_f32 v[40:41], v[20:21], v[40:41]
	ds_read2_b64 v[20:23], v128 offset0:13 offset1:14
	v_pk_add_f32 v[40:41], v[40:41], v[42:43]
	ds_read_b64 v[42:43], v129
	s_waitcnt lgkmcnt(2)
	v_pk_add_f32 v[16:17], v[40:41], v[16:17]
	s_nop 0
	v_pk_add_f32 v[16:17], v[16:17], v[18:19]
	s_waitcnt lgkmcnt(1)
	v_pk_add_f32 v[16:17], v[16:17], v[20:21]
	s_nop 0
	v_pk_add_f32 v[16:17], v[16:17], v[22:23]
	s_waitcnt lgkmcnt(0)
	v_pk_add_f32 v[16:17], v[16:17], v[42:43]
	global_store_dwordx2 v[44:45], v[16:17], off
	s_branch .LBB182_91
.LBB182_147:
	s_movk_i32 s0, 0x218
	v_cmp_gt_i32_e32 vcc, s20, v120
	v_mad_u32_u24 v0, v121, s0, v52
	s_or_b64 s[0:1], s[22:23], vcc
	s_and_b64 s[0:1], s[14:15], s[0:1]
	ds_write_b64 v0, v[50:51]
	s_waitcnt lgkmcnt(0)
	s_barrier
	s_and_saveexec_b64 s[2:3], s[0:1]
	s_cbranch_execz .LBB182_149
; %bb.148:
	ds_read2_b64 v[0:3], v52 offset1:67
	ds_read2_b64 v[4:7], v52 offset0:134 offset1:201
	v_lshl_add_u64 v[8:9], v[48:49], 3, s[6:7]
	s_waitcnt lgkmcnt(1)
	v_pk_add_f32 v[0:1], v[2:3], v[0:1]
	s_waitcnt lgkmcnt(0)
	v_pk_add_f32 v[0:1], v[4:5], v[0:1]
	s_nop 0
	v_pk_add_f32 v[0:1], v[0:1], v[6:7]
	global_store_dwordx2 v[8:9], v[0:1], off
.LBB182_149:
	s_endpgm
	.section	.rodata,"a",@progbits
	.p2align	6, 0x0
	.amdhsa_kernel _ZL26rocblas_hemvn_kernel_upperILb0ELi64ELi4ELi33ELi32ELi16El19rocblas_complex_numIfEPKPKS1_PS1_EviT6_lT7_lT5_lS8_lS9_lS7_lT8_i
		.amdhsa_group_segment_fixed_size 9600
		.amdhsa_private_segment_fixed_size 0
		.amdhsa_kernarg_size 376
		.amdhsa_user_sgpr_count 2
		.amdhsa_user_sgpr_dispatch_ptr 0
		.amdhsa_user_sgpr_queue_ptr 0
		.amdhsa_user_sgpr_kernarg_segment_ptr 1
		.amdhsa_user_sgpr_dispatch_id 0
		.amdhsa_user_sgpr_kernarg_preload_length 0
		.amdhsa_user_sgpr_kernarg_preload_offset 0
		.amdhsa_user_sgpr_private_segment_size 0
		.amdhsa_uses_dynamic_stack 0
		.amdhsa_enable_private_segment 0
		.amdhsa_system_sgpr_workgroup_id_x 1
		.amdhsa_system_sgpr_workgroup_id_y 0
		.amdhsa_system_sgpr_workgroup_id_z 1
		.amdhsa_system_sgpr_workgroup_info 0
		.amdhsa_system_vgpr_workitem_id 1
		.amdhsa_next_free_vgpr 150
		.amdhsa_next_free_sgpr 38
		.amdhsa_accum_offset 152
		.amdhsa_reserve_vcc 1
		.amdhsa_float_round_mode_32 0
		.amdhsa_float_round_mode_16_64 0
		.amdhsa_float_denorm_mode_32 3
		.amdhsa_float_denorm_mode_16_64 3
		.amdhsa_dx10_clamp 1
		.amdhsa_ieee_mode 1
		.amdhsa_fp16_overflow 0
		.amdhsa_tg_split 0
		.amdhsa_exception_fp_ieee_invalid_op 0
		.amdhsa_exception_fp_denorm_src 0
		.amdhsa_exception_fp_ieee_div_zero 0
		.amdhsa_exception_fp_ieee_overflow 0
		.amdhsa_exception_fp_ieee_underflow 0
		.amdhsa_exception_fp_ieee_inexact 0
		.amdhsa_exception_int_div_zero 0
	.end_amdhsa_kernel
	.section	.text._ZL26rocblas_hemvn_kernel_upperILb0ELi64ELi4ELi33ELi32ELi16El19rocblas_complex_numIfEPKPKS1_PS1_EviT6_lT7_lT5_lS8_lS9_lS7_lT8_i,"axG",@progbits,_ZL26rocblas_hemvn_kernel_upperILb0ELi64ELi4ELi33ELi32ELi16El19rocblas_complex_numIfEPKPKS1_PS1_EviT6_lT7_lT5_lS8_lS9_lS7_lT8_i,comdat
.Lfunc_end182:
	.size	_ZL26rocblas_hemvn_kernel_upperILb0ELi64ELi4ELi33ELi32ELi16El19rocblas_complex_numIfEPKPKS1_PS1_EviT6_lT7_lT5_lS8_lS9_lS7_lT8_i, .Lfunc_end182-_ZL26rocblas_hemvn_kernel_upperILb0ELi64ELi4ELi33ELi32ELi16El19rocblas_complex_numIfEPKPKS1_PS1_EviT6_lT7_lT5_lS8_lS9_lS7_lT8_i
                                        ; -- End function
	.set _ZL26rocblas_hemvn_kernel_upperILb0ELi64ELi4ELi33ELi32ELi16El19rocblas_complex_numIfEPKPKS1_PS1_EviT6_lT7_lT5_lS8_lS9_lS7_lT8_i.num_vgpr, 150
	.set _ZL26rocblas_hemvn_kernel_upperILb0ELi64ELi4ELi33ELi32ELi16El19rocblas_complex_numIfEPKPKS1_PS1_EviT6_lT7_lT5_lS8_lS9_lS7_lT8_i.num_agpr, 0
	.set _ZL26rocblas_hemvn_kernel_upperILb0ELi64ELi4ELi33ELi32ELi16El19rocblas_complex_numIfEPKPKS1_PS1_EviT6_lT7_lT5_lS8_lS9_lS7_lT8_i.numbered_sgpr, 38
	.set _ZL26rocblas_hemvn_kernel_upperILb0ELi64ELi4ELi33ELi32ELi16El19rocblas_complex_numIfEPKPKS1_PS1_EviT6_lT7_lT5_lS8_lS9_lS7_lT8_i.num_named_barrier, 0
	.set _ZL26rocblas_hemvn_kernel_upperILb0ELi64ELi4ELi33ELi32ELi16El19rocblas_complex_numIfEPKPKS1_PS1_EviT6_lT7_lT5_lS8_lS9_lS7_lT8_i.private_seg_size, 0
	.set _ZL26rocblas_hemvn_kernel_upperILb0ELi64ELi4ELi33ELi32ELi16El19rocblas_complex_numIfEPKPKS1_PS1_EviT6_lT7_lT5_lS8_lS9_lS7_lT8_i.uses_vcc, 1
	.set _ZL26rocblas_hemvn_kernel_upperILb0ELi64ELi4ELi33ELi32ELi16El19rocblas_complex_numIfEPKPKS1_PS1_EviT6_lT7_lT5_lS8_lS9_lS7_lT8_i.uses_flat_scratch, 0
	.set _ZL26rocblas_hemvn_kernel_upperILb0ELi64ELi4ELi33ELi32ELi16El19rocblas_complex_numIfEPKPKS1_PS1_EviT6_lT7_lT5_lS8_lS9_lS7_lT8_i.has_dyn_sized_stack, 0
	.set _ZL26rocblas_hemvn_kernel_upperILb0ELi64ELi4ELi33ELi32ELi16El19rocblas_complex_numIfEPKPKS1_PS1_EviT6_lT7_lT5_lS8_lS9_lS7_lT8_i.has_recursion, 0
	.set _ZL26rocblas_hemvn_kernel_upperILb0ELi64ELi4ELi33ELi32ELi16El19rocblas_complex_numIfEPKPKS1_PS1_EviT6_lT7_lT5_lS8_lS9_lS7_lT8_i.has_indirect_call, 0
	.section	.AMDGPU.csdata,"",@progbits
; Kernel info:
; codeLenInByte = 8684
; TotalNumSgprs: 44
; NumVgprs: 150
; NumAgprs: 0
; TotalNumVgprs: 150
; ScratchSize: 0
; MemoryBound: 1
; FloatMode: 240
; IeeeMode: 1
; LDSByteSize: 9600 bytes/workgroup (compile time only)
; SGPRBlocks: 5
; VGPRBlocks: 18
; NumSGPRsForWavesPerEU: 44
; NumVGPRsForWavesPerEU: 150
; AccumOffset: 152
; Occupancy: 3
; WaveLimiterHint : 1
; COMPUTE_PGM_RSRC2:SCRATCH_EN: 0
; COMPUTE_PGM_RSRC2:USER_SGPR: 2
; COMPUTE_PGM_RSRC2:TRAP_HANDLER: 0
; COMPUTE_PGM_RSRC2:TGID_X_EN: 1
; COMPUTE_PGM_RSRC2:TGID_Y_EN: 0
; COMPUTE_PGM_RSRC2:TGID_Z_EN: 1
; COMPUTE_PGM_RSRC2:TIDIG_COMP_CNT: 1
; COMPUTE_PGM_RSRC3_GFX90A:ACCUM_OFFSET: 37
; COMPUTE_PGM_RSRC3_GFX90A:TG_SPLIT: 0
	.section	.text._ZL26rocblas_hemvn_kernel_upperILb0ELi64ELi4ELi33ELi32ELi16Ei19rocblas_complex_numIfEPKPKS1_PS1_EviT6_lT7_lT5_lS8_lS9_lS7_lT8_i,"axG",@progbits,_ZL26rocblas_hemvn_kernel_upperILb0ELi64ELi4ELi33ELi32ELi16Ei19rocblas_complex_numIfEPKPKS1_PS1_EviT6_lT7_lT5_lS8_lS9_lS7_lT8_i,comdat
	.globl	_ZL26rocblas_hemvn_kernel_upperILb0ELi64ELi4ELi33ELi32ELi16Ei19rocblas_complex_numIfEPKPKS1_PS1_EviT6_lT7_lT5_lS8_lS9_lS7_lT8_i ; -- Begin function _ZL26rocblas_hemvn_kernel_upperILb0ELi64ELi4ELi33ELi32ELi16Ei19rocblas_complex_numIfEPKPKS1_PS1_EviT6_lT7_lT5_lS8_lS9_lS7_lT8_i
	.p2align	8
	.type	_ZL26rocblas_hemvn_kernel_upperILb0ELi64ELi4ELi33ELi32ELi16Ei19rocblas_complex_numIfEPKPKS1_PS1_EviT6_lT7_lT5_lS8_lS9_lS7_lT8_i,@function
_ZL26rocblas_hemvn_kernel_upperILb0ELi64ELi4ELi33ELi32ELi16Ei19rocblas_complex_numIfEPKPKS1_PS1_EviT6_lT7_lT5_lS8_lS9_lS7_lT8_i: ; @_ZL26rocblas_hemvn_kernel_upperILb0ELi64ELi4ELi33ELi32ELi16Ei19rocblas_complex_numIfEPKPKS1_PS1_EviT6_lT7_lT5_lS8_lS9_lS7_lT8_i
; %bb.0:
	s_load_dwordx2 s[4:5], s[0:1], 0x84
	s_add_u32 s8, s0, 0x78
	s_mov_b32 s24, s3
	s_addc_u32 s9, s1, 0
	s_waitcnt lgkmcnt(0)
	s_and_b32 s3, s5, 0xffff
	s_lshr_b32 s5, s4, 16
	s_and_b32 s4, s4, 0xffff
	s_mul_i32 s4, s5, s4
	s_mul_i32 s4, s4, s3
	s_cmpk_lg_i32 s4, 0x100
	s_cbranch_scc1 .LBB183_149
; %bb.1:
	s_load_dwordx2 s[4:5], s[0:1], 0x4
	s_waitcnt lgkmcnt(0)
	s_or_b32 s3, s4, s5
	s_bitset0_b32 s3, 31
	s_cmp_lg_u32 s3, 0
	s_mov_b64 s[4:5], -1
	s_cbranch_scc1 .LBB183_3
; %bb.2:
	s_load_dwordx2 s[4:5], s[0:1], 0x58
	s_waitcnt lgkmcnt(0)
	v_cmp_eq_f32_e64 s[6:7], s4, 1.0
	v_cmp_eq_f32_e64 s[4:5], s5, 0
	s_and_b64 s[4:5], s[6:7], s[4:5]
	s_andn2_b64 vcc, exec, s[4:5]
	s_mov_b64 s[4:5], 0
.LBB183_3:
	s_andn2_b64 vcc, exec, s[4:5]
	s_cbranch_vccnz .LBB183_149
; %bb.4:
	s_load_dwordx4 s[4:7], s[0:1], 0x18
	s_load_dwordx4 s[12:15], s[0:1], 0x38
	s_load_dword s33, s[0:1], 0x48
	s_mov_b32 s25, 0
	s_lshl_b64 s[10:11], s[24:25], 3
	s_waitcnt lgkmcnt(0)
	s_add_u32 s16, s4, s10
	s_addc_u32 s17, s5, s11
	s_add_u32 s10, s12, s10
	s_addc_u32 s11, s13, s11
	s_load_dwordx2 s[12:13], s[10:11], 0x0
	s_load_dword s36, s[0:1], 0x0
	s_load_dword s3, s[8:9], 0x0
	s_load_dwordx2 s[4:5], s[16:17], 0x0
	s_lshl_b64 s[8:9], s[14:15], 3
	s_waitcnt lgkmcnt(0)
	s_add_u32 s8, s12, s8
	s_addc_u32 s9, s13, s9
	s_ashr_i32 s37, s36, 31
	s_lshr_b32 s11, s37, 26
	v_and_b32_e32 v50, 0x3ff, v0
	s_lshl_b32 s26, s2, 6
	s_add_i32 s11, s36, s11
	s_andn2_b32 s11, s11, 63
	v_add_u32_e32 v48, s26, v50
	v_bfe_u32 v49, v0, 10, 10
	s_add_i32 s10, s3, -1
	s_sub_i32 s25, s36, s11
	v_mul_lo_u32 v0, s33, v48
	s_cmp_eq_u32 s2, s10
	v_ashrrev_i32_e32 v1, 31, v0
	s_cselect_b32 s18, s25, 0
	v_lshl_add_u64 v[14:15], v[0:1], 3, s[8:9]
	v_cmp_eq_u32_e64 s[14:15], 0, v49
	s_and_saveexec_b64 s[8:9], s[14:15]
	s_cbranch_execz .LBB183_9
; %bb.5:
	s_cmp_lg_u32 s18, 0
	s_cselect_b64 s[10:11], -1, 0
	v_cmp_le_i32_e32 vcc, s18, v50
	v_mov_b32_e32 v0, 0x2380
	s_and_b64 s[10:11], s[10:11], vcc
	v_lshl_add_u32 v0, v50, 3, v0
	s_and_saveexec_b64 s[12:13], s[10:11]
	s_xor_b64 s[10:11], exec, s[12:13]
; %bb.6:
	v_mov_b32_e32 v2, 0
	v_mov_b32_e32 v3, v2
	ds_write_b64 v0, v[2:3]
                                        ; implicit-def: $vgpr0
; %bb.7:
	s_andn2_saveexec_b64 s[10:11], s[10:11]
	s_cbranch_execz .LBB183_9
; %bb.8:
	flat_load_dwordx2 v[2:3], v[14:15]
	s_waitcnt vmcnt(0) lgkmcnt(0)
	ds_write_b64 v0, v[2:3]
.LBB183_9:
	s_or_b64 exec, exec, s[8:9]
	s_lshl_b64 s[6:7], s[6:7], 3
	s_load_dword s22, s[0:1], 0x28
	s_add_u32 s6, s4, s6
	s_addc_u32 s7, s5, s7
	s_ashr_i32 s27, s26, 31
	v_lshl_add_u32 v22, v49, 6, v50
	s_lshl_b64 s[4:5], s[26:27], 3
	v_and_b32_e32 v2, 31, v50
	v_lshrrev_b32_e32 v10, 5, v22
	s_add_u32 s4, s6, s4
	s_addc_u32 s5, s7, s5
	s_waitcnt lgkmcnt(0)
	v_mad_u64_u32 v[12:13], s[6:7], s22, v10, v[2:3]
	v_ashrrev_i32_e32 v13, 31, v12
	v_lshl_add_u64 v[0:1], v[12:13], 3, s[4:5]
	s_mul_i32 s4, s22, s26
	s_ashr_i32 s5, s4, 31
	s_cmp_eq_u32 s18, 0
	s_cselect_b64 s[20:21], -1, 0
	s_cmp_lg_u32 s18, 0
	s_cselect_b64 s[30:31], -1, 0
	v_lshl_add_u64 v[6:7], s[4:5], 3, v[0:1]
	s_and_b64 vcc, exec, s[30:31]
	v_cmp_gt_i32_e64 s[4:5], s18, v2
	v_lshlrev_b32_e32 v0, 3, v2
	s_cbranch_vccz .LBB183_25
; %bb.10:
	v_sub_co_u32_e32 v4, vcc, v6, v0
	s_ashr_i32 s19, s18, 31
	s_nop 0
	v_subbrev_co_u32_e32 v5, vcc, 0, v7, vcc
	v_lshl_add_u64 v[4:5], s[18:19], 3, v[4:5]
	v_mov_b32_e32 v8, 0
	v_lshl_add_u64 v[4:5], v[4:5], 0, -8
	v_cndmask_b32_e64 v5, v5, v7, s[4:5]
	v_cndmask_b32_e64 v4, v4, v6, s[4:5]
	v_cmp_gt_i32_e32 vcc, s18, v10
	v_mov_b32_e32 v9, v8
	s_and_saveexec_b64 s[6:7], vcc
	s_cbranch_execz .LBB183_12
; %bb.11:
	flat_load_dwordx2 v[8:9], v[4:5]
.LBB183_12:
	s_or_b64 exec, exec, s[6:7]
	s_movk_i32 s6, 0x108
	v_mad_u32_u24 v3, v10, s6, v0
	v_mul_u32_u24_e32 v1, 0x108, v10
	s_waitcnt vmcnt(0) lgkmcnt(0)
	ds_write_b64 v3, v[8:9]
	v_add_u32_e32 v3, 8, v10
	v_cmp_le_i32_e32 vcc, s18, v3
	v_add_u32_e32 v1, v1, v0
	s_and_saveexec_b64 s[6:7], vcc
	s_xor_b64 s[6:7], exec, s[6:7]
; %bb.13:
	v_mov_b32_e32 v8, 0
	v_mov_b32_e32 v9, v8
	ds_write_b64 v1, v[8:9] offset:2112
; %bb.14:
	s_andn2_saveexec_b64 s[6:7], s[6:7]
	s_cbranch_execz .LBB183_16
; %bb.15:
	s_lshl_b32 s8, s22, 3
	s_ashr_i32 s9, s8, 31
	v_lshl_add_u64 v[8:9], s[8:9], 3, v[4:5]
	flat_load_dwordx2 v[8:9], v[8:9]
	s_waitcnt vmcnt(0) lgkmcnt(0)
	ds_write_b64 v1, v[8:9] offset:2112
.LBB183_16:
	s_or_b64 exec, exec, s[6:7]
	v_add_u32_e32 v3, 16, v10
	v_cmp_le_i32_e32 vcc, s18, v3
	s_and_saveexec_b64 s[6:7], vcc
	s_xor_b64 s[6:7], exec, s[6:7]
; %bb.17:
	v_mov_b32_e32 v8, 0
	v_mov_b32_e32 v9, v8
	ds_write_b64 v1, v[8:9] offset:4224
; %bb.18:
	s_andn2_saveexec_b64 s[6:7], s[6:7]
	s_cbranch_execz .LBB183_20
; %bb.19:
	s_lshl_b32 s8, s22, 4
	s_ashr_i32 s9, s8, 31
	v_lshl_add_u64 v[8:9], s[8:9], 3, v[4:5]
	flat_load_dwordx2 v[8:9], v[8:9]
	s_waitcnt vmcnt(0) lgkmcnt(0)
	ds_write_b64 v1, v[8:9] offset:4224
.LBB183_20:
	s_or_b64 exec, exec, s[6:7]
	v_add_u32_e32 v3, 24, v10
	v_cmp_le_i32_e32 vcc, s18, v3
	s_and_saveexec_b64 s[6:7], vcc
	s_xor_b64 s[6:7], exec, s[6:7]
; %bb.21:
	v_mov_b32_e32 v8, 0
	v_mov_b32_e32 v9, v8
	ds_write_b64 v1, v[8:9] offset:6336
                                        ; implicit-def: $vgpr1
; %bb.22:
	s_andn2_saveexec_b64 s[6:7], s[6:7]
	s_cbranch_execz .LBB183_24
; %bb.23:
	s_mul_i32 s8, s22, 24
	s_ashr_i32 s9, s8, 31
	v_lshl_add_u64 v[8:9], s[8:9], 3, v[4:5]
	flat_load_dwordx2 v[8:9], v[8:9]
	s_waitcnt vmcnt(0) lgkmcnt(0)
	ds_write_b64 v1, v[8:9] offset:6336
.LBB183_24:
	s_or_b64 exec, exec, s[6:7]
	v_mov_b32_e32 v1, 0
	v_lshl_add_u64 v[4:5], v[4:5], 0, v[0:1]
	s_lshl_b64 s[6:7], s[18:19], 3
	v_mov_b32_e32 v1, s7
	v_subrev_co_u32_e32 v4, vcc, s6, v4
	s_nop 1
	v_subb_co_u32_e32 v5, vcc, v5, v1, vcc
	v_lshl_add_u64 v[4:5], v[4:5], 0, 8
	v_cndmask_b32_e64 v5, v5, v7, s[4:5]
	v_cndmask_b32_e64 v4, v4, v6, s[4:5]
	s_branch .LBB183_27
.LBB183_25:
                                        ; implicit-def: $vgpr4_vgpr5
	s_cbranch_execz .LBB183_27
; %bb.26:
	s_lshl_b32 s4, s22, 3
	s_ashr_i32 s5, s4, 31
	s_ashr_i32 s23, s22, 31
	v_lshl_add_u64 v[4:5], s[4:5], 3, v[6:7]
	s_lshl_b64 s[4:5], s[22:23], 6
	v_lshl_add_u64 v[8:9], v[4:5], 0, s[4:5]
	v_lshl_add_u64 v[16:17], v[8:9], 0, s[4:5]
	flat_load_dwordx2 v[18:19], v[6:7]
	flat_load_dwordx2 v[20:21], v[4:5]
	;; [unrolled: 1-line block ×4, first 2 shown]
	v_mul_u32_u24_e32 v1, 0x108, v10
	v_lshl_add_u32 v1, v2, 3, v1
	v_mov_b64_e32 v[4:5], v[6:7]
	s_waitcnt vmcnt(0) lgkmcnt(0)
	ds_write_b64 v1, v[18:19]
	ds_write_b64 v1, v[20:21] offset:2112
	ds_write_b64 v1, v[24:25] offset:4224
	;; [unrolled: 1-line block ×3, first 2 shown]
.LBB183_27:
	v_lshlrev_b32_e32 v3, 2, v10
	v_lshl_or_b32 v1, v2, 8, v0
	v_cmp_gt_u32_e64 s[6:7], v3, v2
	v_lshl_add_u32 v1, v3, 3, v1
	s_waitcnt lgkmcnt(0)
	s_barrier
	s_and_saveexec_b64 s[4:5], s[6:7]
	s_cbranch_execz .LBB183_29
; %bb.28:
	s_movk_i32 s8, 0x420
	v_mad_u32_u24 v6, v10, s8, v0
	ds_read_b64 v[6:7], v6
	s_waitcnt lgkmcnt(0)
	ds_write_b64 v1, v[6:7]
.LBB183_29:
	s_or_b64 exec, exec, s[4:5]
	v_or_b32_e32 v11, 1, v3
	v_cmp_ge_u32_e64 s[8:9], v3, v2
	s_and_saveexec_b64 s[4:5], s[8:9]
	s_cbranch_execz .LBB183_31
; %bb.30:
	s_movk_i32 s10, 0x108
	v_mad_u32_u24 v6, v11, s10, v0
	ds_read_b64 v[6:7], v6
	s_waitcnt lgkmcnt(0)
	ds_write_b64 v1, v[6:7] offset:8
.LBB183_31:
	s_or_b64 exec, exec, s[4:5]
	v_or_b32_e32 v6, 2, v3
	v_cmp_gt_u32_e64 s[10:11], v6, v2
	s_and_saveexec_b64 s[4:5], s[10:11]
	s_cbranch_execz .LBB183_33
; %bb.32:
	s_movk_i32 s12, 0x108
	v_mad_u32_u24 v6, v6, s12, v0
	ds_read_b64 v[6:7], v6
	s_waitcnt lgkmcnt(0)
	ds_write_b64 v1, v[6:7] offset:16
.LBB183_33:
	s_or_b64 exec, exec, s[4:5]
	v_or_b32_e32 v7, 3, v3
	v_cmp_gt_u32_e64 s[12:13], v7, v2
	v_cmp_le_u32_e32 vcc, v7, v2
                                        ; implicit-def: $vgpr6
	s_and_saveexec_b64 s[4:5], vcc
	s_xor_b64 s[4:5], exec, s[4:5]
; %bb.34:
	v_mul_u32_u24_e32 v6, 0x108, v7
                                        ; implicit-def: $vgpr7
                                        ; implicit-def: $vgpr1
; %bb.35:
	s_andn2_saveexec_b64 s[4:5], s[4:5]
	s_cbranch_execz .LBB183_37
; %bb.36:
	s_movk_i32 s16, 0x108
	v_mad_u32_u24 v6, v7, s16, v0
	ds_read_b64 v[8:9], v6
	v_mul_u32_u24_e32 v6, 0x108, v7
	s_waitcnt lgkmcnt(0)
	ds_write_b64 v1, v[8:9] offset:24
.LBB183_37:
	s_or_b64 exec, exec, s[4:5]
	s_movk_i32 s4, 0x420
	v_mad_u32_u24 v1, v10, s4, v0
	s_movk_i32 s4, 0x108
	v_mad_u32_u24 v7, v11, s4, v0
	s_waitcnt lgkmcnt(0)
	s_barrier
	v_lshlrev_b32_e32 v16, 3, v3
	ds_read2_b64 v[26:29], v7 offset1:33
	v_add_u32_e32 v18, v0, v6
	ds_read_b64 v[20:21], v1
	ds_read_b128 v[6:9], v16 offset:9088
	ds_read_b64 v[34:35], v18
	ds_read_b128 v[30:33], v16 offset:9104
	v_mul_u32_u24_e32 v17, 33, v2
	v_lshlrev_b32_e32 v23, 3, v17
	v_mov_b32_e32 v52, 0
	s_waitcnt lgkmcnt(2)
	v_pk_mul_f32 v[36:37], v[6:7], v[20:21] op_sel:[1,1] op_sel_hi:[0,1]
	v_pk_fma_f32 v[38:39], v[6:7], v[20:21], v[36:37] neg_lo:[0,0,1] neg_hi:[0,0,1]
	v_pk_fma_f32 v[6:7], v[6:7], v[20:21], v[36:37] op_sel_hi:[1,0,1]
	v_pk_mul_f32 v[20:21], v[8:9], v[26:27] op_sel:[1,1] op_sel_hi:[0,1]
	v_pk_fma_f32 v[36:37], v[8:9], v[26:27], v[20:21] neg_lo:[0,0,1] neg_hi:[0,0,1]
	v_pk_fma_f32 v[8:9], v[8:9], v[26:27], v[20:21] op_sel_hi:[1,0,1]
	v_mov_b32_e32 v39, v7
	v_mov_b32_e32 v37, v9
	s_waitcnt lgkmcnt(0)
	v_pk_mul_f32 v[8:9], v[30:31], v[28:29] op_sel:[1,1] op_sel_hi:[0,1]
	v_pk_add_f32 v[6:7], v[38:39], 0 op_sel_hi:[1,0]
	v_pk_fma_f32 v[20:21], v[30:31], v[28:29], v[8:9] neg_lo:[0,0,1] neg_hi:[0,0,1]
	v_pk_fma_f32 v[8:9], v[30:31], v[28:29], v[8:9] op_sel_hi:[1,0,1]
	v_pk_add_f32 v[6:7], v[6:7], v[36:37]
	v_mov_b32_e32 v21, v9
	v_pk_mul_f32 v[8:9], v[32:33], v[34:35] op_sel:[1,1] op_sel_hi:[0,1]
	v_pk_add_f32 v[6:7], v[6:7], v[20:21]
	v_pk_fma_f32 v[20:21], v[32:33], v[34:35], v[8:9] neg_lo:[0,0,1] neg_hi:[0,0,1]
	v_pk_fma_f32 v[8:9], v[32:33], v[34:35], v[8:9] op_sel_hi:[1,0,1]
	v_lshl_add_u32 v24, v10, 3, v23
	v_mov_b32_e32 v21, v9
	v_mov_b32_e32 v53, v52
	v_pk_add_f32 v[6:7], v[6:7], v[20:21]
	v_cmp_gt_u32_e64 s[4:5], 32, v22
	s_barrier
	ds_write_b64 v24, v[6:7]
	s_waitcnt lgkmcnt(0)
	s_barrier
	s_and_saveexec_b64 s[16:17], s[4:5]
	s_cbranch_execz .LBB183_39
; %bb.38:
	ds_read2_b64 v[6:9], v23 offset1:7
	ds_read2_b64 v[26:29], v23 offset0:1 offset1:2
	ds_read2_b64 v[30:33], v23 offset0:3 offset1:4
	s_waitcnt lgkmcnt(1)
	v_add_f32_e32 v1, v26, v6
	v_add_f32_e32 v6, v27, v7
	;; [unrolled: 1-line block ×4, first 2 shown]
	ds_read2_b64 v[26:29], v23 offset0:5 offset1:6
	s_waitcnt lgkmcnt(1)
	v_add_f32_e32 v1, v1, v30
	v_add_f32_e32 v6, v6, v31
	;; [unrolled: 1-line block ×4, first 2 shown]
	s_waitcnt lgkmcnt(0)
	v_add_f32_e32 v1, v1, v26
	v_add_f32_e32 v7, v6, v27
	;; [unrolled: 1-line block ×4, first 2 shown]
	v_pk_add_f32 v[52:53], v[6:7], v[8:9]
.LBB183_39:
	s_or_b64 exec, exec, s[16:17]
	s_lshl_b32 s28, s22, 5
	s_ashr_i32 s29, s28, 31
	v_lshl_add_u64 v[6:7], s[28:29], 3, v[4:5]
	s_mov_b64 s[16:17], 0x100
	v_lshl_add_u64 v[4:5], v[6:7], 0, s[16:17]
	s_and_b64 vcc, exec, s[30:31]
	s_barrier
	s_cbranch_vccz .LBB183_55
; %bb.40:
	v_sub_co_u32_e32 v8, vcc, v6, v0
	s_ashr_i32 s19, s18, 31
	s_nop 0
	v_subbrev_co_u32_e32 v9, vcc, 0, v7, vcc
	v_or_b32_e32 v1, 32, v2
	v_lshl_add_u64 v[8:9], s[18:19], 3, v[8:9]
	v_mov_b32_e32 v20, 0
	v_lshl_add_u64 v[8:9], v[8:9], 0, -8
	v_cmp_gt_i32_e32 vcc, s18, v1
	s_sub_i32 s23, s18, 32
	v_cmp_gt_i32_e64 s[16:17], s23, v10
	v_cndmask_b32_e32 v9, v9, v5, vcc
	v_cndmask_b32_e32 v8, v8, v4, vcc
	v_mov_b32_e32 v21, v20
	s_and_saveexec_b64 s[34:35], s[16:17]
	s_cbranch_execz .LBB183_42
; %bb.41:
	flat_load_dwordx2 v[20:21], v[8:9]
.LBB183_42:
	s_or_b64 exec, exec, s[34:35]
	s_movk_i32 s16, 0x108
	v_mad_u32_u24 v17, v10, s16, v0
	v_mul_u32_u24_e32 v1, 0x108, v10
	s_waitcnt vmcnt(0) lgkmcnt(0)
	ds_write_b64 v17, v[20:21]
	v_add_u32_e32 v17, 8, v10
	v_cmp_le_i32_e64 s[16:17], s23, v17
	v_add_u32_e32 v1, v1, v0
	s_and_saveexec_b64 s[34:35], s[16:17]
	s_xor_b64 s[16:17], exec, s[34:35]
; %bb.43:
	v_mov_b32_e32 v20, 0
	v_mov_b32_e32 v21, v20
	ds_write_b64 v1, v[20:21] offset:2112
; %bb.44:
	s_andn2_saveexec_b64 s[16:17], s[16:17]
	s_cbranch_execz .LBB183_46
; %bb.45:
	s_lshl_b32 s34, s22, 3
	s_ashr_i32 s35, s34, 31
	v_lshl_add_u64 v[20:21], s[34:35], 3, v[8:9]
	flat_load_dwordx2 v[20:21], v[20:21]
	s_waitcnt vmcnt(0) lgkmcnt(0)
	ds_write_b64 v1, v[20:21] offset:2112
.LBB183_46:
	s_or_b64 exec, exec, s[16:17]
	v_add_u32_e32 v17, 16, v10
	v_cmp_le_i32_e64 s[16:17], s23, v17
	s_and_saveexec_b64 s[34:35], s[16:17]
	s_xor_b64 s[16:17], exec, s[34:35]
; %bb.47:
	v_mov_b32_e32 v20, 0
	v_mov_b32_e32 v21, v20
	ds_write_b64 v1, v[20:21] offset:4224
; %bb.48:
	s_andn2_saveexec_b64 s[16:17], s[16:17]
	s_cbranch_execz .LBB183_50
; %bb.49:
	s_lshl_b32 s34, s22, 4
	s_ashr_i32 s35, s34, 31
	v_lshl_add_u64 v[20:21], s[34:35], 3, v[8:9]
	flat_load_dwordx2 v[20:21], v[20:21]
	s_waitcnt vmcnt(0) lgkmcnt(0)
	ds_write_b64 v1, v[20:21] offset:4224
.LBB183_50:
	s_or_b64 exec, exec, s[16:17]
	v_add_u32_e32 v17, 24, v10
	v_cmp_le_i32_e64 s[16:17], s23, v17
	s_and_saveexec_b64 s[34:35], s[16:17]
	s_xor_b64 s[16:17], exec, s[34:35]
; %bb.51:
	v_mov_b32_e32 v20, 0
	v_mov_b32_e32 v21, v20
	ds_write_b64 v1, v[20:21] offset:6336
                                        ; implicit-def: $vgpr1
; %bb.52:
	s_andn2_saveexec_b64 s[16:17], s[16:17]
	s_cbranch_execz .LBB183_54
; %bb.53:
	s_mul_i32 s34, s22, 24
	s_ashr_i32 s35, s34, 31
	v_lshl_add_u64 v[20:21], s[34:35], 3, v[8:9]
	flat_load_dwordx2 v[20:21], v[20:21]
	s_waitcnt vmcnt(0) lgkmcnt(0)
	ds_write_b64 v1, v[20:21] offset:6336
.LBB183_54:
	s_or_b64 exec, exec, s[16:17]
	v_mov_b32_e32 v1, 0
	v_lshl_add_u64 v[8:9], v[8:9], 0, v[0:1]
	s_lshl_b64 s[16:17], s[18:19], 3
	v_mov_b32_e32 v1, s17
	v_subrev_co_u32_e64 v8, s[16:17], s16, v8
	s_nop 1
	v_subb_co_u32_e64 v9, s[16:17], v9, v1, s[16:17]
	s_mov_b64 s[16:17], 0x108
	s_nop 0
	v_lshl_add_u64 v[8:9], v[8:9], 0, s[16:17]
	v_cndmask_b32_e32 v9, v9, v5, vcc
	v_cndmask_b32_e32 v8, v8, v4, vcc
	v_mul_u32_u24_e32 v1, 0x420, v10
	s_branch .LBB183_57
.LBB183_55:
                                        ; implicit-def: $vgpr8_vgpr9
	v_mul_u32_u24_e32 v1, 0x420, v10
	s_cbranch_execz .LBB183_57
; %bb.56:
	s_lshl_b32 s16, s22, 3
	s_ashr_i32 s17, s16, 31
	s_ashr_i32 s23, s22, 31
	v_lshl_add_u64 v[8:9], s[16:17], 3, v[6:7]
	s_lshl_b64 s[16:17], s[22:23], 6
	v_lshl_add_u64 v[20:21], v[8:9], 0, s[16:17]
	v_lshl_add_u64 v[26:27], v[20:21], 0, s[16:17]
	flat_load_dwordx2 v[28:29], v[6:7] offset:256
	flat_load_dwordx2 v[30:31], v[8:9] offset:256
	;; [unrolled: 1-line block ×4, first 2 shown]
	s_movk_i32 s16, 0x108
	v_mad_u32_u24 v6, v10, s16, v0
	v_mov_b64_e32 v[8:9], v[4:5]
	s_waitcnt vmcnt(0) lgkmcnt(0)
	ds_write_b64 v6, v[28:29]
	ds_write_b64 v6, v[30:31] offset:2112
	ds_write_b64 v6, v[32:33] offset:4224
	;; [unrolled: 1-line block ×3, first 2 shown]
.LBB183_57:
	v_mul_u32_u24_e32 v4, 0x108, v11
	v_add_u32_e32 v6, v0, v1
	v_lshl_add_u32 v1, v3, 3, v23
	s_waitcnt lgkmcnt(0)
	s_barrier
	s_and_saveexec_b64 s[16:17], s[6:7]
	s_cbranch_execnz .LBB183_80
; %bb.58:
	s_or_b64 exec, exec, s[16:17]
	v_add_u32_e32 v7, v0, v4
	s_and_saveexec_b64 s[6:7], s[8:9]
	s_cbranch_execnz .LBB183_81
.LBB183_59:
	s_or_b64 exec, exec, s[6:7]
	s_and_saveexec_b64 s[6:7], s[10:11]
	s_cbranch_execnz .LBB183_82
.LBB183_60:
	s_or_b64 exec, exec, s[6:7]
	v_add_u32_e32 v19, 0x2380, v16
	s_and_saveexec_b64 s[6:7], s[12:13]
	s_cbranch_execz .LBB183_62
.LBB183_61:
	ds_read_b64 v[4:5], v18
	s_waitcnt lgkmcnt(0)
	ds_write_b64 v1, v[4:5] offset:24
.LBB183_62:
	s_or_b64 exec, exec, s[6:7]
	s_waitcnt lgkmcnt(0)
	s_barrier
	ds_read_b64 v[4:5], v6
	ds_read_b128 v[26:29], v19 offset:256
	ds_read2_b64 v[30:33], v7 offset1:33
	ds_read_b64 v[16:17], v18
	ds_read_b128 v[34:37], v19 offset:272
	v_cmp_eq_u32_e64 s[6:7], 1, v10
	s_waitcnt lgkmcnt(3)
	v_pk_mul_f32 v[20:21], v[26:27], v[4:5] op_sel:[1,1] op_sel_hi:[0,1]
	v_pk_fma_f32 v[38:39], v[26:27], v[4:5], v[20:21] neg_lo:[0,0,1] neg_hi:[0,0,1]
	v_pk_fma_f32 v[4:5], v[26:27], v[4:5], v[20:21] op_sel_hi:[1,0,1]
	s_waitcnt lgkmcnt(2)
	v_pk_mul_f32 v[20:21], v[28:29], v[30:31] op_sel:[1,1] op_sel_hi:[0,1]
	v_mov_b32_e32 v39, v5
	v_pk_fma_f32 v[26:27], v[28:29], v[30:31], v[20:21] neg_lo:[0,0,1] neg_hi:[0,0,1]
	v_pk_fma_f32 v[20:21], v[28:29], v[30:31], v[20:21] op_sel_hi:[1,0,1]
	v_pk_add_f32 v[4:5], v[38:39], 0 op_sel_hi:[1,0]
	v_mov_b32_e32 v27, v21
	s_waitcnt lgkmcnt(0)
	v_pk_mul_f32 v[20:21], v[34:35], v[32:33] op_sel:[1,1] op_sel_hi:[0,1]
	v_pk_add_f32 v[4:5], v[4:5], v[26:27]
	v_pk_fma_f32 v[26:27], v[34:35], v[32:33], v[20:21] neg_lo:[0,0,1] neg_hi:[0,0,1]
	v_pk_fma_f32 v[20:21], v[34:35], v[32:33], v[20:21] op_sel_hi:[1,0,1]
	s_nop 0
	v_mov_b32_e32 v27, v21
	v_pk_mul_f32 v[20:21], v[36:37], v[16:17] op_sel:[1,1] op_sel_hi:[0,1]
	v_pk_add_f32 v[4:5], v[4:5], v[26:27]
	v_pk_fma_f32 v[26:27], v[36:37], v[16:17], v[20:21] neg_lo:[0,0,1] neg_hi:[0,0,1]
	v_pk_fma_f32 v[16:17], v[36:37], v[16:17], v[20:21] op_sel_hi:[1,0,1]
	s_barrier
	v_mov_b32_e32 v27, v17
	v_pk_add_f32 v[4:5], v[4:5], v[26:27]
	ds_write_b64 v24, v[4:5]
	s_waitcnt lgkmcnt(0)
	s_barrier
	s_and_saveexec_b64 s[8:9], s[6:7]
	s_cbranch_execz .LBB183_64
; %bb.63:
	ds_read2_b64 v[26:29], v23 offset1:7
	ds_read2_b64 v[30:33], v23 offset0:1 offset1:2
	ds_read2_b64 v[34:37], v23 offset0:3 offset1:4
	s_waitcnt lgkmcnt(1)
	v_add_f32_e32 v1, v30, v26
	v_add_f32_e32 v3, v31, v27
	;; [unrolled: 1-line block ×4, first 2 shown]
	ds_read2_b64 v[30:33], v23 offset0:5 offset1:6
	s_waitcnt lgkmcnt(1)
	v_add_f32_e32 v1, v1, v34
	v_add_f32_e32 v3, v3, v35
	;; [unrolled: 1-line block ×4, first 2 shown]
	s_waitcnt lgkmcnt(0)
	v_add_f32_e32 v4, v1, v30
	v_add_f32_e32 v5, v3, v31
	v_pk_add_f32 v[4:5], v[4:5], v[32:33]
	s_nop 0
	v_pk_add_f32 v[52:53], v[4:5], v[28:29]
.LBB183_64:
	s_or_b64 exec, exec, s[8:9]
	s_movk_i32 s8, 0xff00
	s_mov_b32 s9, -1
	v_lshl_add_u64 v[4:5], v[8:9], 0, s[8:9]
	s_and_b64 vcc, exec, s[30:31]
	s_barrier
	s_cbranch_vccz .LBB183_83
; %bb.65:
	v_sub_co_u32_e32 v16, vcc, v4, v0
	s_ashr_i32 s19, s18, 31
	s_nop 0
	v_subbrev_co_u32_e32 v17, vcc, 0, v5, vcc
	v_lshl_add_u64 v[16:17], s[18:19], 3, v[16:17]
	v_mov_b32_e32 v8, 0
	v_lshl_add_u64 v[16:17], v[16:17], 0, -8
	v_cmp_gt_i32_e32 vcc, s18, v2
	s_sub_i32 s12, s18, 32
	v_cmp_gt_i32_e64 s[8:9], s12, v10
	v_cndmask_b32_e32 v3, v17, v5, vcc
	v_cndmask_b32_e32 v2, v16, v4, vcc
	v_mov_b32_e32 v9, v8
	s_and_saveexec_b64 s[10:11], s[8:9]
	s_cbranch_execz .LBB183_67
; %bb.66:
	flat_load_dwordx2 v[8:9], v[2:3]
.LBB183_67:
	s_or_b64 exec, exec, s[10:11]
	s_movk_i32 s8, 0x108
	v_mad_u32_u24 v11, v10, s8, v0
	v_mul_u32_u24_e32 v1, 0x108, v10
	s_waitcnt vmcnt(0) lgkmcnt(0)
	ds_write_b64 v11, v[8:9]
	v_add_u32_e32 v8, 8, v10
	v_cmp_le_i32_e64 s[8:9], s12, v8
	v_add_u32_e32 v1, v1, v0
	s_and_saveexec_b64 s[10:11], s[8:9]
	s_xor_b64 s[8:9], exec, s[10:11]
; %bb.68:
	v_mov_b32_e32 v16, 0
	v_mov_b32_e32 v17, v16
	ds_write_b64 v1, v[16:17] offset:2112
; %bb.69:
	s_andn2_saveexec_b64 s[8:9], s[8:9]
	s_cbranch_execz .LBB183_71
; %bb.70:
	s_lshl_b32 s10, s22, 3
	s_ashr_i32 s11, s10, 31
	v_lshl_add_u64 v[16:17], s[10:11], 3, v[2:3]
	flat_load_dwordx2 v[16:17], v[16:17]
	s_waitcnt vmcnt(0) lgkmcnt(0)
	ds_write_b64 v1, v[16:17] offset:2112
.LBB183_71:
	s_or_b64 exec, exec, s[8:9]
	v_add_u32_e32 v9, 16, v10
	v_cmp_le_i32_e64 s[8:9], s12, v9
	s_and_saveexec_b64 s[10:11], s[8:9]
	s_xor_b64 s[8:9], exec, s[10:11]
; %bb.72:
	v_mov_b32_e32 v16, 0
	v_mov_b32_e32 v17, v16
	ds_write_b64 v1, v[16:17] offset:4224
; %bb.73:
	s_andn2_saveexec_b64 s[8:9], s[8:9]
	s_cbranch_execz .LBB183_75
; %bb.74:
	s_lshl_b32 s10, s22, 4
	s_ashr_i32 s11, s10, 31
	v_lshl_add_u64 v[16:17], s[10:11], 3, v[2:3]
	flat_load_dwordx2 v[16:17], v[16:17]
	s_waitcnt vmcnt(0) lgkmcnt(0)
	ds_write_b64 v1, v[16:17] offset:4224
.LBB183_75:
	s_or_b64 exec, exec, s[8:9]
	v_add_u32_e32 v11, 24, v10
	v_cmp_le_i32_e64 s[8:9], s12, v11
	s_and_saveexec_b64 s[10:11], s[8:9]
	s_xor_b64 s[8:9], exec, s[10:11]
; %bb.76:
	v_mov_b32_e32 v16, 0
	v_mov_b32_e32 v17, v16
	ds_write_b64 v1, v[16:17] offset:6336
                                        ; implicit-def: $vgpr1
; %bb.77:
	s_andn2_saveexec_b64 s[8:9], s[8:9]
	s_cbranch_execz .LBB183_79
; %bb.78:
	s_mul_i32 s10, s22, 24
	s_ashr_i32 s11, s10, 31
	v_lshl_add_u64 v[16:17], s[10:11], 3, v[2:3]
	flat_load_dwordx2 v[16:17], v[16:17]
	s_waitcnt vmcnt(0) lgkmcnt(0)
	ds_write_b64 v1, v[16:17] offset:6336
.LBB183_79:
	s_or_b64 exec, exec, s[8:9]
	v_mov_b32_e32 v1, 0
	v_lshl_add_u64 v[2:3], v[2:3], 0, v[0:1]
	s_lshl_b64 s[8:9], s[18:19], 3
	v_mov_b32_e32 v1, s9
	v_subrev_co_u32_e64 v2, s[8:9], s8, v2
	s_nop 1
	v_subb_co_u32_e64 v3, s[8:9], v3, v1, s[8:9]
	v_lshl_add_u64 v[2:3], v[2:3], 0, 8
	v_cndmask_b32_e32 v17, v3, v5, vcc
	v_cndmask_b32_e32 v16, v2, v4, vcc
	s_branch .LBB183_85
.LBB183_80:
	ds_read_b64 v[20:21], v6
	s_waitcnt lgkmcnt(0)
	ds_write_b64 v1, v[20:21]
	s_or_b64 exec, exec, s[16:17]
	v_add_u32_e32 v7, v0, v4
	s_and_saveexec_b64 s[6:7], s[8:9]
	s_cbranch_execz .LBB183_59
.LBB183_81:
	ds_read_b64 v[4:5], v7
	s_waitcnt lgkmcnt(0)
	ds_write_b64 v1, v[4:5] offset:8
	s_or_b64 exec, exec, s[6:7]
	s_and_saveexec_b64 s[6:7], s[10:11]
	s_cbranch_execz .LBB183_60
.LBB183_82:
	ds_read_b64 v[4:5], v7 offset:264
	s_waitcnt lgkmcnt(0)
	ds_write_b64 v1, v[4:5] offset:16
	s_or_b64 exec, exec, s[6:7]
	v_add_u32_e32 v19, 0x2380, v16
	s_and_saveexec_b64 s[6:7], s[12:13]
	s_cbranch_execnz .LBB183_61
	s_branch .LBB183_62
.LBB183_83:
                                        ; implicit-def: $vgpr16_vgpr17
                                        ; implicit-def: $vgpr8
                                        ; implicit-def: $vgpr9
                                        ; implicit-def: $vgpr11
	s_cbranch_execz .LBB183_85
; %bb.84:
	s_lshl_b32 s8, s22, 3
	s_ashr_i32 s9, s8, 31
	s_ashr_i32 s23, s22, 31
	v_lshl_add_u64 v[2:3], s[8:9], 3, v[4:5]
	s_lshl_b64 s[8:9], s[22:23], 6
	v_lshl_add_u64 v[8:9], v[2:3], 0, s[8:9]
	v_lshl_add_u64 v[16:17], v[8:9], 0, s[8:9]
	flat_load_dwordx2 v[20:21], v[4:5]
	flat_load_dwordx2 v[26:27], v[2:3]
	;; [unrolled: 1-line block ×4, first 2 shown]
	s_movk_i32 s8, 0x108
	v_add_u32_e32 v8, 8, v10
	v_add_u32_e32 v9, 16, v10
	v_add_u32_e32 v11, 24, v10
	v_mad_u32_u24 v0, v10, s8, v0
	v_mov_b64_e32 v[16:17], v[4:5]
	s_waitcnt vmcnt(0) lgkmcnt(0)
	ds_write_b64 v0, v[20:21]
	ds_write_b64 v0, v[26:27] offset:2112
	ds_write_b64 v0, v[28:29] offset:4224
	;; [unrolled: 1-line block ×3, first 2 shown]
.LBB183_85:
	v_lshlrev_b32_e32 v25, 3, v10
	v_lshlrev_b32_e32 v30, 3, v8
	;; [unrolled: 1-line block ×4, first 2 shown]
	v_add_u32_e32 v28, v23, v25
	v_add_u32_e32 v34, v23, v30
	;; [unrolled: 1-line block ×4, first 2 shown]
	s_waitcnt lgkmcnt(0)
	s_barrier
	ds_read_b64 v[26:27], v0
	ds_read_b64 v[20:21], v6
	ds_read2_b64 v[4:7], v7 offset1:33
	ds_read_b128 v[8:11], v19 offset:256
	ds_read_b128 v[0:3], v19 offset:272
	ds_read_b64 v[28:29], v28
	ds_read_b64 v[18:19], v18
	ds_read_b64 v[30:31], v30 offset:9088
	ds_read_b64 v[32:33], v25 offset:9088
	ds_read_b64 v[34:35], v34
	ds_read_b64 v[36:37], v36
	ds_read_b64 v[38:39], v38 offset:9088
	ds_read_b64 v[40:41], v40 offset:9088
	s_waitcnt lgkmcnt(4)
	v_pk_mul_f32 v[42:43], v[32:33], v[28:29] op_sel:[1,1] op_sel_hi:[0,1]
	v_pk_fma_f32 v[44:45], v[32:33], v[28:29], v[42:43] neg_lo:[0,0,1] neg_hi:[0,0,1]
	v_pk_fma_f32 v[28:29], v[32:33], v[28:29], v[42:43] op_sel_hi:[1,0,1]
	s_waitcnt lgkmcnt(3)
	v_pk_mul_f32 v[32:33], v[30:31], v[34:35] op_sel:[1,1] op_sel_hi:[0,1]
	v_pk_fma_f32 v[42:43], v[30:31], v[34:35], v[32:33] neg_lo:[0,0,1] neg_hi:[0,0,1]
	v_pk_fma_f32 v[30:31], v[30:31], v[34:35], v[32:33] op_sel_hi:[1,0,1]
	v_mov_b32_e32 v45, v29
	v_mov_b32_e32 v43, v31
	s_waitcnt lgkmcnt(0)
	v_pk_mul_f32 v[30:31], v[40:41], v[36:37] op_sel:[1,1] op_sel_hi:[0,1]
	v_pk_add_f32 v[28:29], v[44:45], 0 op_sel_hi:[1,0]
	v_pk_fma_f32 v[32:33], v[40:41], v[36:37], v[30:31] neg_lo:[0,0,1] neg_hi:[0,0,1]
	v_pk_fma_f32 v[30:31], v[40:41], v[36:37], v[30:31] op_sel_hi:[1,0,1]
	v_pk_add_f32 v[28:29], v[28:29], v[42:43]
	v_mov_b32_e32 v33, v31
	v_pk_mul_f32 v[30:31], v[38:39], v[26:27] op_sel:[1,1] op_sel_hi:[0,1]
	v_pk_add_f32 v[28:29], v[28:29], v[32:33]
	v_pk_fma_f32 v[32:33], v[38:39], v[26:27], v[30:31] neg_lo:[0,0,1] neg_hi:[0,0,1]
	v_pk_fma_f32 v[26:27], v[38:39], v[26:27], v[30:31] op_sel_hi:[1,0,1]
	s_nop 0
	v_mov_b32_e32 v33, v27
	v_pk_add_f32 v[26:27], v[28:29], v[32:33]
	s_barrier
	ds_write_b64 v24, v[26:27]
	s_waitcnt lgkmcnt(0)
	s_barrier
	s_and_saveexec_b64 s[8:9], s[6:7]
	s_cbranch_execz .LBB183_87
; %bb.86:
	ds_read2_b64 v[26:29], v23 offset1:1
	ds_read2_b64 v[30:33], v23 offset0:2 offset1:3
	ds_read2_b64 v[34:37], v23 offset0:4 offset1:5
	s_waitcnt lgkmcnt(2)
	v_pk_add_f32 v[26:27], v[52:53], v[26:27]
	s_nop 0
	v_pk_add_f32 v[38:39], v[26:27], v[28:29]
	ds_read2_b64 v[26:29], v23 offset0:6 offset1:7
	s_waitcnt lgkmcnt(2)
	v_pk_add_f32 v[30:31], v[38:39], v[30:31]
	s_nop 0
	v_pk_add_f32 v[30:31], v[30:31], v[32:33]
	s_waitcnt lgkmcnt(1)
	v_pk_add_f32 v[30:31], v[30:31], v[34:35]
	s_nop 0
	v_pk_add_f32 v[30:31], v[30:31], v[36:37]
	;; [unrolled: 4-line block ×3, first 2 shown]
.LBB183_87:
	s_or_b64 exec, exec, s[8:9]
	v_pk_mul_f32 v[26:27], v[8:9], v[20:21] op_sel:[1,1] op_sel_hi:[0,1]
	v_pk_fma_f32 v[28:29], v[8:9], v[20:21], v[26:27] neg_lo:[0,0,1] neg_hi:[0,0,1]
	v_pk_fma_f32 v[8:9], v[8:9], v[20:21], v[26:27] op_sel_hi:[1,0,1]
	v_pk_mul_f32 v[20:21], v[10:11], v[4:5] op_sel:[1,1] op_sel_hi:[0,1]
	v_mov_b32_e32 v29, v9
	v_pk_fma_f32 v[26:27], v[10:11], v[4:5], v[20:21] neg_lo:[0,0,1] neg_hi:[0,0,1]
	v_pk_fma_f32 v[4:5], v[10:11], v[4:5], v[20:21] op_sel_hi:[1,0,1]
	v_pk_add_f32 v[8:9], v[28:29], 0 op_sel_hi:[1,0]
	v_mov_b32_e32 v27, v5
	v_pk_add_f32 v[4:5], v[8:9], v[26:27]
	v_pk_mul_f32 v[8:9], v[0:1], v[6:7] op_sel:[1,1] op_sel_hi:[0,1]
	v_pk_fma_f32 v[10:11], v[0:1], v[6:7], v[8:9] neg_lo:[0,0,1] neg_hi:[0,0,1]
	v_pk_fma_f32 v[0:1], v[0:1], v[6:7], v[8:9] op_sel_hi:[1,0,1]
	s_nop 0
	v_mov_b32_e32 v11, v1
	v_pk_add_f32 v[0:1], v[4:5], v[10:11]
	v_pk_mul_f32 v[4:5], v[2:3], v[18:19] op_sel:[1,1] op_sel_hi:[0,1]
	v_pk_fma_f32 v[6:7], v[2:3], v[18:19], v[4:5] neg_lo:[0,0,1] neg_hi:[0,0,1]
	v_pk_fma_f32 v[2:3], v[2:3], v[18:19], v[4:5] op_sel_hi:[1,0,1]
	s_barrier
	v_mov_b32_e32 v7, v3
	v_pk_add_f32 v[0:1], v[0:1], v[6:7]
	ds_write_b64 v24, v[0:1]
	s_waitcnt lgkmcnt(0)
	s_barrier
	s_and_saveexec_b64 s[6:7], s[4:5]
	s_cbranch_execz .LBB183_89
; %bb.88:
	ds_read2_b64 v[0:3], v23 offset1:1
	ds_read2_b64 v[4:7], v23 offset0:2 offset1:3
	ds_read2_b64 v[8:11], v23 offset0:4 offset1:5
	s_waitcnt lgkmcnt(2)
	v_pk_add_f32 v[0:1], v[52:53], v[0:1]
	s_nop 0
	v_pk_add_f32 v[18:19], v[0:1], v[2:3]
	ds_read2_b64 v[0:3], v23 offset0:6 offset1:7
	s_waitcnt lgkmcnt(2)
	v_pk_add_f32 v[4:5], v[18:19], v[4:5]
	s_nop 0
	v_pk_add_f32 v[4:5], v[4:5], v[6:7]
	s_waitcnt lgkmcnt(1)
	v_pk_add_f32 v[4:5], v[4:5], v[8:9]
	s_nop 0
	v_pk_add_f32 v[4:5], v[4:5], v[10:11]
	;; [unrolled: 4-line block ×3, first 2 shown]
.LBB183_89:
	s_or_b64 exec, exec, s[6:7]
	s_load_dwordx2 s[0:1], s[0:1], 0x68
	s_mul_hi_u32 s4, s36, s24
	s_mul_i32 s37, s37, s24
	s_add_i32 s4, s4, s37
	s_mul_i32 s6, s36, s24
	s_mul_i32 s4, s4, s3
	s_mul_hi_u32 s5, s6, s3
	s_add_i32 s5, s5, s4
	s_mul_i32 s4, s6, s3
	s_lshl_b64 s[4:5], s[4:5], 3
	s_waitcnt lgkmcnt(0)
	s_add_u32 s4, s0, s4
	s_addc_u32 s5, s1, s5
	s_mul_hi_i32 s1, s36, s2
	s_mul_i32 s0, s36, s2
	s_lshl_b64 s[0:1], s[0:1], 3
	s_add_u32 s6, s4, s0
	s_addc_u32 s7, s5, s1
	s_add_i32 s8, s2, 1
	s_cmp_ge_u32 s8, s3
	v_lshlrev_b32_e32 v51, 3, v50
	s_barrier
	s_cbranch_scc1 .LBB183_147
; %bb.90:
	s_mul_i32 s0, s33, s26
	s_ashr_i32 s1, s0, 31
	s_lshl_b64 s[0:1], s[0:1], 3
	v_lshrrev_b32_e32 v2, 4, v22
	s_lshl_b32 s24, s33, 6
	v_mov_b32_e32 v3, 0x2180
	s_lshl_b32 s4, s22, 4
	s_ashr_i32 s23, s22, 31
	s_lshl_b32 s16, s22, 1
	s_mul_i32 s26, s22, 3
	s_mul_i32 s33, s33, s8
	v_lshlrev_b32_e32 v132, 2, v49
	v_mov_b32_e32 v0, s1
	v_subrev_co_u32_e32 v54, vcc, s0, v14
	v_and_b32_e32 v6, 15, v50
	s_add_i32 s19, s3, -2
	v_lshl_add_u32 v134, v49, 5, v3
	v_lshlrev_b32_e32 v3, 5, v2
	s_movk_i32 s9, 0x218
	s_ashr_i32 s5, s4, 31
	s_ashr_i32 s17, s16, 31
	;; [unrolled: 1-line block ×3, first 2 shown]
	s_lshl_b64 s[12:13], s[22:23], 3
	s_lshl_b32 s8, s33, 6
	s_lshl_b64 s[30:31], s[22:23], 4
	s_lshl_b64 s[34:35], s[28:29], 3
	v_subb_co_u32_e32 v55, vcc, v15, v0, vcc
	v_mad_u64_u32 v[0:1], s[0:1], s22, v132, v[50:51]
	v_mad_u32_u24 v137, v6, s9, v3
	v_mul_i32_i24_e32 v7, 0xffffffe8, v2
	v_lshlrev_b64 v[2:3], 3, v[12:13]
	s_add_u32 s36, s30, s34
	v_ashrrev_i32_e32 v1, 31, v0
	v_sub_co_u32_e32 v56, vcc, 0, v2
	s_addc_u32 s37, s31, s35
	s_lshl_b64 s[10:11], s[4:5], 5
	v_subb_co_u32_e32 v57, vcc, 0, v3, vcc
	v_lshlrev_b64 v[2:3], 3, v[0:1]
	s_add_u32 s38, s12, s34
	v_lshl_add_u64 v[4:5], s[36:37], 0, v[2:3]
	s_addc_u32 s39, s13, s35
	s_lshl_b64 s[16:17], s[16:17], 3
	v_lshl_add_u64 v[58:59], v[16:17], 0, v[4:5]
	v_lshl_add_u64 v[4:5], s[38:39], 0, v[2:3]
	s_add_u32 s40, s34, s16
	v_lshl_add_u64 v[60:61], v[16:17], 0, v[4:5]
	v_lshl_add_u64 v[4:5], s[34:35], 0, v[2:3]
	s_addc_u32 s41, s35, s17
	s_lshl_b64 s[26:27], s[26:27], 3
	v_lshl_add_u64 v[62:63], v[16:17], 0, v[4:5]
	v_lshl_add_u64 v[4:5], s[40:41], 0, v[2:3]
	s_add_u32 s40, s34, s26
	s_addc_u32 s41, s35, s27
	v_lshl_add_u64 v[64:65], v[16:17], 0, v[4:5]
	v_lshl_add_u64 v[4:5], s[40:41], 0, v[2:3]
	s_lshl_b64 s[40:41], s[4:5], 3
	s_add_u32 s42, s36, s40
	s_addc_u32 s43, s37, s41
	s_add_u32 s38, s38, s40
	v_lshl_add_u64 v[66:67], v[16:17], 0, v[4:5]
	v_lshl_add_u64 v[4:5], s[42:43], 0, v[2:3]
	s_addc_u32 s39, s39, s41
	v_lshl_add_u64 v[68:69], v[16:17], 0, v[4:5]
	v_lshl_add_u64 v[4:5], s[38:39], 0, v[2:3]
	s_add_u32 s38, s34, s40
	s_addc_u32 s39, s35, s41
	s_add_u32 s40, s38, s16
	s_addc_u32 s41, s39, s17
	v_lshl_add_u64 v[70:71], v[16:17], 0, v[4:5]
	v_lshl_add_u64 v[4:5], s[38:39], 0, v[2:3]
	s_add_u32 s38, s38, s26
	v_lshl_add_u64 v[72:73], v[16:17], 0, v[4:5]
	v_lshl_add_u64 v[4:5], s[40:41], 0, v[2:3]
	s_addc_u32 s39, s39, s27
	v_lshl_add_u64 v[74:75], v[16:17], 0, v[4:5]
	v_lshl_add_u64 v[4:5], s[38:39], 0, v[2:3]
	s_lshl_b64 s[38:39], s[4:5], 4
	s_add_u32 s36, s36, s38
	s_addc_u32 s37, s37, s39
	s_add_u32 s34, s38, s34
	s_addc_u32 s35, s39, s35
	v_lshl_add_u64 v[76:77], v[16:17], 0, v[4:5]
	v_lshl_add_u64 v[4:5], s[36:37], 0, v[2:3]
	s_add_u32 s36, s34, s12
	s_addc_u32 s37, s35, s13
	v_lshl_add_u64 v[78:79], v[16:17], 0, v[4:5]
	v_lshl_add_u64 v[4:5], s[36:37], 0, v[2:3]
	;; [unrolled: 4-line block ×3, first 2 shown]
	s_add_u32 s34, s34, s26
	s_addc_u32 s35, s35, s27
	s_mul_i32 s5, s22, 0x180
	s_mul_hi_i32 s23, s4, 24
	s_add_u32 s22, s5, s30
	v_lshl_add_u64 v[0:1], s[28:29], 0, v[0:1]
	v_lshl_add_u64 v[82:83], v[16:17], 0, v[4:5]
	;; [unrolled: 1-line block ×4, first 2 shown]
	s_addc_u32 s23, s23, s31
	v_lshlrev_b64 v[0:1], 3, v[0:1]
	v_lshl_add_u64 v[86:87], v[16:17], 0, v[2:3]
	v_lshl_add_u64 v[2:3], s[22:23], 0, v[0:1]
	v_mad_i64_i32 v[0:1], s[4:5], s4, 24, v[0:1]
	v_lshl_add_u64 v[88:89], v[16:17], 0, v[2:3]
	v_lshl_add_u64 v[2:3], v[0:1], 0, s[12:13]
	v_lshl_add_u64 v[90:91], v[16:17], 0, v[2:3]
	v_lshl_add_u64 v[92:93], v[16:17], 0, v[0:1]
	v_lshl_add_u64 v[2:3], v[0:1], 0, s[16:17]
	v_lshl_add_u64 v[0:1], v[0:1], 0, s[26:27]
	v_lshl_add_u64 v[96:97], v[16:17], 0, v[0:1]
	v_and_b32_e32 v0, 48, v50
	v_lshlrev_b32_e32 v0, 3, v0
	s_movk_i32 s0, 0x860
	v_mad_u32_u24 v138, v6, s9, v0
	v_or_b32_e32 v0, 0x78, v51
	v_mov_b32_e32 v156, 0
	v_add_u32_e32 v133, 0x2180, v51
	v_add_u32_e32 v135, 0x2380, v51
	v_mad_u32_u24 v136, v49, s0, v51
	v_cmp_gt_u32_e64 s[0:1], 64, v22
	v_lshl_add_u64 v[84:85], v[16:17], 0, v[4:5]
	v_lshl_add_u64 v[94:95], v[16:17], 0, v[2:3]
	v_mad_u32_u24 v139, v6, s9, v0
	v_or_b32_e32 v140, 1, v132
	v_add_u32_e32 v141, v137, v7
	v_mov_b32_e32 v157, v156
	v_or_b32_e32 v142, 2, v132
	v_or_b32_e32 v143, 3, v132
	v_add_u32_e32 v144, 16, v132
	v_add_u32_e32 v145, 17, v132
	;; [unrolled: 1-line block ×13, first 2 shown]
	s_branch .LBB183_92
.LBB183_91:                             ;   in Loop: Header=BB183_92 Depth=1
	s_or_b64 exec, exec, s[4:5]
	v_mul_f32_e32 v99, v5, v103
	v_fma_f32 v99, v4, v102, -v99
	v_add_f32_e32 v52, v52, v99
	v_mul_f32_e32 v99, v7, v101
	v_mul_f32_e32 v5, v5, v102
	v_fma_f32 v99, v6, v100, -v99
	v_mul_f32_e32 v7, v7, v100
	v_add_f32_e32 v52, v52, v99
	v_mul_f32_e32 v99, v1, v105
	v_fmac_f32_e32 v5, v4, v103
	v_fma_f32 v99, v0, v104, -v99
	v_mul_f32_e32 v1, v1, v104
	v_add_f32_e32 v4, v53, v5
	v_fmac_f32_e32 v7, v6, v101
	v_add_f32_e32 v52, v52, v99
	v_mul_f32_e32 v99, v3, v107
	v_mul_f32_e32 v3, v3, v106
	v_add_f32_e32 v4, v4, v7
	v_fmac_f32_e32 v1, v0, v105
	v_add_f32_e32 v0, v4, v1
	v_fmac_f32_e32 v3, v2, v107
	v_fma_f32 v99, v2, v106, -v99
	v_add_f32_e32 v1, v0, v3
	v_mul_f32_e32 v0, v13, v111
	v_add_f32_e32 v52, v52, v99
	v_fma_f32 v0, v12, v110, -v0
	v_mul_f32_e32 v6, v13, v110
	v_mul_f32_e32 v2, v15, v109
	v_add_f32_e32 v0, v52, v0
	v_fma_f32 v2, v14, v108, -v2
	v_mul_f32_e32 v7, v15, v108
	v_fmac_f32_e32 v6, v12, v111
	v_add_f32_e32 v0, v0, v2
	v_mul_f32_e32 v2, v9, v113
	v_mul_f32_e32 v3, v9, v112
	v_add_f32_e32 v1, v1, v6
	v_fmac_f32_e32 v7, v14, v109
	v_mov_b32_e32 v16, v119
	v_mov_b32_e32 v17, v119
	v_fma_f32 v2, v8, v112, -v2
	v_mul_f32_e32 v4, v11, v115
	v_mul_f32_e32 v5, v11, v114
	v_add_f32_e32 v1, v1, v7
	v_fmac_f32_e32 v3, v8, v113
	v_mov_b32_e32 v119, v118
	v_fma_f32 v4, v10, v114, -v4
	v_pk_add_f32 v[0:1], v[0:1], v[2:3]
	v_fmac_f32_e32 v5, v10, v115
	v_pk_mul_f32 v[2:3], v[28:29], v[16:17]
	v_mov_b32_e32 v18, v117
	v_mov_b32_e32 v19, v117
	v_pk_add_f32 v[0:1], v[0:1], v[4:5]
	v_pk_fma_f32 v[4:5], v[28:29], v[118:119], v[2:3] op_sel:[0,0,1] op_sel_hi:[1,1,0] neg_lo:[0,0,1] neg_hi:[0,0,1]
	v_pk_fma_f32 v[2:3], v[28:29], v[118:119], v[2:3] op_sel:[0,0,1] op_sel_hi:[1,1,0]
	v_mov_b32_e32 v117, v116
	v_mov_b32_e32 v5, v3
	v_pk_mul_f32 v[2:3], v[30:31], v[18:19]
	v_mov_b32_e32 v20, v121
	v_mov_b32_e32 v21, v121
	v_pk_add_f32 v[0:1], v[0:1], v[4:5]
	v_pk_fma_f32 v[4:5], v[30:31], v[116:117], v[2:3] op_sel:[0,0,1] op_sel_hi:[1,1,0] neg_lo:[0,0,1] neg_hi:[0,0,1]
	v_pk_fma_f32 v[2:3], v[30:31], v[116:117], v[2:3] op_sel:[0,0,1] op_sel_hi:[1,1,0]
	v_mov_b32_e32 v121, v120
	v_mov_b32_e32 v5, v3
	;; [unrolled: 8-line block ×5, first 2 shown]
	v_pk_mul_f32 v[2:3], v[38:39], v[42:43]
	v_mov_b32_e32 v44, v129
	v_mov_b32_e32 v45, v129
	v_pk_fma_f32 v[6:7], v[38:39], v[124:125], v[2:3] op_sel:[0,0,1] op_sel_hi:[1,1,0] neg_lo:[0,0,1] neg_hi:[0,0,1]
	v_pk_fma_f32 v[2:3], v[38:39], v[124:125], v[2:3] op_sel:[0,0,1] op_sel_hi:[1,1,0]
	v_mov_b32_e32 v129, v128
	v_mov_b32_e32 v7, v3
	v_pk_mul_f32 v[2:3], v[32:33], v[44:45]
	v_mov_b32_e32 v46, v131
	v_mov_b32_e32 v47, v131
	v_pk_fma_f32 v[8:9], v[32:33], v[128:129], v[2:3] op_sel:[0,0,1] op_sel_hi:[1,1,0] neg_lo:[0,0,1] neg_hi:[0,0,1]
	v_pk_fma_f32 v[2:3], v[32:33], v[128:129], v[2:3] op_sel:[0,0,1] op_sel_hi:[1,1,0]
	v_mov_b32_e32 v131, v130
	v_mov_b32_e32 v9, v3
	v_pk_mul_f32 v[2:3], v[34:35], v[46:47]
	v_pk_add_f32 v[0:1], v[0:1], v[4:5]
	v_pk_fma_f32 v[10:11], v[34:35], v[130:131], v[2:3] op_sel:[0,0,1] op_sel_hi:[1,1,0] neg_lo:[0,0,1] neg_hi:[0,0,1]
	v_pk_fma_f32 v[2:3], v[34:35], v[130:131], v[2:3] op_sel:[0,0,1] op_sel_hi:[1,1,0]
	v_pk_add_f32 v[0:1], v[0:1], v[6:7]
	v_mov_b32_e32 v11, v3
	v_pk_add_f32 v[0:1], v[0:1], v[8:9]
	s_add_i32 s4, s2, 1
	s_add_i32 s8, s8, s24
	s_add_i32 s2, s2, 2
	v_pk_add_f32 v[52:53], v[0:1], v[10:11]
	v_add_u32_e32 v98, 64, v98
	v_lshl_add_u64 v[58:59], v[58:59], 0, s[10:11]
	v_lshl_add_u64 v[60:61], v[60:61], 0, s[10:11]
	v_lshl_add_u64 v[62:63], v[62:63], 0, s[10:11]
	v_lshl_add_u64 v[64:65], v[64:65], 0, s[10:11]
	v_lshl_add_u64 v[66:67], v[66:67], 0, s[10:11]
	v_lshl_add_u64 v[68:69], v[68:69], 0, s[10:11]
	v_lshl_add_u64 v[70:71], v[70:71], 0, s[10:11]
	v_lshl_add_u64 v[72:73], v[72:73], 0, s[10:11]
	v_lshl_add_u64 v[74:75], v[74:75], 0, s[10:11]
	v_lshl_add_u64 v[76:77], v[76:77], 0, s[10:11]
	v_lshl_add_u64 v[78:79], v[78:79], 0, s[10:11]
	v_lshl_add_u64 v[80:81], v[80:81], 0, s[10:11]
	v_lshl_add_u64 v[82:83], v[82:83], 0, s[10:11]
	v_lshl_add_u64 v[84:85], v[84:85], 0, s[10:11]
	v_lshl_add_u64 v[86:87], v[86:87], 0, s[10:11]
	v_lshl_add_u64 v[88:89], v[88:89], 0, s[10:11]
	v_lshl_add_u64 v[90:91], v[90:91], 0, s[10:11]
	v_lshl_add_u64 v[92:93], v[92:93], 0, s[10:11]
	v_lshl_add_u64 v[94:95], v[94:95], 0, s[10:11]
	v_lshl_add_u64 v[96:97], v[96:97], 0, s[10:11]
	s_cmp_ge_u32 s2, s3
	s_mov_b32 s2, s4
	s_barrier
	s_cbranch_scc1 .LBB183_147
.LBB183_92:                             ; =>This Inner Loop Header: Depth=1
	s_cmp_eq_u32 s19, s2
	s_cselect_b32 s26, s25, 0
	s_and_saveexec_b64 s[4:5], s[14:15]
	s_cbranch_execz .LBB183_97
; %bb.93:                               ;   in Loop: Header=BB183_92 Depth=1
	s_cmp_lg_u32 s26, 0
	s_cselect_b64 s[12:13], -1, 0
	v_cmp_le_i32_e32 vcc, s26, v50
	s_and_b64 s[12:13], s[12:13], vcc
	s_and_saveexec_b64 s[16:17], s[12:13]
	s_xor_b64 s[12:13], exec, s[16:17]
; %bb.94:                               ;   in Loop: Header=BB183_92 Depth=1
	ds_write_b64 v133, v[156:157]
; %bb.95:                               ;   in Loop: Header=BB183_92 Depth=1
	s_andn2_saveexec_b64 s[12:13], s[12:13]
	s_cbranch_execz .LBB183_97
; %bb.96:                               ;   in Loop: Header=BB183_92 Depth=1
	s_ashr_i32 s9, s8, 31
	v_lshl_add_u64 v[0:1], s[8:9], 3, v[54:55]
	flat_load_dwordx2 v[0:1], v[0:1]
	s_waitcnt vmcnt(0) lgkmcnt(0)
	ds_write_b64 v133, v[0:1]
.LBB183_97:                             ;   in Loop: Header=BB183_92 Depth=1
	s_or_b64 exec, exec, s[4:5]
	s_cmp_eq_u32 s26, 0
	s_cselect_b64 s[12:13], -1, 0
	s_cmp_lg_u32 s26, 0
	s_cselect_b64 s[16:17], -1, 0
	v_lshl_add_u64 v[0:1], v[62:63], 0, v[56:57]
	s_and_b64 vcc, exec, s[16:17]
	s_waitcnt lgkmcnt(0)
	s_barrier
	s_cbranch_vccz .LBB183_105
; %bb.98:                               ;   in Loop: Header=BB183_92 Depth=1
	v_cmp_gt_i32_e32 vcc, s26, v132
	v_mov_b64_e32 v[100:101], 0
	v_mov_b64_e32 v[102:103], 0
	s_and_saveexec_b64 s[4:5], vcc
	s_cbranch_execz .LBB183_100
; %bb.99:                               ;   in Loop: Header=BB183_92 Depth=1
	flat_load_dwordx2 v[102:103], v[0:1]
.LBB183_100:                            ;   in Loop: Header=BB183_92 Depth=1
	s_or_b64 exec, exec, s[4:5]
	v_cmp_gt_i32_e32 vcc, s26, v140
	s_and_saveexec_b64 s[4:5], vcc
	s_cbranch_execz .LBB183_102
; %bb.101:                              ;   in Loop: Header=BB183_92 Depth=1
	v_lshl_add_u64 v[2:3], v[60:61], 0, v[56:57]
	flat_load_dwordx2 v[100:101], v[2:3]
.LBB183_102:                            ;   in Loop: Header=BB183_92 Depth=1
	s_or_b64 exec, exec, s[4:5]
	v_cmp_gt_i32_e32 vcc, s26, v142
	v_mov_b64_e32 v[104:105], 0
	s_and_saveexec_b64 s[4:5], vcc
	s_cbranch_execz .LBB183_104
; %bb.103:                              ;   in Loop: Header=BB183_92 Depth=1
	v_lshl_add_u64 v[2:3], v[64:65], 0, v[56:57]
	flat_load_dwordx2 v[104:105], v[2:3]
.LBB183_104:                            ;   in Loop: Header=BB183_92 Depth=1
	s_or_b64 exec, exec, s[4:5]
	v_cmp_gt_i32_e64 s[4:5], s26, v143
	s_branch .LBB183_107
.LBB183_105:                            ;   in Loop: Header=BB183_92 Depth=1
	s_mov_b64 s[4:5], 0
                                        ; implicit-def: $vgpr104_vgpr105
                                        ; implicit-def: $vgpr100_vgpr101
                                        ; implicit-def: $vgpr102_vgpr103
	s_cbranch_execz .LBB183_107
; %bb.106:                              ;   in Loop: Header=BB183_92 Depth=1
	s_waitcnt vmcnt(0) lgkmcnt(0)
	flat_load_dwordx2 v[102:103], v[0:1]
	v_lshl_add_u64 v[0:1], v[60:61], 0, v[56:57]
	flat_load_dwordx2 v[100:101], v[0:1]
	v_lshl_add_u64 v[0:1], v[58:59], 0, v[56:57]
	flat_load_dwordx2 v[104:105], v[0:1]
	s_or_b64 s[4:5], s[4:5], exec
.LBB183_107:                            ;   in Loop: Header=BB183_92 Depth=1
	v_mov_b64_e32 v[106:107], 0
	s_and_saveexec_b64 s[22:23], s[4:5]
	s_cbranch_execz .LBB183_109
; %bb.108:                              ;   in Loop: Header=BB183_92 Depth=1
	v_lshl_add_u64 v[0:1], v[66:67], 0, v[56:57]
	flat_load_dwordx2 v[106:107], v[0:1]
.LBB183_109:                            ;   in Loop: Header=BB183_92 Depth=1
	s_or_b64 exec, exec, s[22:23]
	ds_read_b64 v[8:9], v135
	ds_read_b128 v[4:7], v134
	ds_read_b128 v[0:3], v134 offset:16
	s_andn2_b64 vcc, exec, s[16:17]
	s_waitcnt vmcnt(0) lgkmcnt(0)
	v_pk_mul_f32 v[10:11], v[8:9], v[102:103] op_sel:[1,1] op_sel_hi:[0,1]
	v_pk_mul_f32 v[12:13], v[8:9], v[100:101] op_sel:[1,1] op_sel_hi:[0,1]
	v_pk_fma_f32 v[14:15], v[8:9], v[102:103], v[10:11] neg_lo:[0,0,1] neg_hi:[0,0,1]
	v_pk_fma_f32 v[10:11], v[8:9], v[102:103], v[10:11] op_sel_hi:[1,0,1]
	s_nop 0
	v_mov_b32_e32 v15, v11
	v_pk_fma_f32 v[10:11], v[8:9], v[100:101], v[12:13] neg_lo:[0,0,1] neg_hi:[0,0,1]
	v_pk_fma_f32 v[12:13], v[8:9], v[100:101], v[12:13] op_sel_hi:[1,0,1]
	s_nop 0
	v_mov_b32_e32 v11, v13
	ds_write2_b64 v136, v[14:15], v[10:11] offset1:67
	v_pk_mul_f32 v[10:11], v[8:9], v[104:105] op_sel:[1,1] op_sel_hi:[0,1]
	v_pk_fma_f32 v[12:13], v[8:9], v[104:105], v[10:11] neg_lo:[0,0,1] neg_hi:[0,0,1]
	v_pk_fma_f32 v[10:11], v[8:9], v[104:105], v[10:11] op_sel_hi:[1,0,1]
	s_nop 0
	v_mov_b32_e32 v13, v11
	v_pk_mul_f32 v[10:11], v[8:9], v[106:107] op_sel:[1,1] op_sel_hi:[0,1]
	v_pk_fma_f32 v[14:15], v[8:9], v[106:107], v[10:11] neg_lo:[0,0,1] neg_hi:[0,0,1]
	v_pk_fma_f32 v[8:9], v[8:9], v[106:107], v[10:11] op_sel_hi:[1,0,1]
	s_nop 0
	v_mov_b32_e32 v15, v9
	ds_write2_b64 v136, v[12:13], v[14:15] offset0:134 offset1:201
	s_waitcnt lgkmcnt(0)
	s_barrier
	ds_read2_b64 v[20:23], v137 offset1:1
	ds_read2_b64 v[16:19], v137 offset0:2 offset1:3
	v_cndmask_b32_e64 v8, 0, 1, s[16:17]
	v_cmp_ne_u32_e64 s[4:5], 1, v8
	v_lshl_add_u64 v[8:9], v[72:73], 0, v[56:57]
	s_waitcnt lgkmcnt(0)
	s_barrier
	s_cbranch_vccnz .LBB183_117
; %bb.110:                              ;   in Loop: Header=BB183_92 Depth=1
	v_cmp_gt_i32_e32 vcc, s26, v144
	v_mov_b64_e32 v[108:109], 0
	v_mov_b64_e32 v[110:111], 0
	s_and_saveexec_b64 s[16:17], vcc
	s_cbranch_execz .LBB183_112
; %bb.111:                              ;   in Loop: Header=BB183_92 Depth=1
	flat_load_dwordx2 v[110:111], v[8:9]
.LBB183_112:                            ;   in Loop: Header=BB183_92 Depth=1
	s_or_b64 exec, exec, s[16:17]
	v_cmp_gt_i32_e32 vcc, s26, v145
	s_and_saveexec_b64 s[16:17], vcc
	s_cbranch_execz .LBB183_114
; %bb.113:                              ;   in Loop: Header=BB183_92 Depth=1
	v_lshl_add_u64 v[10:11], v[70:71], 0, v[56:57]
	flat_load_dwordx2 v[108:109], v[10:11]
.LBB183_114:                            ;   in Loop: Header=BB183_92 Depth=1
	s_or_b64 exec, exec, s[16:17]
	v_cmp_gt_i32_e32 vcc, s26, v146
	v_mov_b64_e32 v[112:113], 0
	s_and_saveexec_b64 s[16:17], vcc
	s_cbranch_execz .LBB183_116
; %bb.115:                              ;   in Loop: Header=BB183_92 Depth=1
	v_lshl_add_u64 v[10:11], v[74:75], 0, v[56:57]
	flat_load_dwordx2 v[112:113], v[10:11]
.LBB183_116:                            ;   in Loop: Header=BB183_92 Depth=1
	s_or_b64 exec, exec, s[16:17]
	v_cmp_gt_i32_e64 s[16:17], s26, v147
	s_branch .LBB183_119
.LBB183_117:                            ;   in Loop: Header=BB183_92 Depth=1
	s_mov_b64 s[16:17], 0
                                        ; implicit-def: $vgpr112_vgpr113
                                        ; implicit-def: $vgpr108_vgpr109
                                        ; implicit-def: $vgpr110_vgpr111
	s_cbranch_execz .LBB183_119
; %bb.118:                              ;   in Loop: Header=BB183_92 Depth=1
	s_waitcnt vmcnt(0) lgkmcnt(0)
	flat_load_dwordx2 v[110:111], v[8:9]
	v_lshl_add_u64 v[8:9], v[70:71], 0, v[56:57]
	flat_load_dwordx2 v[108:109], v[8:9]
	v_lshl_add_u64 v[8:9], v[68:69], 0, v[56:57]
	flat_load_dwordx2 v[112:113], v[8:9]
	s_or_b64 s[16:17], s[16:17], exec
.LBB183_119:                            ;   in Loop: Header=BB183_92 Depth=1
	v_mov_b64_e32 v[114:115], 0
	s_and_saveexec_b64 s[22:23], s[16:17]
	s_cbranch_execz .LBB183_121
; %bb.120:                              ;   in Loop: Header=BB183_92 Depth=1
	v_lshl_add_u64 v[8:9], v[76:77], 0, v[56:57]
	flat_load_dwordx2 v[114:115], v[8:9]
.LBB183_121:                            ;   in Loop: Header=BB183_92 Depth=1
	s_or_b64 exec, exec, s[22:23]
	ds_read_b64 v[24:25], v135
	ds_read_b128 v[12:15], v134 offset:128
	ds_read_b128 v[8:11], v134 offset:144
	s_and_b64 vcc, exec, s[4:5]
	s_waitcnt vmcnt(0) lgkmcnt(0)
	v_pk_mul_f32 v[26:27], v[24:25], v[110:111] op_sel:[1,1] op_sel_hi:[0,1]
	v_pk_mul_f32 v[28:29], v[24:25], v[108:109] op_sel:[1,1] op_sel_hi:[0,1]
	v_pk_fma_f32 v[30:31], v[24:25], v[110:111], v[26:27] neg_lo:[0,0,1] neg_hi:[0,0,1]
	v_pk_fma_f32 v[26:27], v[24:25], v[110:111], v[26:27] op_sel_hi:[1,0,1]
	s_nop 0
	v_mov_b32_e32 v31, v27
	v_pk_fma_f32 v[26:27], v[24:25], v[108:109], v[28:29] neg_lo:[0,0,1] neg_hi:[0,0,1]
	v_pk_fma_f32 v[28:29], v[24:25], v[108:109], v[28:29] op_sel_hi:[1,0,1]
	s_nop 0
	v_mov_b32_e32 v27, v29
	ds_write2_b64 v136, v[30:31], v[26:27] offset1:67
	v_pk_mul_f32 v[26:27], v[24:25], v[112:113] op_sel:[1,1] op_sel_hi:[0,1]
	v_pk_fma_f32 v[28:29], v[24:25], v[112:113], v[26:27] neg_lo:[0,0,1] neg_hi:[0,0,1]
	v_pk_fma_f32 v[26:27], v[24:25], v[112:113], v[26:27] op_sel_hi:[1,0,1]
	s_nop 0
	v_mov_b32_e32 v29, v27
	v_pk_mul_f32 v[26:27], v[24:25], v[114:115] op_sel:[1,1] op_sel_hi:[0,1]
	v_pk_fma_f32 v[30:31], v[24:25], v[114:115], v[26:27] neg_lo:[0,0,1] neg_hi:[0,0,1]
	v_pk_fma_f32 v[24:25], v[24:25], v[114:115], v[26:27] op_sel_hi:[1,0,1]
	s_nop 0
	v_mov_b32_e32 v31, v25
	ds_write2_b64 v136, v[28:29], v[30:31] offset0:134 offset1:201
	s_waitcnt lgkmcnt(0)
	s_barrier
	ds_read2_b64 v[36:39], v137 offset1:1
	ds_read2_b64 v[32:35], v137 offset0:2 offset1:3
	v_lshl_add_u64 v[24:25], v[82:83], 0, v[56:57]
	s_waitcnt lgkmcnt(0)
	s_barrier
	s_cbranch_vccnz .LBB183_129
; %bb.122:                              ;   in Loop: Header=BB183_92 Depth=1
	v_cmp_gt_i32_e32 vcc, s26, v148
	v_mov_b64_e32 v[116:117], 0
	v_mov_b64_e32 v[118:119], 0
	s_and_saveexec_b64 s[16:17], vcc
	s_cbranch_execz .LBB183_124
; %bb.123:                              ;   in Loop: Header=BB183_92 Depth=1
	flat_load_dwordx2 v[118:119], v[24:25]
.LBB183_124:                            ;   in Loop: Header=BB183_92 Depth=1
	s_or_b64 exec, exec, s[16:17]
	v_cmp_gt_i32_e32 vcc, s26, v149
	s_and_saveexec_b64 s[16:17], vcc
	s_cbranch_execz .LBB183_126
; %bb.125:                              ;   in Loop: Header=BB183_92 Depth=1
	v_lshl_add_u64 v[26:27], v[80:81], 0, v[56:57]
	flat_load_dwordx2 v[116:117], v[26:27]
.LBB183_126:                            ;   in Loop: Header=BB183_92 Depth=1
	s_or_b64 exec, exec, s[16:17]
	v_cmp_gt_i32_e32 vcc, s26, v150
	v_mov_b64_e32 v[120:121], 0
	s_and_saveexec_b64 s[16:17], vcc
	s_cbranch_execz .LBB183_128
; %bb.127:                              ;   in Loop: Header=BB183_92 Depth=1
	v_lshl_add_u64 v[26:27], v[84:85], 0, v[56:57]
	flat_load_dwordx2 v[120:121], v[26:27]
.LBB183_128:                            ;   in Loop: Header=BB183_92 Depth=1
	s_or_b64 exec, exec, s[16:17]
	v_cmp_gt_i32_e64 s[16:17], s26, v151
	s_branch .LBB183_131
.LBB183_129:                            ;   in Loop: Header=BB183_92 Depth=1
	s_mov_b64 s[16:17], 0
                                        ; implicit-def: $vgpr120_vgpr121
                                        ; implicit-def: $vgpr116_vgpr117
                                        ; implicit-def: $vgpr118_vgpr119
	s_cbranch_execz .LBB183_131
; %bb.130:                              ;   in Loop: Header=BB183_92 Depth=1
	s_waitcnt vmcnt(0) lgkmcnt(0)
	flat_load_dwordx2 v[118:119], v[24:25]
	v_lshl_add_u64 v[24:25], v[80:81], 0, v[56:57]
	flat_load_dwordx2 v[116:117], v[24:25]
	v_lshl_add_u64 v[24:25], v[78:79], 0, v[56:57]
	flat_load_dwordx2 v[120:121], v[24:25]
	s_or_b64 s[16:17], s[16:17], exec
.LBB183_131:                            ;   in Loop: Header=BB183_92 Depth=1
	v_mov_b64_e32 v[122:123], 0
	s_and_saveexec_b64 s[22:23], s[16:17]
	s_cbranch_execz .LBB183_133
; %bb.132:                              ;   in Loop: Header=BB183_92 Depth=1
	v_lshl_add_u64 v[24:25], v[86:87], 0, v[56:57]
	flat_load_dwordx2 v[122:123], v[24:25]
.LBB183_133:                            ;   in Loop: Header=BB183_92 Depth=1
	s_or_b64 exec, exec, s[22:23]
	ds_read_b64 v[24:25], v135
	s_and_b64 vcc, exec, s[4:5]
	v_lshl_add_u64 v[130:131], v[92:93], 0, v[56:57]
	s_waitcnt vmcnt(0) lgkmcnt(0)
	v_pk_mul_f32 v[26:27], v[24:25], v[118:119] op_sel:[0,1]
	v_pk_mul_f32 v[28:29], v[24:25], v[116:117] op_sel:[0,1]
	v_pk_fma_f32 v[30:31], v[24:25], v[118:119], v[26:27] op_sel:[0,0,1] op_sel_hi:[1,1,0] neg_lo:[0,0,1] neg_hi:[0,0,1]
	v_pk_fma_f32 v[26:27], v[24:25], v[118:119], v[26:27] op_sel:[0,0,1] op_sel_hi:[1,0,0]
	v_pk_fma_f32 v[40:41], v[24:25], v[116:117], v[28:29] op_sel:[0,0,1] op_sel_hi:[1,1,0] neg_lo:[0,0,1] neg_hi:[0,0,1]
	v_pk_fma_f32 v[28:29], v[24:25], v[116:117], v[28:29] op_sel:[0,0,1] op_sel_hi:[1,0,0]
	v_mov_b32_e32 v31, v27
	v_pk_mul_f32 v[26:27], v[24:25], v[120:121] op_sel:[0,1]
	v_mov_b32_e32 v41, v29
	v_pk_fma_f32 v[28:29], v[24:25], v[120:121], v[26:27] op_sel:[0,0,1] op_sel_hi:[1,1,0] neg_lo:[0,0,1] neg_hi:[0,0,1]
	v_pk_fma_f32 v[26:27], v[24:25], v[120:121], v[26:27] op_sel:[0,0,1] op_sel_hi:[1,0,0]
	ds_write2_b64 v136, v[30:31], v[40:41] offset1:67
	v_mov_b32_e32 v29, v27
	v_pk_mul_f32 v[26:27], v[24:25], v[122:123] op_sel:[0,1]
	s_nop 0
	v_pk_fma_f32 v[30:31], v[24:25], v[122:123], v[26:27] op_sel:[0,0,1] op_sel_hi:[1,1,0] neg_lo:[0,0,1] neg_hi:[0,0,1]
	v_pk_fma_f32 v[24:25], v[24:25], v[122:123], v[26:27] op_sel:[0,0,1] op_sel_hi:[1,0,0]
	s_nop 0
	v_mov_b32_e32 v31, v25
	ds_write2_b64 v136, v[28:29], v[30:31] offset0:134 offset1:201
	ds_read_b128 v[28:31], v134 offset:256
	ds_read_b128 v[24:27], v134 offset:272
	s_waitcnt lgkmcnt(0)
	s_barrier
	ds_read2_b64 v[44:47], v137 offset1:1
	ds_read2_b64 v[40:43], v137 offset0:2 offset1:3
	s_waitcnt lgkmcnt(0)
	s_barrier
	s_cbranch_vccnz .LBB183_141
; %bb.134:                              ;   in Loop: Header=BB183_92 Depth=1
	v_cmp_gt_i32_e32 vcc, s26, v152
	v_mov_b64_e32 v[124:125], 0
	v_mov_b64_e32 v[126:127], 0
	s_and_saveexec_b64 s[4:5], vcc
	s_cbranch_execz .LBB183_136
; %bb.135:                              ;   in Loop: Header=BB183_92 Depth=1
	flat_load_dwordx2 v[126:127], v[130:131]
.LBB183_136:                            ;   in Loop: Header=BB183_92 Depth=1
	s_or_b64 exec, exec, s[4:5]
	v_cmp_gt_i32_e32 vcc, s26, v153
	s_and_saveexec_b64 s[4:5], vcc
	s_cbranch_execz .LBB183_138
; %bb.137:                              ;   in Loop: Header=BB183_92 Depth=1
	v_lshl_add_u64 v[124:125], v[90:91], 0, v[56:57]
	flat_load_dwordx2 v[124:125], v[124:125]
.LBB183_138:                            ;   in Loop: Header=BB183_92 Depth=1
	s_or_b64 exec, exec, s[4:5]
	v_cmp_gt_i32_e32 vcc, s26, v154
	v_mov_b64_e32 v[128:129], 0
	s_and_saveexec_b64 s[4:5], vcc
	s_cbranch_execz .LBB183_140
; %bb.139:                              ;   in Loop: Header=BB183_92 Depth=1
	v_lshl_add_u64 v[128:129], v[94:95], 0, v[56:57]
	flat_load_dwordx2 v[128:129], v[128:129]
.LBB183_140:                            ;   in Loop: Header=BB183_92 Depth=1
	s_or_b64 exec, exec, s[4:5]
	v_cmp_gt_i32_e64 s[4:5], s26, v155
	s_branch .LBB183_143
.LBB183_141:                            ;   in Loop: Header=BB183_92 Depth=1
	s_mov_b64 s[4:5], 0
                                        ; implicit-def: $vgpr128_vgpr129
                                        ; implicit-def: $vgpr124_vgpr125
                                        ; implicit-def: $vgpr126_vgpr127
	s_cbranch_execz .LBB183_143
; %bb.142:                              ;   in Loop: Header=BB183_92 Depth=1
	s_waitcnt vmcnt(0) lgkmcnt(0)
	v_lshl_add_u64 v[124:125], v[90:91], 0, v[56:57]
	v_lshl_add_u64 v[128:129], v[88:89], 0, v[56:57]
	flat_load_dwordx2 v[126:127], v[130:131]
	s_or_b64 s[4:5], s[4:5], exec
	flat_load_dwordx2 v[124:125], v[124:125]
	s_nop 0
	flat_load_dwordx2 v[128:129], v[128:129]
.LBB183_143:                            ;   in Loop: Header=BB183_92 Depth=1
	v_mov_b64_e32 v[130:131], 0
	s_and_saveexec_b64 s[16:17], s[4:5]
	s_cbranch_execz .LBB183_145
; %bb.144:                              ;   in Loop: Header=BB183_92 Depth=1
	v_lshl_add_u64 v[130:131], v[96:97], 0, v[56:57]
	flat_load_dwordx2 v[130:131], v[130:131]
.LBB183_145:                            ;   in Loop: Header=BB183_92 Depth=1
	s_or_b64 exec, exec, s[16:17]
	v_pk_add_f32 v[44:45], v[44:45], 0 op_sel_hi:[1,0]
	v_pk_add_f32 v[36:37], v[36:37], 0 op_sel_hi:[1,0]
	v_pk_add_f32 v[44:45], v[44:45], v[46:47]
	v_pk_add_f32 v[36:37], v[36:37], v[38:39]
	;; [unrolled: 1-line block ×5, first 2 shown]
	ds_read_b64 v[40:41], v135
	v_pk_add_f32 v[46:47], v[32:33], v[34:35]
	v_pk_add_f32 v[20:21], v[20:21], 0 op_sel_hi:[1,0]
	v_cmp_gt_i32_e32 vcc, s26, v50
	v_pk_add_f32 v[158:159], v[20:21], v[22:23]
	s_waitcnt vmcnt(0) lgkmcnt(0)
	v_pk_mul_f32 v[32:33], v[40:41], v[126:127] op_sel:[0,1]
	v_pk_add_f32 v[16:17], v[158:159], v[16:17]
	v_pk_fma_f32 v[34:35], v[40:41], v[126:127], v[32:33] op_sel:[0,0,1] op_sel_hi:[1,1,0] neg_lo:[0,0,1] neg_hi:[0,0,1]
	v_pk_fma_f32 v[32:33], v[40:41], v[126:127], v[32:33] op_sel:[0,0,1] op_sel_hi:[1,0,0]
	v_pk_add_f32 v[16:17], v[16:17], v[18:19]
	v_mov_b32_e32 v35, v33
	v_pk_mul_f32 v[32:33], v[40:41], v[124:125] op_sel:[0,1]
	s_or_b64 s[4:5], s[12:13], vcc
	v_pk_fma_f32 v[36:37], v[40:41], v[124:125], v[32:33] op_sel:[0,0,1] op_sel_hi:[1,1,0] neg_lo:[0,0,1] neg_hi:[0,0,1]
	v_pk_fma_f32 v[32:33], v[40:41], v[124:125], v[32:33] op_sel:[0,0,1] op_sel_hi:[1,0,0]
	s_and_b64 s[12:13], s[0:1], s[4:5]
	v_mov_b32_e32 v37, v33
	v_pk_mul_f32 v[32:33], v[40:41], v[128:129] op_sel:[0,1]
	ds_write2_b64 v136, v[34:35], v[36:37] offset1:67
	v_pk_fma_f32 v[34:35], v[40:41], v[128:129], v[32:33] op_sel:[0,0,1] op_sel_hi:[1,1,0] neg_lo:[0,0,1] neg_hi:[0,0,1]
	v_pk_fma_f32 v[32:33], v[40:41], v[128:129], v[32:33] op_sel:[0,0,1] op_sel_hi:[1,0,0]
	s_nop 0
	v_mov_b32_e32 v35, v33
	v_pk_mul_f32 v[32:33], v[40:41], v[130:131] op_sel:[0,1]
	s_nop 0
	v_pk_fma_f32 v[36:37], v[40:41], v[130:131], v[32:33] op_sel:[0,0,1] op_sel_hi:[1,1,0] neg_lo:[0,0,1] neg_hi:[0,0,1]
	v_pk_fma_f32 v[32:33], v[40:41], v[130:131], v[32:33] op_sel:[0,0,1] op_sel_hi:[1,0,0]
	s_nop 0
	v_mov_b32_e32 v37, v33
	ds_write2_b64 v136, v[34:35], v[36:37] offset0:134 offset1:201
	ds_read_b128 v[36:39], v134 offset:384
	ds_read_b128 v[32:35], v134 offset:400
	s_waitcnt lgkmcnt(0)
	s_barrier
	ds_read2_b64 v[40:43], v137 offset1:1
	ds_read2_b64 v[20:23], v137 offset0:2 offset1:3
	s_waitcnt lgkmcnt(0)
	s_barrier
	v_pk_add_f32 v[18:19], v[40:41], 0 op_sel_hi:[1,0]
	s_nop 0
	v_pk_add_f32 v[18:19], v[18:19], v[42:43]
	s_nop 0
	v_pk_add_f32 v[18:19], v[18:19], v[20:21]
	;; [unrolled: 2-line block ×3, first 2 shown]
	ds_write2_b64 v141, v[16:17], v[46:47] offset1:16
	ds_write2_b64 v141, v[44:45], v[18:19] offset0:32 offset1:48
	s_waitcnt lgkmcnt(0)
	s_barrier
	s_and_saveexec_b64 s[4:5], s[12:13]
	s_cbranch_execz .LBB183_91
; %bb.146:                              ;   in Loop: Header=BB183_92 Depth=1
	ds_read_b64 v[40:41], v138
	ds_read2_b64 v[16:19], v138 offset0:1 offset1:2
	ds_read2_b64 v[20:23], v138 offset0:3 offset1:4
	v_ashrrev_i32_e32 v99, 31, v98
	v_lshl_add_u64 v[44:45], v[98:99], 3, s[6:7]
	s_waitcnt lgkmcnt(1)
	v_add_f32_e32 v16, v16, v40
	v_add_f32_e32 v17, v17, v41
	;; [unrolled: 1-line block ×4, first 2 shown]
	ds_read2_b64 v[16:19], v138 offset0:5 offset1:6
	s_waitcnt lgkmcnt(1)
	v_add_f32_e32 v20, v40, v20
	v_add_f32_e32 v21, v41, v21
	;; [unrolled: 1-line block ×4, first 2 shown]
	ds_read2_b64 v[20:23], v138 offset0:7 offset1:8
	s_waitcnt lgkmcnt(1)
	v_pk_add_f32 v[16:17], v[40:41], v[16:17]
	ds_read2_b64 v[40:43], v138 offset0:9 offset1:10
	v_pk_add_f32 v[16:17], v[16:17], v[18:19]
	s_waitcnt lgkmcnt(1)
	v_pk_add_f32 v[16:17], v[16:17], v[20:21]
	s_nop 0
	v_pk_add_f32 v[20:21], v[16:17], v[22:23]
	ds_read2_b64 v[16:19], v138 offset0:11 offset1:12
	s_waitcnt lgkmcnt(1)
	v_pk_add_f32 v[40:41], v[20:21], v[40:41]
	ds_read2_b64 v[20:23], v138 offset0:13 offset1:14
	v_pk_add_f32 v[40:41], v[40:41], v[42:43]
	ds_read_b64 v[42:43], v139
	s_waitcnt lgkmcnt(2)
	v_pk_add_f32 v[16:17], v[40:41], v[16:17]
	s_nop 0
	v_pk_add_f32 v[16:17], v[16:17], v[18:19]
	s_waitcnt lgkmcnt(1)
	v_pk_add_f32 v[16:17], v[16:17], v[20:21]
	s_nop 0
	v_pk_add_f32 v[16:17], v[16:17], v[22:23]
	s_waitcnt lgkmcnt(0)
	v_pk_add_f32 v[16:17], v[16:17], v[42:43]
	global_store_dwordx2 v[44:45], v[16:17], off
	s_branch .LBB183_91
.LBB183_147:
	s_movk_i32 s0, 0x218
	v_cmp_gt_i32_e32 vcc, s18, v50
	v_mad_u32_u24 v0, v49, s0, v51
	s_or_b64 s[0:1], s[20:21], vcc
	s_and_b64 s[0:1], s[14:15], s[0:1]
	ds_write_b64 v0, v[52:53]
	s_waitcnt lgkmcnt(0)
	s_barrier
	s_and_saveexec_b64 s[2:3], s[0:1]
	s_cbranch_execz .LBB183_149
; %bb.148:
	ds_read2_b64 v[0:3], v51 offset1:67
	ds_read2_b64 v[4:7], v51 offset0:134 offset1:201
	v_ashrrev_i32_e32 v49, 31, v48
	v_lshl_add_u64 v[8:9], v[48:49], 3, s[6:7]
	s_waitcnt lgkmcnt(1)
	v_pk_add_f32 v[0:1], v[2:3], v[0:1]
	s_waitcnt lgkmcnt(0)
	v_pk_add_f32 v[0:1], v[4:5], v[0:1]
	s_nop 0
	v_pk_add_f32 v[0:1], v[0:1], v[6:7]
	global_store_dwordx2 v[8:9], v[0:1], off
.LBB183_149:
	s_endpgm
	.section	.rodata,"a",@progbits
	.p2align	6, 0x0
	.amdhsa_kernel _ZL26rocblas_hemvn_kernel_upperILb0ELi64ELi4ELi33ELi32ELi16Ei19rocblas_complex_numIfEPKPKS1_PS1_EviT6_lT7_lT5_lS8_lS9_lS7_lT8_i
		.amdhsa_group_segment_fixed_size 9600
		.amdhsa_private_segment_fixed_size 0
		.amdhsa_kernarg_size 376
		.amdhsa_user_sgpr_count 2
		.amdhsa_user_sgpr_dispatch_ptr 0
		.amdhsa_user_sgpr_queue_ptr 0
		.amdhsa_user_sgpr_kernarg_segment_ptr 1
		.amdhsa_user_sgpr_dispatch_id 0
		.amdhsa_user_sgpr_kernarg_preload_length 0
		.amdhsa_user_sgpr_kernarg_preload_offset 0
		.amdhsa_user_sgpr_private_segment_size 0
		.amdhsa_uses_dynamic_stack 0
		.amdhsa_enable_private_segment 0
		.amdhsa_system_sgpr_workgroup_id_x 1
		.amdhsa_system_sgpr_workgroup_id_y 0
		.amdhsa_system_sgpr_workgroup_id_z 1
		.amdhsa_system_sgpr_workgroup_info 0
		.amdhsa_system_vgpr_workitem_id 1
		.amdhsa_next_free_vgpr 160
		.amdhsa_next_free_sgpr 44
		.amdhsa_accum_offset 160
		.amdhsa_reserve_vcc 1
		.amdhsa_float_round_mode_32 0
		.amdhsa_float_round_mode_16_64 0
		.amdhsa_float_denorm_mode_32 3
		.amdhsa_float_denorm_mode_16_64 3
		.amdhsa_dx10_clamp 1
		.amdhsa_ieee_mode 1
		.amdhsa_fp16_overflow 0
		.amdhsa_tg_split 0
		.amdhsa_exception_fp_ieee_invalid_op 0
		.amdhsa_exception_fp_denorm_src 0
		.amdhsa_exception_fp_ieee_div_zero 0
		.amdhsa_exception_fp_ieee_overflow 0
		.amdhsa_exception_fp_ieee_underflow 0
		.amdhsa_exception_fp_ieee_inexact 0
		.amdhsa_exception_int_div_zero 0
	.end_amdhsa_kernel
	.section	.text._ZL26rocblas_hemvn_kernel_upperILb0ELi64ELi4ELi33ELi32ELi16Ei19rocblas_complex_numIfEPKPKS1_PS1_EviT6_lT7_lT5_lS8_lS9_lS7_lT8_i,"axG",@progbits,_ZL26rocblas_hemvn_kernel_upperILb0ELi64ELi4ELi33ELi32ELi16Ei19rocblas_complex_numIfEPKPKS1_PS1_EviT6_lT7_lT5_lS8_lS9_lS7_lT8_i,comdat
.Lfunc_end183:
	.size	_ZL26rocblas_hemvn_kernel_upperILb0ELi64ELi4ELi33ELi32ELi16Ei19rocblas_complex_numIfEPKPKS1_PS1_EviT6_lT7_lT5_lS8_lS9_lS7_lT8_i, .Lfunc_end183-_ZL26rocblas_hemvn_kernel_upperILb0ELi64ELi4ELi33ELi32ELi16Ei19rocblas_complex_numIfEPKPKS1_PS1_EviT6_lT7_lT5_lS8_lS9_lS7_lT8_i
                                        ; -- End function
	.set _ZL26rocblas_hemvn_kernel_upperILb0ELi64ELi4ELi33ELi32ELi16Ei19rocblas_complex_numIfEPKPKS1_PS1_EviT6_lT7_lT5_lS8_lS9_lS7_lT8_i.num_vgpr, 160
	.set _ZL26rocblas_hemvn_kernel_upperILb0ELi64ELi4ELi33ELi32ELi16Ei19rocblas_complex_numIfEPKPKS1_PS1_EviT6_lT7_lT5_lS8_lS9_lS7_lT8_i.num_agpr, 0
	.set _ZL26rocblas_hemvn_kernel_upperILb0ELi64ELi4ELi33ELi32ELi16Ei19rocblas_complex_numIfEPKPKS1_PS1_EviT6_lT7_lT5_lS8_lS9_lS7_lT8_i.numbered_sgpr, 44
	.set _ZL26rocblas_hemvn_kernel_upperILb0ELi64ELi4ELi33ELi32ELi16Ei19rocblas_complex_numIfEPKPKS1_PS1_EviT6_lT7_lT5_lS8_lS9_lS7_lT8_i.num_named_barrier, 0
	.set _ZL26rocblas_hemvn_kernel_upperILb0ELi64ELi4ELi33ELi32ELi16Ei19rocblas_complex_numIfEPKPKS1_PS1_EviT6_lT7_lT5_lS8_lS9_lS7_lT8_i.private_seg_size, 0
	.set _ZL26rocblas_hemvn_kernel_upperILb0ELi64ELi4ELi33ELi32ELi16Ei19rocblas_complex_numIfEPKPKS1_PS1_EviT6_lT7_lT5_lS8_lS9_lS7_lT8_i.uses_vcc, 1
	.set _ZL26rocblas_hemvn_kernel_upperILb0ELi64ELi4ELi33ELi32ELi16Ei19rocblas_complex_numIfEPKPKS1_PS1_EviT6_lT7_lT5_lS8_lS9_lS7_lT8_i.uses_flat_scratch, 0
	.set _ZL26rocblas_hemvn_kernel_upperILb0ELi64ELi4ELi33ELi32ELi16Ei19rocblas_complex_numIfEPKPKS1_PS1_EviT6_lT7_lT5_lS8_lS9_lS7_lT8_i.has_dyn_sized_stack, 0
	.set _ZL26rocblas_hemvn_kernel_upperILb0ELi64ELi4ELi33ELi32ELi16Ei19rocblas_complex_numIfEPKPKS1_PS1_EviT6_lT7_lT5_lS8_lS9_lS7_lT8_i.has_recursion, 0
	.set _ZL26rocblas_hemvn_kernel_upperILb0ELi64ELi4ELi33ELi32ELi16Ei19rocblas_complex_numIfEPKPKS1_PS1_EviT6_lT7_lT5_lS8_lS9_lS7_lT8_i.has_indirect_call, 0
	.section	.AMDGPU.csdata,"",@progbits
; Kernel info:
; codeLenInByte = 8428
; TotalNumSgprs: 50
; NumVgprs: 160
; NumAgprs: 0
; TotalNumVgprs: 160
; ScratchSize: 0
; MemoryBound: 1
; FloatMode: 240
; IeeeMode: 1
; LDSByteSize: 9600 bytes/workgroup (compile time only)
; SGPRBlocks: 6
; VGPRBlocks: 19
; NumSGPRsForWavesPerEU: 50
; NumVGPRsForWavesPerEU: 160
; AccumOffset: 160
; Occupancy: 3
; WaveLimiterHint : 1
; COMPUTE_PGM_RSRC2:SCRATCH_EN: 0
; COMPUTE_PGM_RSRC2:USER_SGPR: 2
; COMPUTE_PGM_RSRC2:TRAP_HANDLER: 0
; COMPUTE_PGM_RSRC2:TGID_X_EN: 1
; COMPUTE_PGM_RSRC2:TGID_Y_EN: 0
; COMPUTE_PGM_RSRC2:TGID_Z_EN: 1
; COMPUTE_PGM_RSRC2:TIDIG_COMP_CNT: 1
; COMPUTE_PGM_RSRC3_GFX90A:ACCUM_OFFSET: 39
; COMPUTE_PGM_RSRC3_GFX90A:TG_SPLIT: 0
	.section	.text._ZL26rocblas_hemvn_kernel_lowerILb0ELi64ELi4ELi33ELi32ELi16ElPK19rocblas_complex_numIfEPKS3_PS1_EviT6_lT7_lT5_lS8_lS9_lS7_lT8_i,"axG",@progbits,_ZL26rocblas_hemvn_kernel_lowerILb0ELi64ELi4ELi33ELi32ELi16ElPK19rocblas_complex_numIfEPKS3_PS1_EviT6_lT7_lT5_lS8_lS9_lS7_lT8_i,comdat
	.globl	_ZL26rocblas_hemvn_kernel_lowerILb0ELi64ELi4ELi33ELi32ELi16ElPK19rocblas_complex_numIfEPKS3_PS1_EviT6_lT7_lT5_lS8_lS9_lS7_lT8_i ; -- Begin function _ZL26rocblas_hemvn_kernel_lowerILb0ELi64ELi4ELi33ELi32ELi16ElPK19rocblas_complex_numIfEPKS3_PS1_EviT6_lT7_lT5_lS8_lS9_lS7_lT8_i
	.p2align	8
	.type	_ZL26rocblas_hemvn_kernel_lowerILb0ELi64ELi4ELi33ELi32ELi16ElPK19rocblas_complex_numIfEPKS3_PS1_EviT6_lT7_lT5_lS8_lS9_lS7_lT8_i,@function
_ZL26rocblas_hemvn_kernel_lowerILb0ELi64ELi4ELi33ELi32ELi16ElPK19rocblas_complex_numIfEPKS3_PS1_EviT6_lT7_lT5_lS8_lS9_lS7_lT8_i: ; @_ZL26rocblas_hemvn_kernel_lowerILb0ELi64ELi4ELi33ELi32ELi16ElPK19rocblas_complex_numIfEPKS3_PS1_EviT6_lT7_lT5_lS8_lS9_lS7_lT8_i
; %bb.0:
	s_load_dwordx2 s[4:5], s[0:1], 0x84
	s_add_u32 s12, s0, 0x78
	s_mov_b32 s26, s3
	s_addc_u32 s13, s1, 0
	s_waitcnt lgkmcnt(0)
	s_and_b32 s3, s5, 0xffff
	s_lshr_b32 s5, s4, 16
	s_and_b32 s4, s4, 0xffff
	s_mul_i32 s4, s5, s4
	s_mul_i32 s4, s4, s3
	s_cmpk_lg_i32 s4, 0x100
	s_cbranch_scc1 .LBB184_98
; %bb.1:
	s_load_dwordx8 s[4:11], s[0:1], 0x8
	s_mov_b32 s27, 0
	s_waitcnt lgkmcnt(0)
	s_mul_i32 s3, s7, s26
	s_mul_hi_u32 s7, s6, s26
	s_add_i32 s7, s7, s3
	s_mul_i32 s6, s6, s26
	s_lshl_b64 s[6:7], s[6:7], 3
	s_add_u32 s14, s4, s6
	s_addc_u32 s15, s5, s7
	s_load_dwordx2 s[16:17], s[14:15], 0x0
	s_load_dwordx2 s[28:29], s[0:1], 0x68
	s_load_dwordx4 s[4:7], s[0:1], 0x58
	s_mov_b64 s[14:15], -1
	s_waitcnt lgkmcnt(0)
	s_or_b32 s3, s16, s17
	s_bitset0_b32 s3, 31
	s_cmp_lg_u32 s3, 0
	s_cbranch_scc1 .LBB184_3
; %bb.2:
	s_mul_i32 s3, s7, s26
	s_mul_hi_u32 s7, s6, s26
	s_add_i32 s7, s7, s3
	s_mul_i32 s6, s6, s26
	s_lshl_b64 s[6:7], s[6:7], 3
	s_add_u32 s4, s4, s6
	s_addc_u32 s5, s5, s7
	s_load_dwordx2 s[6:7], s[4:5], 0x0
	s_mov_b64 s[14:15], 0
	s_waitcnt lgkmcnt(0)
	v_cmp_eq_f32_e64 s[4:5], s6, 1.0
	v_cmp_eq_f32_e64 s[6:7], s7, 0
	s_and_b64 s[4:5], s[4:5], s[6:7]
	s_andn2_b64 vcc, exec, s[4:5]
.LBB184_3:
	s_andn2_b64 vcc, exec, s[14:15]
	s_cbranch_vccnz .LBB184_98
; %bb.4:
	s_load_dword s3, s[12:13], 0x0
	s_load_dwordx4 s[4:7], s[0:1], 0x38
	s_load_dwordx2 s[20:21], s[0:1], 0x48
	s_lshl_b64 s[12:13], s[26:27], 3
	s_add_u32 s8, s8, s12
	s_addc_u32 s9, s9, s13
	s_waitcnt lgkmcnt(0)
	s_add_u32 s12, s4, s12
	s_addc_u32 s13, s5, s13
	s_load_dwordx2 s[14:15], s[12:13], 0x0
	s_load_dwordx2 s[24:25], s[0:1], 0x28
	s_load_dword s27, s[0:1], 0x0
	s_load_dwordx2 s[4:5], s[8:9], 0x0
	s_lshl_b64 s[0:1], s[6:7], 3
	s_waitcnt lgkmcnt(0)
	s_add_u32 s0, s14, s0
	s_addc_u32 s1, s15, s1
	s_ashr_i32 s33, s27, 31
	s_lshr_b32 s7, s33, 26
	s_add_i32 s7, s27, s7
	v_and_b32_e32 v77, 0x3ff, v0
	s_lshl_b32 s34, s2, 6
	s_andn2_b32 s7, s7, 63
	s_add_i32 s6, s3, -1
	s_sub_i32 s7, s27, s7
	v_add_u32_e32 v32, s34, v77
	s_cmp_eq_u32 s2, s6
	v_ashrrev_i32_e32 v33, 31, v32
	v_bfe_u32 v76, v0, 10, 10
	s_cselect_b32 s30, s7, 0
	v_mul_lo_u32 v2, s20, v33
	v_mul_lo_u32 v3, s21, v32
	v_mad_u64_u32 v[0:1], s[6:7], s20, v32, 0
	v_add3_u32 v1, v1, v2, v3
	v_lshl_add_u64 v[16:17], v[0:1], 3, s[0:1]
	v_cmp_ne_u32_e64 s[0:1], 0, v76
	v_cmp_eq_u32_e64 s[16:17], 0, v76
	s_and_saveexec_b64 s[6:7], s[16:17]
	s_cbranch_execz .LBB184_9
; %bb.5:
	s_cmp_lg_u32 s30, 0
	s_cselect_b64 s[8:9], -1, 0
	v_cmp_le_i32_e32 vcc, s30, v77
	v_mov_b32_e32 v0, 0x2380
	s_and_b64 s[8:9], s[8:9], vcc
	v_lshl_add_u32 v0, v77, 3, v0
	s_and_saveexec_b64 s[12:13], s[8:9]
	s_xor_b64 s[8:9], exec, s[12:13]
; %bb.6:
	v_mov_b32_e32 v2, 0
	v_mov_b32_e32 v3, v2
	ds_write_b64 v0, v[2:3]
                                        ; implicit-def: $vgpr0
; %bb.7:
	s_andn2_saveexec_b64 s[8:9], s[8:9]
	s_cbranch_execz .LBB184_9
; %bb.8:
	flat_load_dwordx2 v[2:3], v[16:17]
	s_waitcnt vmcnt(0) lgkmcnt(0)
	ds_write_b64 v0, v[2:3]
.LBB184_9:
	s_or_b64 exec, exec, s[6:7]
	s_lshl_b64 s[6:7], s[10:11], 3
	s_add_u32 s6, s4, s6
	s_addc_u32 s7, s5, s7
	s_ashr_i32 s35, s34, 31
	v_lshl_add_u32 v22, v76, 6, v77
	s_lshl_b64 s[4:5], s[34:35], 3
	v_and_b32_e32 v0, 31, v77
	v_lshrrev_b32_e32 v8, 5, v22
	s_add_u32 s4, s6, s4
	v_mov_b32_e32 v1, 0
	s_addc_u32 s5, s7, s5
	v_mad_u64_u32 v[18:19], s[6:7], s24, v8, v[0:1]
	v_mov_b32_e32 v2, v19
	v_mad_u64_u32 v[2:3], s[6:7], s25, v8, v[2:3]
	v_mov_b32_e32 v19, v2
	v_lshl_add_u64 v[2:3], v[18:19], 3, s[4:5]
	s_mul_hi_u32 s4, s24, s34
	s_mul_i32 s5, s24, s35
	s_add_i32 s4, s4, s5
	s_mul_i32 s5, s25, s34
	s_add_i32 s37, s4, s5
	s_cmp_lg_u32 s30, 0
	s_mul_i32 s36, s24, s34
	s_cselect_b64 s[38:39], -1, 0
	s_cmp_eq_u32 s30, 0
	v_lshl_add_u64 v[2:3], s[36:37], 3, v[2:3]
	s_cselect_b64 s[18:19], -1, 0
	s_mov_b64 s[4:5], -1
	s_and_b64 vcc, exec, s[38:39]
	s_cbranch_vccnz .LBB184_11
; %bb.10:
	s_lshl_b64 s[4:5], s[24:25], 6
	v_lshl_add_u64 v[4:5], v[2:3], 0, s[4:5]
	v_lshl_add_u64 v[6:7], v[4:5], 0, s[4:5]
	;; [unrolled: 1-line block ×3, first 2 shown]
	flat_load_dwordx2 v[12:13], v[2:3]
	flat_load_dwordx2 v[14:15], v[4:5]
	;; [unrolled: 1-line block ×4, first 2 shown]
	v_mul_u32_u24_e32 v1, 0x108, v8
	v_lshl_add_u32 v1, v0, 3, v1
	s_mov_b64 s[4:5], 0
	s_waitcnt vmcnt(0) lgkmcnt(0)
	ds_write_b64 v1, v[12:13]
	ds_write_b64 v1, v[14:15] offset:2112
	ds_write_b64 v1, v[20:21] offset:4224
	ds_write_b64 v1, v[24:25] offset:6336
.LBB184_11:
	s_andn2_b64 vcc, exec, s[4:5]
	s_cbranch_vccnz .LBB184_27
; %bb.12:
	v_lshlrev_b32_e32 v4, 3, v0
	v_sub_co_u32_e32 v6, vcc, v2, v4
	s_ashr_i32 s31, s30, 31
	s_nop 0
	v_subbrev_co_u32_e32 v7, vcc, 0, v3, vcc
	v_lshl_add_u64 v[6:7], s[30:31], 3, v[6:7]
	v_mov_b32_e32 v10, 0
	v_lshl_add_u64 v[6:7], v[6:7], 0, -8
	v_cmp_gt_i32_e32 vcc, s30, v0
	v_cmp_gt_i32_e64 s[4:5], s30, v8
	v_mov_b32_e32 v11, v10
	v_cndmask_b32_e32 v7, v7, v3, vcc
	v_cndmask_b32_e32 v6, v6, v2, vcc
	s_and_saveexec_b64 s[6:7], s[4:5]
	s_cbranch_execz .LBB184_14
; %bb.13:
	flat_load_dwordx2 v[10:11], v[6:7]
.LBB184_14:
	s_or_b64 exec, exec, s[6:7]
	v_lshlrev_b32_e32 v1, 3, v0
	s_movk_i32 s4, 0x108
	v_mad_u32_u24 v9, v8, s4, v1
	s_waitcnt vmcnt(0) lgkmcnt(0)
	ds_write_b64 v9, v[10:11]
	v_add_u32_e32 v9, 8, v8
	v_mul_u32_u24_e32 v5, 0x108, v8
	v_cmp_le_i32_e64 s[4:5], s30, v9
	s_and_saveexec_b64 s[6:7], s[4:5]
	s_xor_b64 s[4:5], exec, s[6:7]
; %bb.15:
	v_mov_b32_e32 v10, 0
	v_add_u32_e32 v9, v5, v1
	v_mov_b32_e32 v11, v10
	ds_write_b64 v9, v[10:11] offset:2112
; %bb.16:
	s_andn2_saveexec_b64 s[4:5], s[4:5]
	s_cbranch_execz .LBB184_18
; %bb.17:
	s_lshl_b64 s[6:7], s[24:25], 6
	v_lshl_add_u64 v[10:11], v[6:7], 0, s[6:7]
	flat_load_dwordx2 v[10:11], v[10:11]
	v_add_u32_e32 v9, v5, v1
	s_waitcnt vmcnt(0) lgkmcnt(0)
	ds_write_b64 v9, v[10:11] offset:2112
.LBB184_18:
	s_or_b64 exec, exec, s[4:5]
	v_add_u32_e32 v9, 16, v8
	v_cmp_le_i32_e64 s[4:5], s30, v9
	s_and_saveexec_b64 s[6:7], s[4:5]
	s_xor_b64 s[4:5], exec, s[6:7]
; %bb.19:
	v_mov_b32_e32 v10, 0
	v_add_u32_e32 v9, v5, v1
	v_mov_b32_e32 v11, v10
	ds_write_b64 v9, v[10:11] offset:4224
; %bb.20:
	s_andn2_saveexec_b64 s[4:5], s[4:5]
	s_cbranch_execz .LBB184_22
; %bb.21:
	s_lshl_b64 s[6:7], s[24:25], 7
	v_lshl_add_u64 v[10:11], v[6:7], 0, s[6:7]
	flat_load_dwordx2 v[10:11], v[10:11]
	v_add_u32_e32 v9, v5, v1
	s_waitcnt vmcnt(0) lgkmcnt(0)
	ds_write_b64 v9, v[10:11] offset:4224
.LBB184_22:
	s_or_b64 exec, exec, s[4:5]
	v_add_u32_e32 v9, 24, v8
	v_cmp_le_i32_e64 s[4:5], s30, v9
	s_and_saveexec_b64 s[6:7], s[4:5]
	s_xor_b64 s[4:5], exec, s[6:7]
; %bb.23:
	v_mov_b32_e32 v10, 0
	v_add_u32_e32 v1, v5, v1
	v_mov_b32_e32 v11, v10
	ds_write_b64 v1, v[10:11] offset:6336
                                        ; implicit-def: $vgpr5
                                        ; implicit-def: $vgpr1
; %bb.24:
	s_andn2_saveexec_b64 s[4:5], s[4:5]
	s_cbranch_execz .LBB184_26
; %bb.25:
	v_mov_b32_e32 v9, 0xc0
	v_mad_u64_u32 v[10:11], s[6:7], s24, v9, v[6:7]
	s_mul_i32 s6, s25, 0xc0
	s_nop 0
	v_add_u32_e32 v11, s6, v11
	flat_load_dwordx2 v[10:11], v[10:11]
	v_add_u32_e32 v1, v5, v1
	s_waitcnt vmcnt(0) lgkmcnt(0)
	ds_write_b64 v1, v[10:11] offset:6336
.LBB184_26:
	s_or_b64 exec, exec, s[4:5]
	v_mov_b32_e32 v5, 0
	v_lshl_add_u64 v[4:5], v[6:7], 0, v[4:5]
	s_lshl_b64 s[4:5], s[30:31], 3
	v_mov_b32_e32 v1, s5
	v_subrev_co_u32_e64 v4, s[4:5], s4, v4
	s_nop 1
	v_subb_co_u32_e64 v5, s[4:5], v5, v1, s[4:5]
	v_lshl_add_u64 v[4:5], v[4:5], 0, 8
	v_cndmask_b32_e32 v3, v5, v3, vcc
	v_cndmask_b32_e32 v2, v4, v2, vcc
.LBB184_27:
	v_lshlrev_b32_e32 v1, 2, v8
	v_lshlrev_b32_e32 v9, 3, v0
	v_lshl_or_b32 v4, v0, 8, v9
	v_cmp_lt_u32_e64 s[6:7], v1, v0
	s_waitcnt lgkmcnt(0)
	s_barrier
	s_and_saveexec_b64 s[4:5], s[6:7]
	s_cbranch_execz .LBB184_29
; %bb.28:
	s_movk_i32 s8, 0x420
	v_mad_u32_u24 v5, v8, s8, v9
	ds_read_b64 v[6:7], v5
	v_lshl_add_u32 v5, v1, 3, v4
	s_waitcnt lgkmcnt(0)
	ds_write_b64 v5, v[6:7]
.LBB184_29:
	s_or_b64 exec, exec, s[4:5]
	v_or_b32_e32 v10, 1, v1
	v_cmp_lt_u32_e64 s[8:9], v10, v0
	s_and_saveexec_b64 s[4:5], s[8:9]
	s_cbranch_execz .LBB184_31
; %bb.30:
	s_movk_i32 s10, 0x108
	v_mad_u32_u24 v5, v10, s10, v9
	ds_read_b64 v[6:7], v5
	v_lshl_add_u32 v5, v1, 3, v4
	s_waitcnt lgkmcnt(0)
	ds_write_b64 v5, v[6:7] offset:8
.LBB184_31:
	s_or_b64 exec, exec, s[4:5]
	v_or_b32_e32 v5, 2, v1
	v_cmp_lt_u32_e64 s[10:11], v5, v0
	s_and_saveexec_b64 s[4:5], s[10:11]
	s_cbranch_execz .LBB184_33
; %bb.32:
	s_movk_i32 s12, 0x108
	v_mad_u32_u24 v5, v5, s12, v9
	ds_read_b64 v[6:7], v5
	v_lshl_add_u32 v5, v1, 3, v4
	s_waitcnt lgkmcnt(0)
	ds_write_b64 v5, v[6:7] offset:16
.LBB184_33:
	s_or_b64 exec, exec, s[4:5]
	v_or_b32_e32 v6, 3, v1
	v_cmp_lt_u32_e64 s[12:13], v6, v0
	v_cmp_ge_u32_e32 vcc, v6, v0
                                        ; implicit-def: $vgpr5
	s_and_saveexec_b64 s[4:5], vcc
	s_xor_b64 s[4:5], exec, s[4:5]
; %bb.34:
	v_mul_u32_u24_e32 v5, 0x108, v6
                                        ; implicit-def: $vgpr4
                                        ; implicit-def: $vgpr6
; %bb.35:
	s_andn2_saveexec_b64 s[4:5], s[4:5]
	s_cbranch_execz .LBB184_37
; %bb.36:
	s_movk_i32 s14, 0x108
	v_mad_u32_u24 v5, v6, s14, v9
	ds_read_b64 v[12:13], v5
	v_lshl_add_u32 v4, v1, 3, v4
	v_mul_u32_u24_e32 v5, 0x108, v6
	s_waitcnt lgkmcnt(0)
	ds_write_b64 v4, v[12:13] offset:24
.LBB184_37:
	s_or_b64 exec, exec, s[4:5]
	s_movk_i32 s4, 0x420
	v_mad_u32_u24 v4, v8, s4, v9
	s_movk_i32 s4, 0x108
	v_mad_u32_u24 v6, v10, s4, v9
	s_waitcnt lgkmcnt(0)
	s_barrier
	v_lshlrev_b32_e32 v12, 3, v1
	ds_read2_b64 v[26:29], v6 offset1:33
	v_add_u32_e32 v11, v9, v5
	ds_read_b64 v[14:15], v4
	ds_read_b128 v[4:7], v12 offset:9088
	ds_read_b64 v[20:21], v11
	ds_read_b128 v[36:39], v12 offset:9104
	v_mul_u32_u24_e32 v13, 33, v0
	v_lshlrev_b32_e32 v23, 3, v13
	v_lshl_add_u32 v24, v8, 3, v23
	s_waitcnt lgkmcnt(2)
	v_pk_mul_f32 v[30:31], v[4:5], v[14:15] op_sel:[1,1] op_sel_hi:[0,1]
	v_pk_fma_f32 v[34:35], v[4:5], v[14:15], v[30:31] neg_lo:[0,0,1] neg_hi:[0,0,1]
	v_pk_fma_f32 v[4:5], v[4:5], v[14:15], v[30:31] op_sel_hi:[1,0,1]
	v_pk_mul_f32 v[14:15], v[6:7], v[26:27] op_sel:[1,1] op_sel_hi:[0,1]
	v_pk_fma_f32 v[30:31], v[6:7], v[26:27], v[14:15] neg_lo:[0,0,1] neg_hi:[0,0,1]
	v_pk_fma_f32 v[6:7], v[6:7], v[26:27], v[14:15] op_sel_hi:[1,0,1]
	v_mov_b32_e32 v35, v5
	v_mov_b32_e32 v31, v7
	s_waitcnt lgkmcnt(0)
	v_pk_mul_f32 v[6:7], v[36:37], v[28:29] op_sel:[1,1] op_sel_hi:[0,1]
	v_pk_add_f32 v[4:5], v[34:35], 0 op_sel_hi:[1,0]
	v_pk_fma_f32 v[14:15], v[36:37], v[28:29], v[6:7] neg_lo:[0,0,1] neg_hi:[0,0,1]
	v_pk_fma_f32 v[6:7], v[36:37], v[28:29], v[6:7] op_sel_hi:[1,0,1]
	v_pk_add_f32 v[4:5], v[4:5], v[30:31]
	v_mov_b32_e32 v15, v7
	v_pk_mul_f32 v[6:7], v[38:39], v[20:21] op_sel:[1,1] op_sel_hi:[0,1]
	v_pk_add_f32 v[4:5], v[4:5], v[14:15]
	v_pk_fma_f32 v[14:15], v[38:39], v[20:21], v[6:7] neg_lo:[0,0,1] neg_hi:[0,0,1]
	v_pk_fma_f32 v[6:7], v[38:39], v[20:21], v[6:7] op_sel_hi:[1,0,1]
	v_mov_b32_e32 v34, 0
	v_mov_b32_e32 v15, v7
	;; [unrolled: 1-line block ×3, first 2 shown]
	v_pk_add_f32 v[4:5], v[4:5], v[14:15]
	v_cmp_gt_u32_e64 s[4:5], 32, v22
	s_barrier
	ds_write_b64 v24, v[4:5]
	s_waitcnt lgkmcnt(0)
	s_barrier
	s_and_saveexec_b64 s[14:15], s[4:5]
	s_cbranch_execz .LBB184_39
; %bb.38:
	ds_read2_b64 v[4:7], v23 offset1:7
	ds_read2_b64 v[26:29], v23 offset0:1 offset1:2
	ds_read2_b64 v[34:37], v23 offset0:3 offset1:4
	s_waitcnt lgkmcnt(1)
	v_add_f32_e32 v4, v26, v4
	v_add_f32_e32 v5, v27, v5
	;; [unrolled: 1-line block ×4, first 2 shown]
	ds_read2_b64 v[26:29], v23 offset0:5 offset1:6
	s_waitcnt lgkmcnt(1)
	v_add_f32_e32 v4, v4, v34
	v_add_f32_e32 v5, v5, v35
	;; [unrolled: 1-line block ×4, first 2 shown]
	s_waitcnt lgkmcnt(0)
	v_add_f32_e32 v4, v4, v26
	v_add_f32_e32 v5, v5, v27
	;; [unrolled: 1-line block ×4, first 2 shown]
	v_pk_add_f32 v[34:35], v[4:5], v[6:7]
.LBB184_39:
	s_or_b64 exec, exec, s[14:15]
	s_lshl_b64 s[22:23], s[24:25], 8
	v_lshl_add_u64 v[6:7], v[2:3], 0, s[22:23]
	v_cndmask_b32_e64 v2, 0, 1, s[18:19]
	s_mov_b64 s[40:41], 0x100
	v_cmp_ne_u32_e64 s[14:15], 1, v2
	s_andn2_b64 vcc, exec, s[18:19]
	s_mov_b64 s[18:19], -1
	s_barrier
	s_cbranch_vccnz .LBB184_41
; %bb.40:
	s_lshl_b64 s[18:19], s[24:25], 6
	v_lshl_add_u64 v[2:3], v[6:7], 0, s[18:19]
	v_lshl_add_u64 v[4:5], v[2:3], 0, s[18:19]
	;; [unrolled: 1-line block ×3, first 2 shown]
	flat_load_dwordx2 v[20:21], v[6:7] offset:256
	flat_load_dwordx2 v[26:27], v[2:3] offset:256
	;; [unrolled: 1-line block ×4, first 2 shown]
	s_movk_i32 s18, 0x108
	v_mad_u32_u24 v2, v8, s18, v9
	s_mov_b64 s[18:19], 0
	s_waitcnt vmcnt(0) lgkmcnt(0)
	ds_write_b64 v2, v[20:21]
	ds_write_b64 v2, v[26:27] offset:2112
	ds_write_b64 v2, v[28:29] offset:4224
	;; [unrolled: 1-line block ×3, first 2 shown]
.LBB184_41:
	s_andn2_b64 vcc, exec, s[18:19]
	v_lshl_add_u64 v[2:3], v[6:7], 0, s[40:41]
	s_cbranch_vccnz .LBB184_57
; %bb.42:
	v_lshlrev_b32_e32 v4, 3, v0
	v_sub_co_u32_e32 v6, vcc, v6, v4
	s_ashr_i32 s31, s30, 31
	s_nop 0
	v_subbrev_co_u32_e32 v7, vcc, 0, v7, vcc
	v_or_b32_e32 v5, 32, v0
	v_lshl_add_u64 v[6:7], s[30:31], 3, v[6:7]
	v_mov_b32_e32 v14, 0
	v_lshl_add_u64 v[6:7], v[6:7], 0, -8
	v_cmp_gt_i32_e32 vcc, s30, v5
	s_sub_i32 s42, s30, 32
	v_cmp_gt_i32_e64 s[18:19], s42, v8
	v_cndmask_b32_e32 v7, v7, v3, vcc
	v_cndmask_b32_e32 v6, v6, v2, vcc
	v_mov_b32_e32 v15, v14
	s_and_saveexec_b64 s[40:41], s[18:19]
	s_cbranch_execz .LBB184_44
; %bb.43:
	flat_load_dwordx2 v[14:15], v[6:7]
.LBB184_44:
	s_or_b64 exec, exec, s[40:41]
	s_movk_i32 s18, 0x108
	v_mad_u32_u24 v13, v8, s18, v9
	s_waitcnt vmcnt(0) lgkmcnt(0)
	ds_write_b64 v13, v[14:15]
	v_add_u32_e32 v13, 8, v8
	v_mul_u32_u24_e32 v5, 0x108, v8
	v_cmp_le_i32_e64 s[18:19], s42, v13
	s_and_saveexec_b64 s[40:41], s[18:19]
	s_xor_b64 s[18:19], exec, s[40:41]
; %bb.45:
	v_mov_b32_e32 v14, 0
	v_add_u32_e32 v13, v5, v9
	v_mov_b32_e32 v15, v14
	ds_write_b64 v13, v[14:15] offset:2112
; %bb.46:
	s_andn2_saveexec_b64 s[18:19], s[18:19]
	s_cbranch_execz .LBB184_48
; %bb.47:
	s_lshl_b64 s[40:41], s[24:25], 6
	v_lshl_add_u64 v[14:15], v[6:7], 0, s[40:41]
	flat_load_dwordx2 v[14:15], v[14:15]
	v_add_u32_e32 v13, v5, v9
	s_waitcnt vmcnt(0) lgkmcnt(0)
	ds_write_b64 v13, v[14:15] offset:2112
.LBB184_48:
	s_or_b64 exec, exec, s[18:19]
	v_add_u32_e32 v13, 16, v8
	v_cmp_le_i32_e64 s[18:19], s42, v13
	s_and_saveexec_b64 s[40:41], s[18:19]
	s_xor_b64 s[18:19], exec, s[40:41]
; %bb.49:
	v_mov_b32_e32 v14, 0
	v_add_u32_e32 v13, v5, v9
	v_mov_b32_e32 v15, v14
	ds_write_b64 v13, v[14:15] offset:4224
; %bb.50:
	s_andn2_saveexec_b64 s[18:19], s[18:19]
	s_cbranch_execz .LBB184_52
; %bb.51:
	s_lshl_b64 s[40:41], s[24:25], 7
	v_lshl_add_u64 v[14:15], v[6:7], 0, s[40:41]
	flat_load_dwordx2 v[14:15], v[14:15]
	v_add_u32_e32 v13, v5, v9
	s_waitcnt vmcnt(0) lgkmcnt(0)
	ds_write_b64 v13, v[14:15] offset:4224
.LBB184_52:
	s_or_b64 exec, exec, s[18:19]
	v_add_u32_e32 v13, 24, v8
	v_cmp_le_i32_e64 s[18:19], s42, v13
	s_and_saveexec_b64 s[40:41], s[18:19]
	s_xor_b64 s[18:19], exec, s[40:41]
; %bb.53:
	v_mov_b32_e32 v14, 0
	v_add_u32_e32 v5, v5, v9
	v_mov_b32_e32 v15, v14
	ds_write_b64 v5, v[14:15] offset:6336
                                        ; implicit-def: $vgpr5
; %bb.54:
	s_andn2_saveexec_b64 s[18:19], s[18:19]
	s_cbranch_execz .LBB184_56
; %bb.55:
	v_mov_b32_e32 v13, 0xc0
	v_mad_u64_u32 v[14:15], s[40:41], s24, v13, v[6:7]
	s_mul_i32 s40, s25, 0xc0
	s_nop 0
	v_add_u32_e32 v15, s40, v15
	flat_load_dwordx2 v[14:15], v[14:15]
	v_add_u32_e32 v5, v5, v9
	s_waitcnt vmcnt(0) lgkmcnt(0)
	ds_write_b64 v5, v[14:15] offset:6336
.LBB184_56:
	s_or_b64 exec, exec, s[18:19]
	v_mov_b32_e32 v5, 0
	v_lshl_add_u64 v[4:5], v[6:7], 0, v[4:5]
	s_lshl_b64 s[18:19], s[30:31], 3
	v_mov_b32_e32 v6, s19
	v_subrev_co_u32_e64 v4, s[18:19], s18, v4
	s_nop 1
	v_subb_co_u32_e64 v5, s[18:19], v5, v6, s[18:19]
	s_mov_b64 s[18:19], 0x108
	s_nop 0
	v_lshl_add_u64 v[4:5], v[4:5], 0, s[18:19]
	v_cndmask_b32_e32 v3, v5, v3, vcc
	v_cndmask_b32_e32 v2, v4, v2, vcc
.LBB184_57:
	v_mul_u32_u24_e32 v5, 0x420, v8
	v_add_u32_e32 v4, 0x2380, v12
	v_mul_u32_u24_e32 v6, 0x108, v10
	s_lshl_b64 s[18:19], s[24:25], 5
	v_add_u32_e32 v5, v9, v5
	s_waitcnt lgkmcnt(0)
	s_barrier
	s_and_saveexec_b64 s[40:41], s[6:7]
	s_cbranch_execnz .LBB184_66
; %bb.58:
	s_or_b64 exec, exec, s[40:41]
	v_add_u32_e32 v6, v9, v6
	s_and_saveexec_b64 s[6:7], s[8:9]
	s_cbranch_execnz .LBB184_67
.LBB184_59:
	s_or_b64 exec, exec, s[6:7]
	s_and_saveexec_b64 s[6:7], s[10:11]
	s_cbranch_execnz .LBB184_68
.LBB184_60:
	s_or_b64 exec, exec, s[6:7]
	s_and_saveexec_b64 s[6:7], s[12:13]
	s_cbranch_execz .LBB184_62
.LBB184_61:
	ds_read_b64 v[12:13], v11
	v_lshl_add_u32 v7, v1, 3, v23
	s_waitcnt lgkmcnt(0)
	ds_write_b64 v7, v[12:13] offset:24
.LBB184_62:
	s_or_b64 exec, exec, s[6:7]
	s_waitcnt lgkmcnt(0)
	s_barrier
	ds_read_b64 v[20:21], v5
	ds_read_b128 v[12:15], v4 offset:256
	ds_read2_b64 v[26:29], v6 offset1:33
	ds_read_b64 v[6:7], v11
	ds_read_b128 v[36:39], v4 offset:272
	v_cmp_eq_u32_e64 s[6:7], 1, v8
	s_waitcnt lgkmcnt(3)
	v_pk_mul_f32 v[10:11], v[12:13], v[20:21] op_sel:[1,1] op_sel_hi:[0,1]
	v_pk_fma_f32 v[30:31], v[12:13], v[20:21], v[10:11] neg_lo:[0,0,1] neg_hi:[0,0,1]
	v_pk_fma_f32 v[10:11], v[12:13], v[20:21], v[10:11] op_sel_hi:[1,0,1]
	s_waitcnt lgkmcnt(2)
	v_pk_mul_f32 v[12:13], v[14:15], v[26:27] op_sel:[1,1] op_sel_hi:[0,1]
	v_pk_fma_f32 v[20:21], v[14:15], v[26:27], v[12:13] neg_lo:[0,0,1] neg_hi:[0,0,1]
	v_pk_fma_f32 v[12:13], v[14:15], v[26:27], v[12:13] op_sel_hi:[1,0,1]
	v_mov_b32_e32 v31, v11
	v_mov_b32_e32 v21, v13
	s_waitcnt lgkmcnt(0)
	v_pk_mul_f32 v[12:13], v[36:37], v[28:29] op_sel:[1,1] op_sel_hi:[0,1]
	v_pk_add_f32 v[10:11], v[30:31], 0 op_sel_hi:[1,0]
	v_pk_fma_f32 v[14:15], v[36:37], v[28:29], v[12:13] neg_lo:[0,0,1] neg_hi:[0,0,1]
	v_pk_fma_f32 v[12:13], v[36:37], v[28:29], v[12:13] op_sel_hi:[1,0,1]
	v_pk_add_f32 v[10:11], v[10:11], v[20:21]
	v_mov_b32_e32 v15, v13
	v_pk_mul_f32 v[12:13], v[38:39], v[6:7] op_sel:[1,1] op_sel_hi:[0,1]
	v_pk_add_f32 v[10:11], v[10:11], v[14:15]
	v_pk_fma_f32 v[14:15], v[38:39], v[6:7], v[12:13] neg_lo:[0,0,1] neg_hi:[0,0,1]
	v_pk_fma_f32 v[6:7], v[38:39], v[6:7], v[12:13] op_sel_hi:[1,0,1]
	s_nop 0
	v_mov_b32_e32 v15, v7
	v_pk_add_f32 v[6:7], v[10:11], v[14:15]
	s_barrier
	ds_write_b64 v24, v[6:7]
	s_waitcnt lgkmcnt(0)
	s_barrier
	s_and_saveexec_b64 s[8:9], s[6:7]
	s_cbranch_execz .LBB184_64
; %bb.63:
	ds_read2_b64 v[10:13], v23 offset1:7
	ds_read2_b64 v[26:29], v23 offset0:1 offset1:2
	ds_read2_b64 v[34:37], v23 offset0:3 offset1:4
	s_waitcnt lgkmcnt(1)
	v_add_f32_e32 v5, v26, v10
	v_add_f32_e32 v6, v27, v11
	;; [unrolled: 1-line block ×4, first 2 shown]
	ds_read2_b64 v[26:29], v23 offset0:5 offset1:6
	s_waitcnt lgkmcnt(1)
	v_add_f32_e32 v5, v5, v34
	v_add_f32_e32 v6, v6, v35
	;; [unrolled: 1-line block ×4, first 2 shown]
	s_waitcnt lgkmcnt(0)
	v_add_f32_e32 v6, v5, v26
	v_add_f32_e32 v7, v7, v27
	v_pk_add_f32 v[6:7], v[6:7], v[28:29]
	s_nop 0
	v_pk_add_f32 v[34:35], v[6:7], v[12:13]
.LBB184_64:
	s_or_b64 exec, exec, s[8:9]
	s_lshl_b64 s[8:9], s[18:19], 3
	v_mov_b32_e32 v5, s9
	v_subrev_co_u32_e64 v20, s[8:9], s8, v2
	s_and_b64 vcc, exec, s[14:15]
	s_nop 0
	v_subb_co_u32_e64 v21, s[8:9], v3, v5, s[8:9]
	s_barrier
	s_cbranch_vccnz .LBB184_69
; %bb.65:
	s_lshl_b64 s[8:9], s[24:25], 6
	v_lshl_add_u64 v[2:3], v[20:21], 0, s[8:9]
	v_lshl_add_u64 v[6:7], v[2:3], 0, s[8:9]
	;; [unrolled: 1-line block ×3, first 2 shown]
	flat_load_dwordx2 v[12:13], v[20:21]
	flat_load_dwordx2 v[14:15], v[2:3]
	;; [unrolled: 1-line block ×4, first 2 shown]
	s_movk_i32 s8, 0x108
	v_mov_b32_e32 v2, 0x840
	v_mov_b32_e32 v3, 0x1080
	;; [unrolled: 1-line block ×3, first 2 shown]
	v_mul_u32_u24_e32 v5, 0x108, v8
	v_add_u32_e32 v6, 8, v8
	v_add_u32_e32 v7, 16, v8
	v_add_u32_e32 v10, 24, v8
	v_mad_u32_u24 v25, v8, s8, v9
	v_mad_u32_u24 v2, v8, s8, v2
	v_mad_u32_u24 v3, v8, s8, v3
	v_mad_u32_u24 v11, v8, s8, v11
	v_add_u32_e32 v30, v9, v2
	v_add_u32_e32 v31, v9, v3
	;; [unrolled: 1-line block ×3, first 2 shown]
	s_waitcnt vmcnt(0) lgkmcnt(0)
	ds_write_b64 v25, v[12:13]
	ds_write_b64 v30, v[14:15]
	;; [unrolled: 1-line block ×4, first 2 shown]
	s_cbranch_execz .LBB184_70
	s_branch .LBB184_85
.LBB184_66:
	ds_read_b64 v[12:13], v5
	v_lshl_add_u32 v7, v1, 3, v23
	s_waitcnt lgkmcnt(0)
	ds_write_b64 v7, v[12:13]
	s_or_b64 exec, exec, s[40:41]
	v_add_u32_e32 v6, v9, v6
	s_and_saveexec_b64 s[6:7], s[8:9]
	s_cbranch_execz .LBB184_59
.LBB184_67:
	ds_read_b64 v[12:13], v6
	v_lshl_add_u32 v7, v1, 3, v23
	s_waitcnt lgkmcnt(0)
	ds_write_b64 v7, v[12:13] offset:8
	s_or_b64 exec, exec, s[6:7]
	s_and_saveexec_b64 s[6:7], s[10:11]
	s_cbranch_execz .LBB184_60
.LBB184_68:
	ds_read_b64 v[12:13], v6 offset:264
	v_lshl_add_u32 v7, v1, 3, v23
	s_waitcnt lgkmcnt(0)
	ds_write_b64 v7, v[12:13] offset:16
	s_or_b64 exec, exec, s[6:7]
	s_and_saveexec_b64 s[6:7], s[12:13]
	s_cbranch_execnz .LBB184_61
	s_branch .LBB184_62
.LBB184_69:
                                        ; implicit-def: $vgpr5
                                        ; implicit-def: $vgpr6
                                        ; implicit-def: $vgpr2
                                        ; implicit-def: $vgpr7
                                        ; implicit-def: $vgpr3
                                        ; implicit-def: $vgpr10
                                        ; implicit-def: $vgpr11
.LBB184_70:
	v_or_b32_e32 v5, 32, v0
	v_lshlrev_b32_e32 v2, 3, v5
	v_sub_co_u32_e32 v2, vcc, v20, v2
	s_ashr_i32 s31, s30, 31
	s_nop 0
	v_subbrev_co_u32_e32 v3, vcc, 0, v21, vcc
	v_lshl_add_u64 v[2:3], s[30:31], 3, v[2:3]
	v_mov_b32_e32 v6, 0
	v_lshl_add_u64 v[2:3], v[2:3], 0, -8
	v_cmp_gt_i32_e32 vcc, s30, v5
	v_cmp_gt_i32_e64 s[8:9], s30, v8
	v_mov_b32_e32 v7, v6
	v_cndmask_b32_e32 v3, v3, v21, vcc
	v_cndmask_b32_e32 v2, v2, v20, vcc
	s_and_saveexec_b64 s[10:11], s[8:9]
	s_cbranch_execz .LBB184_72
; %bb.71:
	flat_load_dwordx2 v[6:7], v[2:3]
.LBB184_72:
	s_or_b64 exec, exec, s[10:11]
	s_movk_i32 s8, 0x108
	v_mad_u32_u24 v10, v8, s8, v9
	s_waitcnt vmcnt(0) lgkmcnt(0)
	ds_write_b64 v10, v[6:7]
	v_add_u32_e32 v6, 8, v8
	v_mul_u32_u24_e32 v5, 0x108, v8
	v_cmp_le_i32_e64 s[8:9], s30, v6
	s_and_saveexec_b64 s[10:11], s[8:9]
	s_xor_b64 s[8:9], exec, s[10:11]
; %bb.73:
	v_mov_b32_e32 v10, 0
	v_add_u32_e32 v7, v5, v9
	v_mov_b32_e32 v11, v10
	ds_write_b64 v7, v[10:11] offset:2112
; %bb.74:
	s_andn2_saveexec_b64 s[8:9], s[8:9]
	s_cbranch_execz .LBB184_76
; %bb.75:
	s_lshl_b64 s[10:11], s[24:25], 6
	v_lshl_add_u64 v[10:11], v[2:3], 0, s[10:11]
	flat_load_dwordx2 v[10:11], v[10:11]
	v_add_u32_e32 v7, v5, v9
	s_waitcnt vmcnt(0) lgkmcnt(0)
	ds_write_b64 v7, v[10:11] offset:2112
.LBB184_76:
	s_or_b64 exec, exec, s[8:9]
	v_add_u32_e32 v7, 16, v8
	v_cmp_le_i32_e64 s[8:9], s30, v7
	s_and_saveexec_b64 s[10:11], s[8:9]
	s_xor_b64 s[8:9], exec, s[10:11]
; %bb.77:
	v_mov_b32_e32 v12, 0
	v_add_u32_e32 v10, v5, v9
	v_mov_b32_e32 v13, v12
	ds_write_b64 v10, v[12:13] offset:4224
; %bb.78:
	s_andn2_saveexec_b64 s[8:9], s[8:9]
	s_cbranch_execz .LBB184_80
; %bb.79:
	s_lshl_b64 s[10:11], s[24:25], 7
	v_lshl_add_u64 v[10:11], v[2:3], 0, s[10:11]
	flat_load_dwordx2 v[10:11], v[10:11]
	v_add_u32_e32 v12, v5, v9
	s_waitcnt vmcnt(0) lgkmcnt(0)
	ds_write_b64 v12, v[10:11] offset:4224
.LBB184_80:
	s_or_b64 exec, exec, s[8:9]
	v_add_u32_e32 v10, 24, v8
	v_cmp_le_i32_e64 s[8:9], s30, v10
                                        ; implicit-def: $vgpr11
	s_and_saveexec_b64 s[10:11], s[8:9]
	s_xor_b64 s[8:9], exec, s[10:11]
; %bb.81:
	v_add_u32_e32 v11, 0x18c0, v5
	v_mov_b32_e32 v14, 0
	v_add_u32_e32 v12, v9, v11
	v_mov_b32_e32 v15, v14
	ds_write_b64 v12, v[14:15]
; %bb.82:
	s_andn2_saveexec_b64 s[8:9], s[8:9]
	s_cbranch_execz .LBB184_84
; %bb.83:
	v_mov_b32_e32 v11, 0xc0
	v_mad_u64_u32 v[12:13], s[10:11], s24, v11, v[2:3]
	s_mul_i32 s10, s25, 0xc0
	s_nop 0
	v_add_u32_e32 v13, s10, v13
	flat_load_dwordx2 v[12:13], v[12:13]
	v_add_u32_e32 v11, 0x18c0, v5
	v_add_u32_e32 v14, v9, v11
	s_waitcnt vmcnt(0) lgkmcnt(0)
	ds_write_b64 v14, v[12:13]
.LBB184_84:
	s_or_b64 exec, exec, s[8:9]
	v_lshlrev_b32_e32 v12, 3, v0
	v_mov_b32_e32 v13, 0
	v_lshl_add_u64 v[2:3], v[2:3], 0, v[12:13]
	s_lshl_b64 s[8:9], s[30:31], 3
	v_mov_b32_e32 v0, s9
	v_subrev_co_u32_e64 v2, s[8:9], s8, v2
	s_nop 1
	v_subb_co_u32_e64 v3, s[8:9], v3, v0, s[8:9]
	s_mov_b64 s[8:9], 0x108
	s_nop 0
	v_lshl_add_u64 v[2:3], v[2:3], 0, s[8:9]
	v_cndmask_b32_e32 v21, v3, v21, vcc
	v_cndmask_b32_e32 v20, v2, v20, vcc
	v_add_u32_e32 v2, 0x840, v5
	v_add_u32_e32 v3, 0x1080, v5
.LBB184_85:
	v_lshlrev_b32_e32 v36, 3, v8
	v_add_u32_e32 v28, v9, v2
	v_lshlrev_b32_e32 v30, 3, v6
	v_add_u32_e32 v38, v9, v3
	;; [unrolled: 2-line block ×3, first 2 shown]
	v_lshlrev_b32_e32 v42, 3, v10
	v_lshl_add_u32 v0, v1, 3, v23
	s_waitcnt lgkmcnt(0)
	s_barrier
	v_add_u32_e32 v25, v9, v5
	ds_read2_b64 v[8:11], v0 offset1:1
	ds_read2_b64 v[0:3], v0 offset0:2 offset1:3
	ds_read_b128 v[12:15], v4 offset:256
	ds_read_b128 v[4:7], v4 offset:272
	ds_read_b64 v[26:27], v25
	ds_read_b64 v[28:29], v28
	ds_read_b64 v[30:31], v30 offset:9088
	ds_read_b64 v[36:37], v36 offset:9088
	ds_read_b64 v[38:39], v38
	ds_read2_b32 v[40:41], v40 offset1:1
	ds_read_b64 v[42:43], v42 offset:9088
	ds_read_b64 v[44:45], v44 offset:9088
	s_waitcnt lgkmcnt(4)
	v_pk_mul_f32 v[46:47], v[36:37], v[26:27] op_sel:[1,1] op_sel_hi:[0,1]
	v_pk_fma_f32 v[48:49], v[36:37], v[26:27], v[46:47] neg_lo:[0,0,1] neg_hi:[0,0,1]
	v_pk_fma_f32 v[26:27], v[36:37], v[26:27], v[46:47] op_sel_hi:[1,0,1]
	v_pk_mul_f32 v[36:37], v[30:31], v[28:29] op_sel:[1,1] op_sel_hi:[0,1]
	v_pk_fma_f32 v[46:47], v[30:31], v[28:29], v[36:37] neg_lo:[0,0,1] neg_hi:[0,0,1]
	v_pk_fma_f32 v[28:29], v[30:31], v[28:29], v[36:37] op_sel_hi:[1,0,1]
	v_mov_b32_e32 v49, v27
	v_mov_b32_e32 v47, v29
	s_waitcnt lgkmcnt(0)
	v_pk_mul_f32 v[28:29], v[44:45], v[38:39] op_sel:[1,1] op_sel_hi:[0,1]
	v_pk_add_f32 v[26:27], v[48:49], 0 op_sel_hi:[1,0]
	v_pk_fma_f32 v[30:31], v[44:45], v[38:39], v[28:29] neg_lo:[0,0,1] neg_hi:[0,0,1]
	v_pk_fma_f32 v[28:29], v[44:45], v[38:39], v[28:29] op_sel_hi:[1,0,1]
	v_pk_add_f32 v[26:27], v[26:27], v[46:47]
	v_mov_b32_e32 v31, v29
	v_pk_mul_f32 v[28:29], v[42:43], v[40:41] op_sel:[1,1] op_sel_hi:[0,1]
	v_pk_add_f32 v[26:27], v[26:27], v[30:31]
	v_pk_fma_f32 v[30:31], v[42:43], v[40:41], v[28:29] neg_lo:[0,0,1] neg_hi:[0,0,1]
	v_pk_fma_f32 v[28:29], v[42:43], v[40:41], v[28:29] op_sel_hi:[1,0,1]
	s_nop 0
	v_mov_b32_e32 v31, v29
	v_pk_add_f32 v[26:27], v[26:27], v[30:31]
	s_barrier
	ds_write_b64 v24, v[26:27]
	s_waitcnt lgkmcnt(0)
	s_barrier
	s_and_saveexec_b64 s[8:9], s[6:7]
	s_cbranch_execz .LBB184_87
; %bb.86:
	ds_read2_b64 v[26:29], v23 offset1:1
	ds_read2_b64 v[36:39], v23 offset0:2 offset1:3
	ds_read2_b64 v[40:43], v23 offset0:4 offset1:5
	s_waitcnt lgkmcnt(2)
	v_pk_add_f32 v[26:27], v[34:35], v[26:27]
	s_nop 0
	v_pk_add_f32 v[30:31], v[26:27], v[28:29]
	ds_read2_b64 v[26:29], v23 offset0:6 offset1:7
	s_waitcnt lgkmcnt(2)
	v_pk_add_f32 v[30:31], v[30:31], v[36:37]
	s_nop 0
	v_pk_add_f32 v[30:31], v[30:31], v[38:39]
	s_waitcnt lgkmcnt(1)
	v_pk_add_f32 v[30:31], v[30:31], v[40:41]
	s_nop 0
	v_pk_add_f32 v[30:31], v[30:31], v[42:43]
	;; [unrolled: 4-line block ×3, first 2 shown]
.LBB184_87:
	s_or_b64 exec, exec, s[8:9]
	v_pk_mul_f32 v[26:27], v[12:13], v[8:9] op_sel:[1,1] op_sel_hi:[0,1]
	v_pk_fma_f32 v[28:29], v[12:13], v[8:9], v[26:27] neg_lo:[0,0,1] neg_hi:[0,0,1]
	v_pk_fma_f32 v[8:9], v[12:13], v[8:9], v[26:27] op_sel_hi:[1,0,1]
	v_mov_b32_e32 v12, v11
	v_pk_mul_f32 v[12:13], v[14:15], v[12:13] op_sel:[1,0] op_sel_hi:[0,0]
	v_pk_fma_f32 v[26:27], v[14:15], v[10:11], v[12:13] neg_lo:[0,0,1] neg_hi:[0,0,1]
	v_pk_fma_f32 v[10:11], v[14:15], v[10:11], v[12:13] op_sel_hi:[1,0,1]
	v_mov_b32_e32 v29, v9
	v_mov_b32_e32 v27, v11
	v_pk_mul_f32 v[10:11], v[4:5], v[0:1] op_sel:[1,1] op_sel_hi:[0,1]
	v_pk_add_f32 v[8:9], v[28:29], 0 op_sel_hi:[1,0]
	v_pk_fma_f32 v[12:13], v[4:5], v[0:1], v[10:11] neg_lo:[0,0,1] neg_hi:[0,0,1]
	v_pk_fma_f32 v[0:1], v[4:5], v[0:1], v[10:11] op_sel_hi:[1,0,1]
	v_mov_b32_e32 v4, v3
	v_pk_add_f32 v[8:9], v[8:9], v[26:27]
	v_mov_b32_e32 v13, v1
	v_pk_mul_f32 v[4:5], v[6:7], v[4:5] op_sel:[1,0] op_sel_hi:[0,0]
	v_pk_add_f32 v[0:1], v[8:9], v[12:13]
	v_pk_fma_f32 v[8:9], v[6:7], v[2:3], v[4:5] neg_lo:[0,0,1] neg_hi:[0,0,1]
	v_pk_fma_f32 v[2:3], v[6:7], v[2:3], v[4:5] op_sel_hi:[1,0,1]
	s_nop 0
	v_mov_b32_e32 v9, v3
	v_pk_add_f32 v[0:1], v[0:1], v[8:9]
	s_barrier
	ds_write_b64 v24, v[0:1]
	s_waitcnt lgkmcnt(0)
	s_barrier
	s_and_saveexec_b64 s[6:7], s[4:5]
	s_cbranch_execz .LBB184_89
; %bb.88:
	ds_read2_b64 v[0:3], v23 offset1:1
	ds_read2_b64 v[4:7], v23 offset0:2 offset1:3
	ds_read2_b64 v[8:11], v23 offset0:4 offset1:5
	s_waitcnt lgkmcnt(2)
	v_pk_add_f32 v[0:1], v[34:35], v[0:1]
	s_nop 0
	v_pk_add_f32 v[12:13], v[0:1], v[2:3]
	ds_read2_b64 v[0:3], v23 offset0:6 offset1:7
	s_waitcnt lgkmcnt(2)
	v_pk_add_f32 v[4:5], v[12:13], v[4:5]
	s_nop 0
	v_pk_add_f32 v[4:5], v[4:5], v[6:7]
	s_waitcnt lgkmcnt(1)
	v_pk_add_f32 v[4:5], v[4:5], v[8:9]
	s_nop 0
	v_pk_add_f32 v[4:5], v[4:5], v[10:11]
	s_waitcnt lgkmcnt(0)
	v_pk_add_f32 v[0:1], v[4:5], v[0:1]
	s_nop 0
	v_pk_add_f32 v[34:35], v[0:1], v[2:3]
.LBB184_89:
	s_or_b64 exec, exec, s[6:7]
	s_mul_hi_u32 s4, s27, s26
	s_mul_i32 s33, s33, s26
	s_add_i32 s4, s4, s33
	s_mul_i32 s6, s27, s26
	s_mul_i32 s4, s4, s3
	s_mul_hi_u32 s5, s6, s3
	s_add_i32 s5, s5, s4
	s_mul_i32 s4, s6, s3
	s_lshl_b64 s[4:5], s[4:5], 3
	s_add_u32 s3, s28, s4
	s_mul_i32 s4, s27, s2
	s_addc_u32 s7, s29, s5
	s_ashr_i32 s5, s4, 31
	s_lshl_b64 s[4:5], s[4:5], 3
	s_add_u32 s6, s3, s4
	v_cmp_le_i32_e32 vcc, s30, v77
	s_addc_u32 s7, s7, s5
	s_and_b64 vcc, s[38:39], vcc
	s_cmp_lt_i32 s2, 1
	v_lshlrev_b32_e32 v36, 3, v77
	s_barrier
	s_cbranch_scc1 .LBB184_96
; %bb.90:
	s_mul_i32 s3, s20, s35
	s_mul_hi_u32 s4, s20, s34
	s_add_i32 s3, s4, s3
	s_mul_i32 s4, s21, s34
	s_add_i32 s5, s3, s4
	s_mul_i32 s4, s20, s34
	s_lshl_b64 s[4:5], s[4:5], 3
	v_mov_b32_e32 v0, s5
	v_subrev_co_u32_e64 v38, s[4:5], s4, v16
	v_lshlrev_b64 v[2:3], 3, v[18:19]
	s_nop 0
	v_subb_co_u32_e64 v39, s[4:5], v17, v0, s[4:5]
	s_lshl_b64 s[4:5], s[36:37], 3
	s_nop 0
	v_mov_b32_e32 v1, s5
	v_subrev_co_u32_e64 v0, s[4:5], s4, v20
	v_lshlrev_b32_e32 v5, 2, v76
	s_nop 0
	v_subb_co_u32_e64 v1, s[4:5], v21, v1, s[4:5]
	s_movk_i32 s4, 0xff00
	s_mov_b32 s5, -1
	v_lshl_add_u64 v[0:1], v[0:1], 0, s[4:5]
	v_sub_co_u32_e64 v0, s[4:5], v0, v2
	s_ashr_i32 s31, s30, 31
	s_nop 0
	v_subb_co_u32_e64 v1, s[4:5], v1, v3, s[4:5]
	v_mad_u64_u32 v[2:3], s[4:5], s24, v5, 0
	v_mov_b32_e32 v4, v3
	v_mad_u64_u32 v[4:5], s[4:5], s25, v5, v[4:5]
	v_mov_b32_e32 v3, v4
	v_lshl_add_u64 v[0:1], v[2:3], 3, v[0:1]
	v_mov_b32_e32 v41, 0
	v_lshl_add_u64 v[2:3], s[30:31], 3, v[0:1]
	v_mov_b32_e32 v37, v41
	v_lshl_add_u64 v[2:3], v[2:3], 0, -8
	v_lshl_add_u64 v[0:1], v[0:1], 0, v[36:37]
	v_cndmask_b32_e32 v43, v1, v3, vcc
	s_movk_i32 s3, 0x860
	v_and_b32_e32 v1, 48, v77
	v_lshrrev_b32_e32 v6, 4, v22
	v_and_b32_e32 v7, 15, v77
	v_cndmask_b32_e32 v42, v0, v2, vcc
	v_mov_b32_e32 v0, 0x2180
	v_mad_u32_u24 v80, v76, s3, v36
	s_movk_i32 s3, 0x218
	v_lshlrev_b32_e32 v1, 3, v1
	v_lshl_add_u32 v78, v76, 5, v0
	v_lshlrev_b32_e32 v0, 5, v6
	v_mad_u32_u24 v82, v7, s3, v1
	v_or_b32_e32 v1, 0x78, v36
	v_mad_u32_u24 v81, v7, s3, v0
	v_mad_u32_u24 v83, v7, s3, v1
	s_mul_i32 s3, s25, 24
	s_mul_hi_u32 s14, s24, 24
	s_add_i32 s15, s14, s3
	s_mul_i32 s3, s25, 0x90
	s_mul_hi_u32 s26, s24, 0x90
	s_add_i32 s27, s26, s3
	;; [unrolled: 3-line block ×9, first 2 shown]
	s_mul_i32 s3, s25, 0x108
	s_mul_hi_u32 s33, s24, 0x108
	v_mul_i32_i24_e32 v0, 0xffffffe8, v6
	s_lshl_b64 s[8:9], s[24:25], 3
	s_lshl_b64 s[10:11], s[24:25], 4
	;; [unrolled: 1-line block ×4, first 2 shown]
	s_add_i32 s45, s33, s3
	s_mul_i32 s3, s25, 0x88
	s_mul_hi_u32 s25, s24, 0x88
	v_add_u32_e32 v37, 0x2180, v36
	v_add_u32_e32 v79, 0x2380, v36
	v_cmp_gt_u32_e64 s[4:5], 64, v22
	s_mul_i32 s14, s24, 24
	s_mul_i32 s26, s24, 0x90
	;; [unrolled: 1-line block ×10, first 2 shown]
	s_add_i32 s25, s25, s3
	s_mulk_i32 s24, 0x88
	s_mov_b32 s3, 0
	v_add_u32_e32 v84, v81, v0
	s_branch .LBB184_92
.LBB184_91:                             ;   in Loop: Header=BB184_92 Depth=1
	s_or_b64 exec, exec, s[46:47]
	v_mul_f32_e32 v40, v5, v51
	v_fma_f32 v40, v4, v50, -v40
	v_add_f32_e32 v34, v34, v40
	v_mul_f32_e32 v40, v7, v49
	v_mul_f32_e32 v5, v5, v50
	v_fma_f32 v40, v6, v48, -v40
	v_mul_f32_e32 v7, v7, v48
	v_add_f32_e32 v34, v34, v40
	v_mul_f32_e32 v40, v1, v47
	v_fmac_f32_e32 v5, v4, v51
	v_fma_f32 v40, v0, v46, -v40
	v_mul_f32_e32 v1, v1, v46
	v_add_f32_e32 v4, v35, v5
	v_fmac_f32_e32 v7, v6, v49
	v_add_f32_e32 v34, v34, v40
	v_mul_f32_e32 v40, v3, v45
	v_mul_f32_e32 v3, v3, v44
	v_add_f32_e32 v4, v4, v7
	v_fmac_f32_e32 v1, v0, v47
	v_add_f32_e32 v0, v4, v1
	v_fmac_f32_e32 v3, v2, v45
	v_fma_f32 v40, v2, v44, -v40
	v_add_f32_e32 v1, v0, v3
	v_mul_f32_e32 v0, v13, v59
	v_add_f32_e32 v34, v34, v40
	v_fma_f32 v0, v12, v58, -v0
	v_mul_f32_e32 v6, v13, v58
	v_mul_f32_e32 v2, v15, v57
	v_add_f32_e32 v0, v34, v0
	v_fma_f32 v2, v14, v56, -v2
	v_mul_f32_e32 v7, v15, v56
	v_fmac_f32_e32 v6, v12, v59
	v_add_f32_e32 v0, v0, v2
	v_mul_f32_e32 v2, v9, v53
	v_mul_f32_e32 v3, v9, v52
	v_add_f32_e32 v1, v1, v6
	v_fmac_f32_e32 v7, v14, v57
	v_fma_f32 v2, v8, v52, -v2
	v_add_f32_e32 v1, v1, v7
	v_fmac_f32_e32 v3, v8, v53
	v_mul_f32_e32 v4, v11, v55
	v_mul_f32_e32 v5, v11, v54
	v_pk_add_f32 v[0:1], v[0:1], v[2:3]
	v_mov_b32_e32 v2, v67
	v_fma_f32 v4, v10, v54, -v4
	v_fmac_f32_e32 v5, v10, v55
	v_pk_mul_f32 v[2:3], v[16:17], v[2:3] op_sel:[1,0] op_sel_hi:[0,0]
	v_pk_add_f32 v[0:1], v[0:1], v[4:5]
	v_pk_fma_f32 v[4:5], v[16:17], v[66:67], v[2:3] neg_lo:[0,0,1] neg_hi:[0,0,1]
	v_pk_fma_f32 v[2:3], v[16:17], v[66:67], v[2:3] op_sel_hi:[1,0,1]
	s_add_i32 s3, s3, 64
	v_mov_b32_e32 v2, v65
	v_mov_b32_e32 v5, v3
	v_pk_mul_f32 v[2:3], v[18:19], v[2:3] op_sel:[1,0] op_sel_hi:[0,0]
	v_pk_add_f32 v[0:1], v[0:1], v[4:5]
	v_pk_fma_f32 v[4:5], v[18:19], v[64:65], v[2:3] neg_lo:[0,0,1] neg_hi:[0,0,1]
	v_pk_fma_f32 v[2:3], v[18:19], v[64:65], v[2:3] op_sel_hi:[1,0,1]
	s_add_i32 s2, s2, -1
	v_mov_b32_e32 v2, v63
	v_mov_b32_e32 v5, v3
	v_pk_mul_f32 v[2:3], v[20:21], v[2:3] op_sel:[1,0] op_sel_hi:[0,0]
	v_pk_add_f32 v[0:1], v[0:1], v[4:5]
	v_pk_fma_f32 v[4:5], v[20:21], v[62:63], v[2:3] neg_lo:[0,0,1] neg_hi:[0,0,1]
	v_pk_fma_f32 v[2:3], v[20:21], v[62:63], v[2:3] op_sel_hi:[1,0,1]
	s_cmp_eq_u32 s2, 0
	v_mov_b32_e32 v2, v61
	v_mov_b32_e32 v5, v3
	v_pk_mul_f32 v[2:3], v[22:23], v[2:3] op_sel:[1,0] op_sel_hi:[0,0]
	v_pk_add_f32 v[0:1], v[0:1], v[4:5]
	v_pk_fma_f32 v[4:5], v[22:23], v[60:61], v[2:3] neg_lo:[0,0,1] neg_hi:[0,0,1]
	v_pk_fma_f32 v[2:3], v[22:23], v[60:61], v[2:3] op_sel_hi:[1,0,1]
	v_lshl_add_u64 v[42:43], v[42:43], 0, s[12:13]
	v_mov_b32_e32 v2, v75
	v_mov_b32_e32 v5, v3
	v_pk_mul_f32 v[2:3], v[24:25], v[2:3] op_sel:[1,0] op_sel_hi:[0,0]
	v_pk_add_f32 v[0:1], v[0:1], v[4:5]
	v_pk_fma_f32 v[4:5], v[24:25], v[74:75], v[2:3] neg_lo:[0,0,1] neg_hi:[0,0,1]
	v_pk_fma_f32 v[2:3], v[24:25], v[74:75], v[2:3] op_sel_hi:[1,0,1]
	s_nop 0
	v_mov_b32_e32 v2, v73
	v_mov_b32_e32 v5, v3
	v_pk_mul_f32 v[2:3], v[26:27], v[2:3] op_sel:[1,0] op_sel_hi:[0,0]
	v_pk_fma_f32 v[6:7], v[26:27], v[72:73], v[2:3] neg_lo:[0,0,1] neg_hi:[0,0,1]
	v_pk_fma_f32 v[2:3], v[26:27], v[72:73], v[2:3] op_sel_hi:[1,0,1]
	v_pk_add_f32 v[0:1], v[0:1], v[4:5]
	v_mov_b32_e32 v2, v71
	v_mov_b32_e32 v7, v3
	v_pk_mul_f32 v[2:3], v[28:29], v[2:3] op_sel:[1,0] op_sel_hi:[0,0]
	v_pk_fma_f32 v[8:9], v[28:29], v[70:71], v[2:3] neg_lo:[0,0,1] neg_hi:[0,0,1]
	v_pk_fma_f32 v[2:3], v[28:29], v[70:71], v[2:3] op_sel_hi:[1,0,1]
	v_pk_add_f32 v[0:1], v[0:1], v[6:7]
	;; [unrolled: 6-line block ×3, first 2 shown]
	v_mov_b32_e32 v11, v3
	v_pk_add_f32 v[34:35], v[0:1], v[10:11]
	s_barrier
	s_cbranch_scc1 .LBB184_96
.LBB184_92:                             ; =>This Inner Loop Header: Depth=1
	s_and_saveexec_b64 s[46:47], s[16:17]
	s_cbranch_execz .LBB184_94
; %bb.93:                               ;   in Loop: Header=BB184_92 Depth=1
	s_mul_i32 s33, s21, s3
	s_mul_hi_u32 s48, s20, s3
	s_add_i32 s49, s48, s33
	s_mul_i32 s48, s20, s3
	v_lshl_add_u64 v[0:1], s[48:49], 3, v[38:39]
	flat_load_dwordx2 v[0:1], v[0:1]
	s_waitcnt vmcnt(0) lgkmcnt(0)
	ds_write_b64 v37, v[0:1]
.LBB184_94:                             ;   in Loop: Header=BB184_92 Depth=1
	s_or_b64 exec, exec, s[46:47]
	v_lshl_add_u64 v[0:1], v[42:43], 0, s[8:9]
	s_waitcnt lgkmcnt(0)
	s_barrier
	flat_load_dwordx2 v[50:51], v[42:43]
	flat_load_dwordx2 v[48:49], v[0:1]
	v_lshl_add_u64 v[0:1], v[42:43], 0, s[10:11]
	flat_load_dwordx2 v[46:47], v[0:1]
	v_lshl_add_u64 v[0:1], v[42:43], 0, s[14:15]
	flat_load_dwordx2 v[44:45], v[0:1]
	ds_read_b64 v[8:9], v79
	ds_read_b128 v[4:7], v78
	ds_read_b128 v[0:3], v78 offset:16
	v_lshl_add_u64 v[10:11], v[42:43], 0, s[18:19]
	v_lshl_add_u64 v[70:71], v[42:43], 0, s[36:37]
	s_waitcnt vmcnt(0) lgkmcnt(0)
	v_mul_f32_e32 v12, v9, v51
	v_mul_f32_e32 v13, v9, v50
	v_mul_f32_e32 v14, v9, v49
	v_mul_f32_e32 v15, v9, v48
	v_mul_f32_e32 v16, v9, v47
	v_mul_f32_e32 v17, v9, v46
	v_mul_f32_e32 v18, v9, v45
	v_mul_f32_e32 v19, v8, v45
	v_fma_f32 v12, v8, v50, -v12
	v_fmac_f32_e32 v13, v8, v51
	v_fma_f32 v14, v8, v48, -v14
	v_fmac_f32_e32 v15, v8, v49
	;; [unrolled: 2-line block ×4, first 2 shown]
	v_lshl_add_u64 v[8:9], v[42:43], 0, s[24:25]
	ds_write2_b64 v80, v[12:13], v[14:15] offset1:67
	ds_write2_b64 v80, v[16:17], v[18:19] offset0:134 offset1:201
	s_waitcnt lgkmcnt(0)
	s_barrier
	ds_read2_b64 v[24:27], v81 offset1:1
	ds_read2_b64 v[28:31], v81 offset0:2 offset1:3
	s_waitcnt lgkmcnt(0)
	s_barrier
	flat_load_dwordx2 v[58:59], v[10:11]
	flat_load_dwordx2 v[56:57], v[8:9]
	v_lshl_add_u64 v[8:9], v[42:43], 0, s[26:27]
	flat_load_dwordx2 v[52:53], v[8:9]
	v_lshl_add_u64 v[8:9], v[42:43], 0, s[28:29]
	flat_load_dwordx2 v[54:55], v[8:9]
	ds_read_b64 v[16:17], v79
	v_lshl_add_u64 v[18:19], v[42:43], 0, s[22:23]
	ds_read_b128 v[12:15], v78 offset:128
	ds_read_b128 v[8:11], v78 offset:144
	v_pk_add_f32 v[24:25], v[24:25], 0 op_sel_hi:[1,0]
	s_waitcnt vmcnt(0) lgkmcnt(0)
	v_mul_f32_e32 v20, v17, v59
	v_mul_f32_e32 v21, v17, v58
	v_mul_f32_e32 v22, v17, v57
	v_mul_f32_e32 v23, v17, v56
	v_mul_f32_e32 v40, v17, v53
	v_mul_f32_e32 v61, v17, v52
	v_mul_f32_e32 v62, v17, v55
	v_mul_f32_e32 v63, v16, v55
	v_fma_f32 v20, v16, v58, -v20
	v_fmac_f32_e32 v21, v16, v59
	v_fma_f32 v22, v16, v56, -v22
	v_fmac_f32_e32 v23, v16, v57
	;; [unrolled: 2-line block ×4, first 2 shown]
	v_lshl_add_u64 v[16:17], v[42:43], 0, s[44:45]
	ds_write2_b64 v80, v[20:21], v[22:23] offset1:67
	ds_write2_b64 v80, v[60:61], v[62:63] offset0:134 offset1:201
	s_waitcnt lgkmcnt(0)
	s_barrier
	ds_read2_b64 v[86:89], v81 offset1:1
	ds_read2_b64 v[90:93], v81 offset0:2 offset1:3
	s_waitcnt lgkmcnt(0)
	s_barrier
	flat_load_dwordx2 v[66:67], v[18:19]
	flat_load_dwordx2 v[64:65], v[16:17]
	v_lshl_add_u64 v[16:17], v[42:43], 0, s[30:31]
	flat_load_dwordx2 v[62:63], v[16:17]
	v_lshl_add_u64 v[16:17], v[42:43], 0, s[34:35]
	flat_load_dwordx2 v[60:61], v[16:17]
	ds_read_b64 v[68:69], v79
	ds_read_b128 v[16:19], v78 offset:256
	ds_read_b128 v[20:23], v78 offset:272
	v_pk_add_f32 v[24:25], v[24:25], v[26:27]
	s_waitcnt vmcnt(0) lgkmcnt(0)
	v_mul_f32_e32 v40, v69, v67
	v_mul_f32_e32 v73, v69, v66
	;; [unrolled: 1-line block ×8, first 2 shown]
	v_fma_f32 v72, v68, v66, -v40
	v_fma_f32 v74, v68, v64, -v74
	;; [unrolled: 1-line block ×4, first 2 shown]
	v_fmac_f32_e32 v73, v68, v67
	v_fmac_f32_e32 v75, v68, v65
	;; [unrolled: 1-line block ×4, first 2 shown]
	v_lshl_add_u64 v[68:69], v[42:43], 0, s[42:43]
	ds_write2_b64 v80, v[72:73], v[74:75] offset1:67
	ds_write2_b64 v80, v[94:95], v[96:97] offset0:134 offset1:201
	s_waitcnt lgkmcnt(0)
	s_barrier
	ds_read2_b64 v[94:97], v81 offset1:1
	ds_read2_b64 v[98:101], v81 offset0:2 offset1:3
	s_waitcnt lgkmcnt(0)
	s_barrier
	flat_load_dwordx2 v[74:75], v[70:71]
	flat_load_dwordx2 v[72:73], v[68:69]
	v_lshl_add_u64 v[68:69], v[42:43], 0, s[38:39]
	flat_load_dwordx2 v[70:71], v[68:69]
	v_lshl_add_u64 v[68:69], v[42:43], 0, s[40:41]
	flat_load_dwordx2 v[68:69], v[68:69]
	v_pk_add_f32 v[24:25], v[24:25], v[28:29]
	s_nop 0
	v_pk_add_f32 v[102:103], v[24:25], v[30:31]
	v_pk_add_f32 v[24:25], v[86:87], 0 op_sel_hi:[1,0]
	s_nop 0
	v_pk_add_f32 v[24:25], v[24:25], v[88:89]
	v_pk_add_f32 v[88:89], v[94:95], 0 op_sel_hi:[1,0]
	v_pk_add_f32 v[24:25], v[24:25], v[90:91]
	v_pk_add_f32 v[88:89], v[88:89], v[96:97]
	;; [unrolled: 1-line block ×3, first 2 shown]
	ds_read_b64 v[86:87], v79
	ds_read_b128 v[24:27], v78 offset:384
	ds_read_b128 v[28:31], v78 offset:400
	v_pk_add_f32 v[88:89], v[88:89], v[98:99]
	s_waitcnt vmcnt(0) lgkmcnt(0)
	v_mul_f32_e32 v40, v87, v75
	v_pk_add_f32 v[94:95], v[88:89], v[100:101]
	v_mul_f32_e32 v89, v87, v74
	v_mul_f32_e32 v85, v87, v73
	;; [unrolled: 1-line block ×7, first 2 shown]
	v_fma_f32 v88, v86, v74, -v40
	v_fma_f32 v90, v86, v72, -v85
	v_fmac_f32_e32 v89, v86, v75
	v_fmac_f32_e32 v91, v86, v73
	v_fma_f32 v92, v86, v70, -v92
	v_fmac_f32_e32 v93, v86, v71
	v_fma_f32 v96, v86, v68, -v96
	v_fmac_f32_e32 v97, v87, v68
	ds_write2_b64 v80, v[88:89], v[90:91] offset1:67
	ds_write2_b64 v80, v[92:93], v[96:97] offset0:134 offset1:201
	s_waitcnt lgkmcnt(0)
	s_barrier
	ds_read2_b64 v[86:89], v81 offset1:1
	ds_read2_b64 v[90:93], v81 offset0:2 offset1:3
	s_waitcnt lgkmcnt(0)
	s_barrier
	v_pk_add_f32 v[86:87], v[86:87], 0 op_sel_hi:[1,0]
	ds_write2_b64 v84, v[102:103], v[104:105] offset1:16
	v_pk_add_f32 v[86:87], v[86:87], v[88:89]
	s_nop 0
	v_pk_add_f32 v[86:87], v[86:87], v[90:91]
	s_nop 0
	v_pk_add_f32 v[86:87], v[86:87], v[92:93]
	ds_write2_b64 v84, v[94:95], v[86:87] offset0:32 offset1:48
	s_waitcnt lgkmcnt(0)
	s_barrier
	s_and_saveexec_b64 s[46:47], s[4:5]
	s_cbranch_execz .LBB184_91
; %bb.95:                               ;   in Loop: Header=BB184_92 Depth=1
	ds_read_b64 v[94:95], v82
	ds_read2_b64 v[86:89], v82 offset0:1 offset1:2
	ds_read2_b64 v[90:93], v82 offset0:3 offset1:4
	s_waitcnt lgkmcnt(1)
	v_add_f32_e32 v40, v86, v94
	v_add_f32_e32 v85, v87, v95
	;; [unrolled: 1-line block ×4, first 2 shown]
	ds_read2_b64 v[86:89], v82 offset0:5 offset1:6
	s_waitcnt lgkmcnt(1)
	v_add_f32_e32 v40, v40, v90
	v_add_f32_e32 v85, v85, v91
	;; [unrolled: 1-line block ×4, first 2 shown]
	ds_read2_b64 v[90:93], v82 offset0:7 offset1:8
	s_waitcnt lgkmcnt(1)
	v_pk_add_f32 v[86:87], v[94:95], v[86:87]
	ds_read2_b64 v[94:97], v82 offset0:9 offset1:10
	v_pk_add_f32 v[86:87], v[86:87], v[88:89]
	v_add_u32_e32 v40, s3, v77
	s_waitcnt lgkmcnt(1)
	v_pk_add_f32 v[86:87], v[86:87], v[90:91]
	v_lshl_add_u64 v[98:99], v[40:41], 3, s[6:7]
	v_pk_add_f32 v[90:91], v[86:87], v[92:93]
	ds_read2_b64 v[86:89], v82 offset0:11 offset1:12
	s_waitcnt lgkmcnt(1)
	v_pk_add_f32 v[94:95], v[90:91], v[94:95]
	ds_read2_b64 v[90:93], v82 offset0:13 offset1:14
	v_pk_add_f32 v[94:95], v[94:95], v[96:97]
	ds_read_b64 v[96:97], v83
	s_waitcnt lgkmcnt(2)
	v_pk_add_f32 v[86:87], v[94:95], v[86:87]
	s_nop 0
	v_pk_add_f32 v[86:87], v[86:87], v[88:89]
	s_waitcnt lgkmcnt(1)
	v_pk_add_f32 v[86:87], v[86:87], v[90:91]
	s_nop 0
	v_pk_add_f32 v[86:87], v[86:87], v[92:93]
	s_waitcnt lgkmcnt(0)
	v_pk_add_f32 v[86:87], v[86:87], v[96:97]
	global_store_dwordx2 v[98:99], v[86:87], off
	s_branch .LBB184_91
.LBB184_96:
	s_movk_i32 s2, 0x218
	v_mad_u32_u24 v0, v76, s2, v36
	s_nor_b64 s[0:1], s[0:1], vcc
	ds_write_b64 v0, v[34:35]
	s_waitcnt lgkmcnt(0)
	s_barrier
	s_and_saveexec_b64 s[2:3], s[0:1]
	s_cbranch_execz .LBB184_98
; %bb.97:
	ds_read2_b64 v[0:3], v36 offset1:67
	ds_read2_b64 v[4:7], v36 offset0:134 offset1:201
	v_lshl_add_u64 v[8:9], v[32:33], 3, s[6:7]
	s_waitcnt lgkmcnt(1)
	v_pk_add_f32 v[0:1], v[2:3], v[0:1]
	s_waitcnt lgkmcnt(0)
	v_pk_add_f32 v[0:1], v[4:5], v[0:1]
	s_nop 0
	v_pk_add_f32 v[0:1], v[0:1], v[6:7]
	global_store_dwordx2 v[8:9], v[0:1], off
.LBB184_98:
	s_endpgm
	.section	.rodata,"a",@progbits
	.p2align	6, 0x0
	.amdhsa_kernel _ZL26rocblas_hemvn_kernel_lowerILb0ELi64ELi4ELi33ELi32ELi16ElPK19rocblas_complex_numIfEPKS3_PS1_EviT6_lT7_lT5_lS8_lS9_lS7_lT8_i
		.amdhsa_group_segment_fixed_size 9600
		.amdhsa_private_segment_fixed_size 0
		.amdhsa_kernarg_size 376
		.amdhsa_user_sgpr_count 2
		.amdhsa_user_sgpr_dispatch_ptr 0
		.amdhsa_user_sgpr_queue_ptr 0
		.amdhsa_user_sgpr_kernarg_segment_ptr 1
		.amdhsa_user_sgpr_dispatch_id 0
		.amdhsa_user_sgpr_kernarg_preload_length 0
		.amdhsa_user_sgpr_kernarg_preload_offset 0
		.amdhsa_user_sgpr_private_segment_size 0
		.amdhsa_uses_dynamic_stack 0
		.amdhsa_enable_private_segment 0
		.amdhsa_system_sgpr_workgroup_id_x 1
		.amdhsa_system_sgpr_workgroup_id_y 0
		.amdhsa_system_sgpr_workgroup_id_z 1
		.amdhsa_system_sgpr_workgroup_info 0
		.amdhsa_system_vgpr_workitem_id 1
		.amdhsa_next_free_vgpr 106
		.amdhsa_next_free_sgpr 50
		.amdhsa_accum_offset 108
		.amdhsa_reserve_vcc 1
		.amdhsa_float_round_mode_32 0
		.amdhsa_float_round_mode_16_64 0
		.amdhsa_float_denorm_mode_32 3
		.amdhsa_float_denorm_mode_16_64 3
		.amdhsa_dx10_clamp 1
		.amdhsa_ieee_mode 1
		.amdhsa_fp16_overflow 0
		.amdhsa_tg_split 0
		.amdhsa_exception_fp_ieee_invalid_op 0
		.amdhsa_exception_fp_denorm_src 0
		.amdhsa_exception_fp_ieee_div_zero 0
		.amdhsa_exception_fp_ieee_overflow 0
		.amdhsa_exception_fp_ieee_underflow 0
		.amdhsa_exception_fp_ieee_inexact 0
		.amdhsa_exception_int_div_zero 0
	.end_amdhsa_kernel
	.section	.text._ZL26rocblas_hemvn_kernel_lowerILb0ELi64ELi4ELi33ELi32ELi16ElPK19rocblas_complex_numIfEPKS3_PS1_EviT6_lT7_lT5_lS8_lS9_lS7_lT8_i,"axG",@progbits,_ZL26rocblas_hemvn_kernel_lowerILb0ELi64ELi4ELi33ELi32ELi16ElPK19rocblas_complex_numIfEPKS3_PS1_EviT6_lT7_lT5_lS8_lS9_lS7_lT8_i,comdat
.Lfunc_end184:
	.size	_ZL26rocblas_hemvn_kernel_lowerILb0ELi64ELi4ELi33ELi32ELi16ElPK19rocblas_complex_numIfEPKS3_PS1_EviT6_lT7_lT5_lS8_lS9_lS7_lT8_i, .Lfunc_end184-_ZL26rocblas_hemvn_kernel_lowerILb0ELi64ELi4ELi33ELi32ELi16ElPK19rocblas_complex_numIfEPKS3_PS1_EviT6_lT7_lT5_lS8_lS9_lS7_lT8_i
                                        ; -- End function
	.set _ZL26rocblas_hemvn_kernel_lowerILb0ELi64ELi4ELi33ELi32ELi16ElPK19rocblas_complex_numIfEPKS3_PS1_EviT6_lT7_lT5_lS8_lS9_lS7_lT8_i.num_vgpr, 106
	.set _ZL26rocblas_hemvn_kernel_lowerILb0ELi64ELi4ELi33ELi32ELi16ElPK19rocblas_complex_numIfEPKS3_PS1_EviT6_lT7_lT5_lS8_lS9_lS7_lT8_i.num_agpr, 0
	.set _ZL26rocblas_hemvn_kernel_lowerILb0ELi64ELi4ELi33ELi32ELi16ElPK19rocblas_complex_numIfEPKS3_PS1_EviT6_lT7_lT5_lS8_lS9_lS7_lT8_i.numbered_sgpr, 50
	.set _ZL26rocblas_hemvn_kernel_lowerILb0ELi64ELi4ELi33ELi32ELi16ElPK19rocblas_complex_numIfEPKS3_PS1_EviT6_lT7_lT5_lS8_lS9_lS7_lT8_i.num_named_barrier, 0
	.set _ZL26rocblas_hemvn_kernel_lowerILb0ELi64ELi4ELi33ELi32ELi16ElPK19rocblas_complex_numIfEPKS3_PS1_EviT6_lT7_lT5_lS8_lS9_lS7_lT8_i.private_seg_size, 0
	.set _ZL26rocblas_hemvn_kernel_lowerILb0ELi64ELi4ELi33ELi32ELi16ElPK19rocblas_complex_numIfEPKS3_PS1_EviT6_lT7_lT5_lS8_lS9_lS7_lT8_i.uses_vcc, 1
	.set _ZL26rocblas_hemvn_kernel_lowerILb0ELi64ELi4ELi33ELi32ELi16ElPK19rocblas_complex_numIfEPKS3_PS1_EviT6_lT7_lT5_lS8_lS9_lS7_lT8_i.uses_flat_scratch, 0
	.set _ZL26rocblas_hemvn_kernel_lowerILb0ELi64ELi4ELi33ELi32ELi16ElPK19rocblas_complex_numIfEPKS3_PS1_EviT6_lT7_lT5_lS8_lS9_lS7_lT8_i.has_dyn_sized_stack, 0
	.set _ZL26rocblas_hemvn_kernel_lowerILb0ELi64ELi4ELi33ELi32ELi16ElPK19rocblas_complex_numIfEPKS3_PS1_EviT6_lT7_lT5_lS8_lS9_lS7_lT8_i.has_recursion, 0
	.set _ZL26rocblas_hemvn_kernel_lowerILb0ELi64ELi4ELi33ELi32ELi16ElPK19rocblas_complex_numIfEPKS3_PS1_EviT6_lT7_lT5_lS8_lS9_lS7_lT8_i.has_indirect_call, 0
	.section	.AMDGPU.csdata,"",@progbits
; Kernel info:
; codeLenInByte = 7532
; TotalNumSgprs: 56
; NumVgprs: 106
; NumAgprs: 0
; TotalNumVgprs: 106
; ScratchSize: 0
; MemoryBound: 1
; FloatMode: 240
; IeeeMode: 1
; LDSByteSize: 9600 bytes/workgroup (compile time only)
; SGPRBlocks: 6
; VGPRBlocks: 13
; NumSGPRsForWavesPerEU: 56
; NumVGPRsForWavesPerEU: 106
; AccumOffset: 108
; Occupancy: 4
; WaveLimiterHint : 1
; COMPUTE_PGM_RSRC2:SCRATCH_EN: 0
; COMPUTE_PGM_RSRC2:USER_SGPR: 2
; COMPUTE_PGM_RSRC2:TRAP_HANDLER: 0
; COMPUTE_PGM_RSRC2:TGID_X_EN: 1
; COMPUTE_PGM_RSRC2:TGID_Y_EN: 0
; COMPUTE_PGM_RSRC2:TGID_Z_EN: 1
; COMPUTE_PGM_RSRC2:TIDIG_COMP_CNT: 1
; COMPUTE_PGM_RSRC3_GFX90A:ACCUM_OFFSET: 26
; COMPUTE_PGM_RSRC3_GFX90A:TG_SPLIT: 0
	.section	.text._ZL26rocblas_hemvn_kernel_lowerILb0ELi64ELi4ELi33ELi32ELi16EiPK19rocblas_complex_numIfEPKS3_PS1_EviT6_lT7_lT5_lS8_lS9_lS7_lT8_i,"axG",@progbits,_ZL26rocblas_hemvn_kernel_lowerILb0ELi64ELi4ELi33ELi32ELi16EiPK19rocblas_complex_numIfEPKS3_PS1_EviT6_lT7_lT5_lS8_lS9_lS7_lT8_i,comdat
	.globl	_ZL26rocblas_hemvn_kernel_lowerILb0ELi64ELi4ELi33ELi32ELi16EiPK19rocblas_complex_numIfEPKS3_PS1_EviT6_lT7_lT5_lS8_lS9_lS7_lT8_i ; -- Begin function _ZL26rocblas_hemvn_kernel_lowerILb0ELi64ELi4ELi33ELi32ELi16EiPK19rocblas_complex_numIfEPKS3_PS1_EviT6_lT7_lT5_lS8_lS9_lS7_lT8_i
	.p2align	8
	.type	_ZL26rocblas_hemvn_kernel_lowerILb0ELi64ELi4ELi33ELi32ELi16EiPK19rocblas_complex_numIfEPKS3_PS1_EviT6_lT7_lT5_lS8_lS9_lS7_lT8_i,@function
_ZL26rocblas_hemvn_kernel_lowerILb0ELi64ELi4ELi33ELi32ELi16EiPK19rocblas_complex_numIfEPKS3_PS1_EviT6_lT7_lT5_lS8_lS9_lS7_lT8_i: ; @_ZL26rocblas_hemvn_kernel_lowerILb0ELi64ELi4ELi33ELi32ELi16EiPK19rocblas_complex_numIfEPKS3_PS1_EviT6_lT7_lT5_lS8_lS9_lS7_lT8_i
; %bb.0:
	s_load_dwordx2 s[4:5], s[0:1], 0x84
	s_add_u32 s12, s0, 0x78
	s_mov_b32 s20, s3
	s_addc_u32 s13, s1, 0
	s_waitcnt lgkmcnt(0)
	s_and_b32 s3, s5, 0xffff
	s_lshr_b32 s5, s4, 16
	s_and_b32 s4, s4, 0xffff
	s_mul_i32 s4, s5, s4
	s_mul_i32 s4, s4, s3
	s_cmpk_lg_i32 s4, 0x100
	s_cbranch_scc1 .LBB185_98
; %bb.1:
	s_load_dwordx8 s[4:11], s[0:1], 0x8
	s_mov_b32 s21, 0
	s_waitcnt lgkmcnt(0)
	s_mul_i32 s3, s7, s20
	s_mul_hi_u32 s7, s6, s20
	s_add_i32 s7, s7, s3
	s_mul_i32 s6, s6, s20
	s_lshl_b64 s[6:7], s[6:7], 3
	s_add_u32 s14, s4, s6
	s_addc_u32 s15, s5, s7
	s_load_dwordx2 s[16:17], s[14:15], 0x0
	s_load_dwordx2 s[22:23], s[0:1], 0x68
	s_load_dwordx4 s[4:7], s[0:1], 0x58
	s_mov_b64 s[14:15], -1
	s_waitcnt lgkmcnt(0)
	s_or_b32 s3, s16, s17
	s_bitset0_b32 s3, 31
	s_cmp_lg_u32 s3, 0
	s_cbranch_scc1 .LBB185_3
; %bb.2:
	s_mul_i32 s3, s7, s20
	s_mul_hi_u32 s7, s6, s20
	s_add_i32 s7, s7, s3
	s_mul_i32 s6, s6, s20
	s_lshl_b64 s[6:7], s[6:7], 3
	s_add_u32 s4, s4, s6
	s_addc_u32 s5, s5, s7
	s_load_dwordx2 s[6:7], s[4:5], 0x0
	s_mov_b64 s[14:15], 0
	s_waitcnt lgkmcnt(0)
	v_cmp_eq_f32_e64 s[4:5], s6, 1.0
	v_cmp_eq_f32_e64 s[6:7], s7, 0
	s_and_b64 s[4:5], s[4:5], s[6:7]
	s_andn2_b64 vcc, exec, s[4:5]
.LBB185_3:
	s_andn2_b64 vcc, exec, s[14:15]
	s_cbranch_vccnz .LBB185_98
; %bb.4:
	s_load_dwordx4 s[4:7], s[0:1], 0x38
	s_load_dword s3, s[0:1], 0x48
	s_lshl_b64 s[14:15], s[20:21], 3
	s_add_u32 s8, s8, s14
	s_addc_u32 s9, s9, s15
	s_waitcnt lgkmcnt(0)
	s_add_u32 s14, s4, s14
	s_addc_u32 s15, s5, s15
	s_load_dwordx2 s[16:17], s[14:15], 0x0
	s_load_dword s21, s[0:1], 0x0
	s_load_dword s33, s[12:13], 0x0
	s_load_dwordx2 s[4:5], s[8:9], 0x0
	s_lshl_b64 s[6:7], s[6:7], 3
	s_waitcnt lgkmcnt(0)
	s_add_u32 s6, s16, s6
	s_addc_u32 s7, s17, s7
	s_ashr_i32 s40, s21, 31
	s_lshr_b32 s9, s40, 26
	v_and_b32_e32 v34, 0x3ff, v0
	s_lshl_b32 s28, s2, 6
	s_add_i32 s9, s21, s9
	s_andn2_b32 s9, s9, 63
	v_add_u32_e32 v32, s28, v34
	v_bfe_u32 v33, v0, 10, 10
	s_add_i32 s8, s33, -1
	s_sub_i32 s9, s21, s9
	v_mul_lo_u32 v0, s3, v32
	s_cmp_eq_u32 s2, s8
	v_ashrrev_i32_e32 v1, 31, v0
	s_cselect_b32 s26, s9, 0
	v_lshl_add_u64 v[16:17], v[0:1], 3, s[6:7]
	v_cmp_ne_u32_e64 s[16:17], 0, v33
	v_cmp_eq_u32_e64 s[18:19], 0, v33
	s_and_saveexec_b64 s[6:7], s[18:19]
	s_cbranch_execz .LBB185_9
; %bb.5:
	s_cmp_lg_u32 s26, 0
	s_cselect_b64 s[8:9], -1, 0
	v_cmp_le_i32_e32 vcc, s26, v34
	v_mov_b32_e32 v0, 0x2380
	s_and_b64 s[8:9], s[8:9], vcc
	v_lshl_add_u32 v0, v34, 3, v0
	s_and_saveexec_b64 s[12:13], s[8:9]
	s_xor_b64 s[8:9], exec, s[12:13]
; %bb.6:
	v_mov_b32_e32 v2, 0
	v_mov_b32_e32 v3, v2
	ds_write_b64 v0, v[2:3]
                                        ; implicit-def: $vgpr0
; %bb.7:
	s_andn2_saveexec_b64 s[8:9], s[8:9]
	s_cbranch_execz .LBB185_9
; %bb.8:
	flat_load_dwordx2 v[2:3], v[16:17]
	s_waitcnt vmcnt(0) lgkmcnt(0)
	ds_write_b64 v0, v[2:3]
.LBB185_9:
	s_or_b64 exec, exec, s[6:7]
	s_load_dword s24, s[0:1], 0x28
	s_lshl_b64 s[6:7], s[10:11], 3
	s_add_u32 s4, s4, s6
	s_addc_u32 s5, s5, s7
	s_ashr_i32 s29, s28, 31
	v_lshl_add_u32 v22, v33, 6, v34
	s_lshl_b64 s[0:1], s[28:29], 3
	v_and_b32_e32 v2, 31, v34
	v_lshrrev_b32_e32 v8, 5, v22
	s_add_u32 s0, s4, s0
	s_waitcnt lgkmcnt(0)
	s_mul_i32 s30, s24, s28
	s_addc_u32 s1, s5, s1
	v_mad_u64_u32 v[18:19], s[4:5], s24, v8, v[2:3]
	s_ashr_i32 s31, s30, 31
	v_ashrrev_i32_e32 v19, 31, v18
	s_cmp_lg_u32 s26, 0
	v_lshl_add_u64 v[0:1], v[18:19], 3, s[0:1]
	s_cselect_b64 s[34:35], -1, 0
	s_cmp_eq_u32 s26, 0
	v_lshl_add_u64 v[4:5], s[30:31], 3, v[0:1]
	s_cselect_b64 s[36:37], -1, 0
	s_mov_b64 s[0:1], -1
	s_and_b64 vcc, exec, s[34:35]
	s_cbranch_vccnz .LBB185_11
; %bb.10:
	s_lshl_b32 s0, s24, 3
	s_ashr_i32 s1, s0, 31
	s_ashr_i32 s25, s24, 31
	v_lshl_add_u64 v[0:1], s[0:1], 3, v[4:5]
	s_lshl_b64 s[0:1], s[24:25], 6
	v_lshl_add_u64 v[6:7], v[0:1], 0, s[0:1]
	v_lshl_add_u64 v[10:11], v[6:7], 0, s[0:1]
	flat_load_dwordx2 v[12:13], v[4:5]
	flat_load_dwordx2 v[14:15], v[0:1]
	;; [unrolled: 1-line block ×4, first 2 shown]
	v_mul_u32_u24_e32 v0, 0x108, v8
	v_lshl_add_u32 v0, v2, 3, v0
	s_mov_b64 s[0:1], 0
	s_waitcnt vmcnt(0) lgkmcnt(0)
	ds_write_b64 v0, v[12:13]
	ds_write_b64 v0, v[14:15] offset:2112
	ds_write_b64 v0, v[20:21] offset:4224
	ds_write_b64 v0, v[24:25] offset:6336
.LBB185_11:
	s_andn2_b64 vcc, exec, s[0:1]
	v_lshlrev_b32_e32 v0, 3, v2
	s_cbranch_vccnz .LBB185_27
; %bb.12:
	v_sub_co_u32_e32 v6, vcc, v4, v0
	s_ashr_i32 s27, s26, 31
	s_nop 0
	v_subbrev_co_u32_e32 v7, vcc, 0, v5, vcc
	v_lshl_add_u64 v[6:7], s[26:27], 3, v[6:7]
	v_mov_b32_e32 v10, 0
	v_lshl_add_u64 v[6:7], v[6:7], 0, -8
	v_cmp_gt_i32_e32 vcc, s26, v2
	v_cmp_gt_i32_e64 s[0:1], s26, v8
	v_mov_b32_e32 v11, v10
	v_cndmask_b32_e32 v7, v7, v5, vcc
	v_cndmask_b32_e32 v6, v6, v4, vcc
	s_and_saveexec_b64 s[4:5], s[0:1]
	s_cbranch_execz .LBB185_14
; %bb.13:
	flat_load_dwordx2 v[10:11], v[6:7]
.LBB185_14:
	s_or_b64 exec, exec, s[4:5]
	s_movk_i32 s0, 0x108
	v_mad_u32_u24 v3, v8, s0, v0
	s_waitcnt vmcnt(0) lgkmcnt(0)
	ds_write_b64 v3, v[10:11]
	v_add_u32_e32 v3, 8, v8
	v_mul_u32_u24_e32 v1, 0x108, v8
	v_cmp_le_i32_e64 s[0:1], s26, v3
	s_and_saveexec_b64 s[4:5], s[0:1]
	s_xor_b64 s[0:1], exec, s[4:5]
; %bb.15:
	v_mov_b32_e32 v10, 0
	v_add_u32_e32 v3, v1, v0
	v_mov_b32_e32 v11, v10
	ds_write_b64 v3, v[10:11] offset:2112
; %bb.16:
	s_andn2_saveexec_b64 s[0:1], s[0:1]
	s_cbranch_execz .LBB185_18
; %bb.17:
	s_lshl_b32 s4, s24, 3
	s_ashr_i32 s5, s4, 31
	v_lshl_add_u64 v[10:11], s[4:5], 3, v[6:7]
	flat_load_dwordx2 v[10:11], v[10:11]
	v_add_u32_e32 v3, v1, v0
	s_waitcnt vmcnt(0) lgkmcnt(0)
	ds_write_b64 v3, v[10:11] offset:2112
.LBB185_18:
	s_or_b64 exec, exec, s[0:1]
	v_add_u32_e32 v3, 16, v8
	v_cmp_le_i32_e64 s[0:1], s26, v3
	s_and_saveexec_b64 s[4:5], s[0:1]
	s_xor_b64 s[0:1], exec, s[4:5]
; %bb.19:
	v_mov_b32_e32 v10, 0
	v_add_u32_e32 v3, v1, v0
	v_mov_b32_e32 v11, v10
	ds_write_b64 v3, v[10:11] offset:4224
; %bb.20:
	s_andn2_saveexec_b64 s[0:1], s[0:1]
	s_cbranch_execz .LBB185_22
; %bb.21:
	s_lshl_b32 s4, s24, 4
	s_ashr_i32 s5, s4, 31
	v_lshl_add_u64 v[10:11], s[4:5], 3, v[6:7]
	flat_load_dwordx2 v[10:11], v[10:11]
	v_add_u32_e32 v3, v1, v0
	s_waitcnt vmcnt(0) lgkmcnt(0)
	ds_write_b64 v3, v[10:11] offset:4224
.LBB185_22:
	s_or_b64 exec, exec, s[0:1]
	v_add_u32_e32 v3, 24, v8
	v_cmp_le_i32_e64 s[0:1], s26, v3
	s_and_saveexec_b64 s[4:5], s[0:1]
	s_xor_b64 s[0:1], exec, s[4:5]
; %bb.23:
	v_mov_b32_e32 v10, 0
	v_add_u32_e32 v1, v1, v0
	v_mov_b32_e32 v11, v10
	ds_write_b64 v1, v[10:11] offset:6336
                                        ; implicit-def: $vgpr1
; %bb.24:
	s_andn2_saveexec_b64 s[0:1], s[0:1]
	s_cbranch_execz .LBB185_26
; %bb.25:
	s_mul_i32 s4, s24, 24
	s_ashr_i32 s5, s4, 31
	v_lshl_add_u64 v[10:11], s[4:5], 3, v[6:7]
	flat_load_dwordx2 v[10:11], v[10:11]
	v_add_u32_e32 v1, v1, v0
	s_waitcnt vmcnt(0) lgkmcnt(0)
	ds_write_b64 v1, v[10:11] offset:6336
.LBB185_26:
	s_or_b64 exec, exec, s[0:1]
	v_mov_b32_e32 v1, 0
	v_lshl_add_u64 v[6:7], v[6:7], 0, v[0:1]
	s_lshl_b64 s[0:1], s[26:27], 3
	v_mov_b32_e32 v1, s1
	v_subrev_co_u32_e64 v6, s[0:1], s0, v6
	s_nop 1
	v_subb_co_u32_e64 v7, s[0:1], v7, v1, s[0:1]
	v_lshl_add_u64 v[6:7], v[6:7], 0, 8
	v_cndmask_b32_e32 v5, v7, v5, vcc
	v_cndmask_b32_e32 v4, v6, v4, vcc
.LBB185_27:
	v_lshlrev_b32_e32 v9, 2, v8
	v_lshl_or_b32 v1, v2, 8, v0
	v_cmp_lt_u32_e64 s[6:7], v9, v2
	s_waitcnt lgkmcnt(0)
	s_barrier
	s_and_saveexec_b64 s[0:1], s[6:7]
	s_cbranch_execz .LBB185_29
; %bb.28:
	s_movk_i32 s4, 0x420
	v_mad_u32_u24 v3, v8, s4, v0
	ds_read_b64 v[6:7], v3
	v_lshl_add_u32 v3, v9, 3, v1
	s_waitcnt lgkmcnt(0)
	ds_write_b64 v3, v[6:7]
.LBB185_29:
	s_or_b64 exec, exec, s[0:1]
	v_or_b32_e32 v3, 1, v9
	v_cmp_lt_u32_e64 s[8:9], v3, v2
	s_and_saveexec_b64 s[0:1], s[8:9]
	s_cbranch_execz .LBB185_31
; %bb.30:
	s_movk_i32 s4, 0x108
	v_mad_u32_u24 v6, v3, s4, v0
	ds_read_b64 v[6:7], v6
	v_lshl_add_u32 v10, v9, 3, v1
	s_waitcnt lgkmcnt(0)
	ds_write_b64 v10, v[6:7] offset:8
.LBB185_31:
	s_or_b64 exec, exec, s[0:1]
	v_or_b32_e32 v6, 2, v9
	v_cmp_lt_u32_e64 s[10:11], v6, v2
	s_and_saveexec_b64 s[0:1], s[10:11]
	s_cbranch_execz .LBB185_33
; %bb.32:
	s_movk_i32 s4, 0x108
	v_mad_u32_u24 v6, v6, s4, v0
	ds_read_b64 v[6:7], v6
	v_lshl_add_u32 v10, v9, 3, v1
	s_waitcnt lgkmcnt(0)
	ds_write_b64 v10, v[6:7] offset:16
.LBB185_33:
	s_or_b64 exec, exec, s[0:1]
	v_or_b32_e32 v7, 3, v9
	v_cmp_lt_u32_e64 s[12:13], v7, v2
	v_cmp_ge_u32_e32 vcc, v7, v2
                                        ; implicit-def: $vgpr6
	s_and_saveexec_b64 s[0:1], vcc
	s_xor_b64 s[0:1], exec, s[0:1]
; %bb.34:
	v_mul_u32_u24_e32 v6, 0x108, v7
                                        ; implicit-def: $vgpr1
                                        ; implicit-def: $vgpr7
; %bb.35:
	s_andn2_saveexec_b64 s[0:1], s[0:1]
	s_cbranch_execz .LBB185_37
; %bb.36:
	s_movk_i32 s4, 0x108
	v_mad_u32_u24 v6, v7, s4, v0
	ds_read_b64 v[10:11], v6
	v_lshl_add_u32 v1, v9, 3, v1
	v_mul_u32_u24_e32 v6, 0x108, v7
	s_waitcnt lgkmcnt(0)
	ds_write_b64 v1, v[10:11] offset:24
.LBB185_37:
	s_or_b64 exec, exec, s[0:1]
	s_movk_i32 s0, 0x420
	v_mad_u32_u24 v1, v8, s0, v0
	s_movk_i32 s0, 0x108
	v_mad_u32_u24 v7, v3, s0, v0
	s_waitcnt lgkmcnt(0)
	s_barrier
	v_lshlrev_b32_e32 v11, 3, v9
	ds_read2_b64 v[12:15], v7 offset1:33
	v_add_u32_e32 v10, v0, v6
	ds_read_b64 v[6:7], v1
	ds_read_b128 v[26:29], v11 offset:9088
	v_mul_u32_u24_e32 v20, 33, v2
	v_lshlrev_b32_e32 v23, 3, v20
	ds_read_b64 v[20:21], v10
	ds_read_b128 v[38:41], v11 offset:9104
	v_lshl_add_u32 v24, v8, 3, v23
	s_waitcnt lgkmcnt(2)
	v_pk_mul_f32 v[30:31], v[26:27], v[6:7] op_sel:[1,1] op_sel_hi:[0,1]
	v_pk_fma_f32 v[36:37], v[26:27], v[6:7], v[30:31] neg_lo:[0,0,1] neg_hi:[0,0,1]
	v_pk_fma_f32 v[6:7], v[26:27], v[6:7], v[30:31] op_sel_hi:[1,0,1]
	v_pk_mul_f32 v[26:27], v[28:29], v[12:13] op_sel:[1,1] op_sel_hi:[0,1]
	v_pk_fma_f32 v[30:31], v[28:29], v[12:13], v[26:27] neg_lo:[0,0,1] neg_hi:[0,0,1]
	v_pk_fma_f32 v[12:13], v[28:29], v[12:13], v[26:27] op_sel_hi:[1,0,1]
	v_mov_b32_e32 v37, v7
	v_mov_b32_e32 v31, v13
	s_waitcnt lgkmcnt(0)
	v_pk_mul_f32 v[12:13], v[38:39], v[14:15] op_sel:[1,1] op_sel_hi:[0,1]
	v_pk_fma_f32 v[26:27], v[38:39], v[14:15], v[12:13] neg_lo:[0,0,1] neg_hi:[0,0,1]
	v_pk_fma_f32 v[12:13], v[38:39], v[14:15], v[12:13] op_sel_hi:[1,0,1]
	v_pk_add_f32 v[6:7], v[36:37], 0 op_sel_hi:[1,0]
	v_mov_b32_e32 v27, v13
	v_pk_mul_f32 v[12:13], v[40:41], v[20:21] op_sel:[1,1] op_sel_hi:[0,1]
	v_pk_add_f32 v[6:7], v[6:7], v[30:31]
	v_pk_fma_f32 v[14:15], v[40:41], v[20:21], v[12:13] neg_lo:[0,0,1] neg_hi:[0,0,1]
	v_pk_fma_f32 v[12:13], v[40:41], v[20:21], v[12:13] op_sel_hi:[1,0,1]
	v_mov_b32_e32 v36, 0
	v_pk_add_f32 v[6:7], v[6:7], v[26:27]
	v_mov_b32_e32 v15, v13
	v_mov_b32_e32 v37, v36
	v_pk_add_f32 v[6:7], v[6:7], v[14:15]
	v_cmp_gt_u32_e64 s[4:5], 32, v22
	s_barrier
	ds_write_b64 v24, v[6:7]
	s_waitcnt lgkmcnt(0)
	s_barrier
	s_and_saveexec_b64 s[0:1], s[4:5]
	s_cbranch_execz .LBB185_39
; %bb.38:
	ds_read2_b64 v[12:15], v23 offset1:7
	ds_read2_b64 v[26:29], v23 offset0:1 offset1:2
	ds_read2_b64 v[36:39], v23 offset0:3 offset1:4
	s_waitcnt lgkmcnt(1)
	v_add_f32_e32 v1, v26, v12
	v_add_f32_e32 v6, v27, v13
	v_add_f32_e32 v1, v28, v1
	v_add_f32_e32 v6, v29, v6
	ds_read2_b64 v[26:29], v23 offset0:5 offset1:6
	s_waitcnt lgkmcnt(1)
	v_add_f32_e32 v1, v1, v36
	v_add_f32_e32 v6, v6, v37
	;; [unrolled: 1-line block ×4, first 2 shown]
	s_waitcnt lgkmcnt(0)
	v_add_f32_e32 v1, v1, v26
	v_add_f32_e32 v7, v6, v27
	;; [unrolled: 1-line block ×4, first 2 shown]
	v_pk_add_f32 v[36:37], v[6:7], v[14:15]
.LBB185_39:
	s_or_b64 exec, exec, s[0:1]
	s_lshl_b32 s38, s24, 5
	s_ashr_i32 s39, s38, 31
	v_cndmask_b32_e64 v1, 0, 1, s[36:37]
	v_lshl_add_u64 v[6:7], s[38:39], 3, v[4:5]
	s_mov_b64 s[0:1], 0x100
	v_cmp_ne_u32_e64 s[14:15], 1, v1
	s_andn2_b64 vcc, exec, s[36:37]
	s_mov_b64 s[36:37], -1
	s_barrier
	s_cbranch_vccnz .LBB185_41
; %bb.40:
	s_lshl_b32 s36, s24, 3
	s_ashr_i32 s37, s36, 31
	s_ashr_i32 s25, s24, 31
	v_lshl_add_u64 v[4:5], s[36:37], 3, v[6:7]
	s_lshl_b64 s[36:37], s[24:25], 6
	v_lshl_add_u64 v[12:13], v[4:5], 0, s[36:37]
	v_lshl_add_u64 v[14:15], v[12:13], 0, s[36:37]
	flat_load_dwordx2 v[20:21], v[6:7] offset:256
	flat_load_dwordx2 v[26:27], v[4:5] offset:256
	flat_load_dwordx2 v[28:29], v[12:13] offset:256
	flat_load_dwordx2 v[30:31], v[14:15] offset:256
	s_movk_i32 s25, 0x108
	v_mad_u32_u24 v1, v8, s25, v0
	s_mov_b64 s[36:37], 0
	s_waitcnt vmcnt(0) lgkmcnt(0)
	ds_write_b64 v1, v[20:21]
	ds_write_b64 v1, v[26:27] offset:2112
	ds_write_b64 v1, v[28:29] offset:4224
	;; [unrolled: 1-line block ×3, first 2 shown]
.LBB185_41:
	s_andn2_b64 vcc, exec, s[36:37]
	v_lshl_add_u64 v[4:5], v[6:7], 0, s[0:1]
	s_cbranch_vccnz .LBB185_57
; %bb.42:
	v_sub_co_u32_e32 v6, vcc, v6, v0
	s_ashr_i32 s27, s26, 31
	s_nop 0
	v_subbrev_co_u32_e32 v7, vcc, 0, v7, vcc
	v_or_b32_e32 v1, 32, v2
	v_lshl_add_u64 v[6:7], s[26:27], 3, v[6:7]
	v_mov_b32_e32 v12, 0
	v_lshl_add_u64 v[6:7], v[6:7], 0, -8
	v_cmp_gt_i32_e32 vcc, s26, v1
	s_sub_i32 s25, s26, 32
	v_cmp_gt_i32_e64 s[0:1], s25, v8
	v_cndmask_b32_e32 v7, v7, v5, vcc
	v_cndmask_b32_e32 v6, v6, v4, vcc
	v_mov_b32_e32 v13, v12
	s_and_saveexec_b64 s[36:37], s[0:1]
	s_cbranch_execz .LBB185_44
; %bb.43:
	flat_load_dwordx2 v[12:13], v[6:7]
.LBB185_44:
	s_or_b64 exec, exec, s[36:37]
	s_movk_i32 s0, 0x108
	v_mad_u32_u24 v14, v8, s0, v0
	s_waitcnt vmcnt(0) lgkmcnt(0)
	ds_write_b64 v14, v[12:13]
	v_add_u32_e32 v12, 8, v8
	v_mul_u32_u24_e32 v1, 0x108, v8
	v_cmp_le_i32_e64 s[0:1], s25, v12
	s_and_saveexec_b64 s[36:37], s[0:1]
	s_xor_b64 s[0:1], exec, s[36:37]
; %bb.45:
	v_mov_b32_e32 v14, 0
	v_add_u32_e32 v12, v1, v0
	v_mov_b32_e32 v15, v14
	ds_write_b64 v12, v[14:15] offset:2112
; %bb.46:
	s_andn2_saveexec_b64 s[0:1], s[0:1]
	s_cbranch_execz .LBB185_48
; %bb.47:
	s_lshl_b32 s36, s24, 3
	s_ashr_i32 s37, s36, 31
	v_lshl_add_u64 v[12:13], s[36:37], 3, v[6:7]
	flat_load_dwordx2 v[12:13], v[12:13]
	v_add_u32_e32 v14, v1, v0
	s_waitcnt vmcnt(0) lgkmcnt(0)
	ds_write_b64 v14, v[12:13] offset:2112
.LBB185_48:
	s_or_b64 exec, exec, s[0:1]
	v_add_u32_e32 v12, 16, v8
	v_cmp_le_i32_e64 s[0:1], s25, v12
	s_and_saveexec_b64 s[36:37], s[0:1]
	s_xor_b64 s[0:1], exec, s[36:37]
; %bb.49:
	v_mov_b32_e32 v14, 0
	v_add_u32_e32 v12, v1, v0
	v_mov_b32_e32 v15, v14
	ds_write_b64 v12, v[14:15] offset:4224
; %bb.50:
	s_andn2_saveexec_b64 s[0:1], s[0:1]
	s_cbranch_execz .LBB185_52
; %bb.51:
	s_lshl_b32 s36, s24, 4
	s_ashr_i32 s37, s36, 31
	v_lshl_add_u64 v[12:13], s[36:37], 3, v[6:7]
	flat_load_dwordx2 v[12:13], v[12:13]
	v_add_u32_e32 v14, v1, v0
	s_waitcnt vmcnt(0) lgkmcnt(0)
	ds_write_b64 v14, v[12:13] offset:4224
.LBB185_52:
	s_or_b64 exec, exec, s[0:1]
	v_add_u32_e32 v12, 24, v8
	v_cmp_le_i32_e64 s[0:1], s25, v12
	s_and_saveexec_b64 s[36:37], s[0:1]
	s_xor_b64 s[0:1], exec, s[36:37]
; %bb.53:
	v_mov_b32_e32 v12, 0
	v_add_u32_e32 v1, v1, v0
	v_mov_b32_e32 v13, v12
	ds_write_b64 v1, v[12:13] offset:6336
                                        ; implicit-def: $vgpr1
; %bb.54:
	s_andn2_saveexec_b64 s[0:1], s[0:1]
	s_cbranch_execz .LBB185_56
; %bb.55:
	s_mul_i32 s36, s24, 24
	s_ashr_i32 s37, s36, 31
	v_lshl_add_u64 v[12:13], s[36:37], 3, v[6:7]
	flat_load_dwordx2 v[12:13], v[12:13]
	v_add_u32_e32 v1, v1, v0
	s_waitcnt vmcnt(0) lgkmcnt(0)
	ds_write_b64 v1, v[12:13] offset:6336
.LBB185_56:
	s_or_b64 exec, exec, s[0:1]
	v_mov_b32_e32 v1, 0
	v_lshl_add_u64 v[6:7], v[6:7], 0, v[0:1]
	s_lshl_b64 s[0:1], s[26:27], 3
	v_mov_b32_e32 v1, s1
	v_subrev_co_u32_e64 v6, s[0:1], s0, v6
	s_nop 1
	v_subb_co_u32_e64 v7, s[0:1], v7, v1, s[0:1]
	s_mov_b64 s[0:1], 0x108
	s_nop 0
	v_lshl_add_u64 v[6:7], v[6:7], 0, s[0:1]
	v_cndmask_b32_e32 v5, v7, v5, vcc
	v_cndmask_b32_e32 v4, v6, v4, vcc
.LBB185_57:
	v_mul_u32_u24_e32 v1, 0x420, v8
	v_add_u32_e32 v6, 0x2380, v11
	v_mul_u32_u24_e32 v3, 0x108, v3
	v_add_u32_e32 v1, v0, v1
	s_waitcnt lgkmcnt(0)
	s_barrier
	s_and_saveexec_b64 s[0:1], s[6:7]
	s_cbranch_execnz .LBB185_66
; %bb.58:
	s_or_b64 exec, exec, s[0:1]
	v_add_u32_e32 v3, v0, v3
	s_and_saveexec_b64 s[0:1], s[8:9]
	s_cbranch_execnz .LBB185_67
.LBB185_59:
	s_or_b64 exec, exec, s[0:1]
	s_and_saveexec_b64 s[0:1], s[10:11]
	s_cbranch_execnz .LBB185_68
.LBB185_60:
	s_or_b64 exec, exec, s[0:1]
	s_and_saveexec_b64 s[0:1], s[12:13]
	s_cbranch_execz .LBB185_62
.LBB185_61:
	ds_read_b64 v[12:13], v10
	v_lshl_add_u32 v7, v9, 3, v23
	s_waitcnt lgkmcnt(0)
	ds_write_b64 v7, v[12:13] offset:24
.LBB185_62:
	s_or_b64 exec, exec, s[0:1]
	s_waitcnt lgkmcnt(0)
	s_barrier
	ds_read_b64 v[20:21], v1
	ds_read_b128 v[12:15], v6 offset:256
	ds_read2_b64 v[26:29], v3 offset1:33
	ds_read_b64 v[10:11], v10
	ds_read_b128 v[38:41], v6 offset:272
	v_cmp_eq_u32_e64 s[6:7], 1, v8
	s_waitcnt lgkmcnt(3)
	v_pk_mul_f32 v[30:31], v[12:13], v[20:21] op_sel:[1,1] op_sel_hi:[0,1]
	v_pk_fma_f32 v[42:43], v[12:13], v[20:21], v[30:31] neg_lo:[0,0,1] neg_hi:[0,0,1]
	v_pk_fma_f32 v[12:13], v[12:13], v[20:21], v[30:31] op_sel_hi:[1,0,1]
	s_waitcnt lgkmcnt(2)
	v_pk_mul_f32 v[20:21], v[14:15], v[26:27] op_sel:[1,1] op_sel_hi:[0,1]
	v_pk_fma_f32 v[30:31], v[14:15], v[26:27], v[20:21] neg_lo:[0,0,1] neg_hi:[0,0,1]
	v_pk_fma_f32 v[14:15], v[14:15], v[26:27], v[20:21] op_sel_hi:[1,0,1]
	v_mov_b32_e32 v43, v13
	v_mov_b32_e32 v31, v15
	s_waitcnt lgkmcnt(0)
	v_pk_mul_f32 v[14:15], v[38:39], v[28:29] op_sel:[1,1] op_sel_hi:[0,1]
	v_pk_add_f32 v[12:13], v[42:43], 0 op_sel_hi:[1,0]
	v_pk_fma_f32 v[20:21], v[38:39], v[28:29], v[14:15] neg_lo:[0,0,1] neg_hi:[0,0,1]
	v_pk_fma_f32 v[14:15], v[38:39], v[28:29], v[14:15] op_sel_hi:[1,0,1]
	v_pk_add_f32 v[12:13], v[12:13], v[30:31]
	v_mov_b32_e32 v21, v15
	v_pk_mul_f32 v[14:15], v[40:41], v[10:11] op_sel:[1,1] op_sel_hi:[0,1]
	v_pk_add_f32 v[12:13], v[12:13], v[20:21]
	v_pk_fma_f32 v[20:21], v[40:41], v[10:11], v[14:15] neg_lo:[0,0,1] neg_hi:[0,0,1]
	v_pk_fma_f32 v[10:11], v[40:41], v[10:11], v[14:15] op_sel_hi:[1,0,1]
	s_nop 0
	v_mov_b32_e32 v21, v11
	v_pk_add_f32 v[10:11], v[12:13], v[20:21]
	s_barrier
	ds_write_b64 v24, v[10:11]
	s_waitcnt lgkmcnt(0)
	s_barrier
	s_and_saveexec_b64 s[0:1], s[6:7]
	s_cbranch_execz .LBB185_64
; %bb.63:
	ds_read2_b64 v[10:13], v23 offset1:7
	ds_read2_b64 v[26:29], v23 offset0:1 offset1:2
	ds_read2_b64 v[36:39], v23 offset0:3 offset1:4
	s_waitcnt lgkmcnt(1)
	v_add_f32_e32 v1, v26, v10
	v_add_f32_e32 v3, v27, v11
	;; [unrolled: 1-line block ×4, first 2 shown]
	ds_read2_b64 v[26:29], v23 offset0:5 offset1:6
	s_waitcnt lgkmcnt(1)
	v_add_f32_e32 v1, v1, v36
	v_add_f32_e32 v3, v3, v37
	;; [unrolled: 1-line block ×4, first 2 shown]
	s_waitcnt lgkmcnt(0)
	v_add_f32_e32 v10, v1, v26
	v_add_f32_e32 v11, v3, v27
	v_pk_add_f32 v[10:11], v[10:11], v[28:29]
	s_nop 0
	v_pk_add_f32 v[36:37], v[10:11], v[12:13]
.LBB185_64:
	s_or_b64 exec, exec, s[0:1]
	s_lshl_b64 s[0:1], s[38:39], 3
	v_mov_b32_e32 v1, s1
	v_subrev_co_u32_e64 v20, s[0:1], s0, v4
	s_and_b64 vcc, exec, s[14:15]
	s_nop 0
	v_subb_co_u32_e64 v21, s[0:1], v5, v1, s[0:1]
	s_barrier
	s_cbranch_vccnz .LBB185_69
; %bb.65:
	s_lshl_b32 s0, s24, 3
	s_ashr_i32 s1, s0, 31
	s_ashr_i32 s25, s24, 31
	v_lshl_add_u64 v[4:5], s[0:1], 3, v[20:21]
	s_lshl_b64 s[0:1], s[24:25], 6
	v_lshl_add_u64 v[10:11], v[4:5], 0, s[0:1]
	v_lshl_add_u64 v[12:13], v[10:11], 0, s[0:1]
	flat_load_dwordx2 v[14:15], v[20:21]
	flat_load_dwordx2 v[26:27], v[4:5]
	flat_load_dwordx2 v[28:29], v[10:11]
	flat_load_dwordx2 v[30:31], v[12:13]
	s_movk_i32 s0, 0x108
	v_mov_b32_e32 v1, 0x840
	v_mov_b32_e32 v3, 0x1080
	v_mov_b32_e32 v11, 0x18c0
	v_mul_u32_u24_e32 v4, 0x108, v8
	v_add_u32_e32 v5, 8, v8
	v_add_u32_e32 v7, 16, v8
	;; [unrolled: 1-line block ×3, first 2 shown]
	v_mad_u32_u24 v12, v8, s0, v0
	v_mad_u32_u24 v1, v8, s0, v1
	;; [unrolled: 1-line block ×4, first 2 shown]
	v_add_u32_e32 v13, v0, v1
	v_add_u32_e32 v25, v0, v3
	;; [unrolled: 1-line block ×3, first 2 shown]
	s_waitcnt vmcnt(0) lgkmcnt(0)
	ds_write_b64 v12, v[14:15]
	ds_write_b64 v13, v[26:27]
	;; [unrolled: 1-line block ×4, first 2 shown]
	s_cbranch_execz .LBB185_70
	s_branch .LBB185_85
.LBB185_66:
	ds_read_b64 v[12:13], v1
	v_lshl_add_u32 v7, v9, 3, v23
	s_waitcnt lgkmcnt(0)
	ds_write_b64 v7, v[12:13]
	s_or_b64 exec, exec, s[0:1]
	v_add_u32_e32 v3, v0, v3
	s_and_saveexec_b64 s[0:1], s[8:9]
	s_cbranch_execz .LBB185_59
.LBB185_67:
	ds_read_b64 v[12:13], v3
	v_lshl_add_u32 v7, v9, 3, v23
	s_waitcnt lgkmcnt(0)
	ds_write_b64 v7, v[12:13] offset:8
	s_or_b64 exec, exec, s[0:1]
	s_and_saveexec_b64 s[0:1], s[10:11]
	s_cbranch_execz .LBB185_60
.LBB185_68:
	ds_read_b64 v[12:13], v3 offset:264
	v_lshl_add_u32 v7, v9, 3, v23
	s_waitcnt lgkmcnt(0)
	ds_write_b64 v7, v[12:13] offset:16
	s_or_b64 exec, exec, s[0:1]
	s_and_saveexec_b64 s[0:1], s[12:13]
	s_cbranch_execnz .LBB185_61
	s_branch .LBB185_62
.LBB185_69:
                                        ; implicit-def: $vgpr4
                                        ; implicit-def: $vgpr5
                                        ; implicit-def: $vgpr1
                                        ; implicit-def: $vgpr7
                                        ; implicit-def: $vgpr3
                                        ; implicit-def: $vgpr10
                                        ; implicit-def: $vgpr11
.LBB185_70:
	v_or_b32_e32 v1, 32, v2
	v_lshlrev_b32_e32 v2, 3, v1
	v_sub_co_u32_e32 v2, vcc, v20, v2
	s_ashr_i32 s27, s26, 31
	s_nop 0
	v_subbrev_co_u32_e32 v3, vcc, 0, v21, vcc
	v_lshl_add_u64 v[2:3], s[26:27], 3, v[2:3]
	v_mov_b32_e32 v10, 0
	v_lshl_add_u64 v[2:3], v[2:3], 0, -8
	v_cmp_gt_i32_e32 vcc, s26, v1
	v_cmp_gt_i32_e64 s[0:1], s26, v8
	v_mov_b32_e32 v11, v10
	v_cndmask_b32_e32 v3, v3, v21, vcc
	v_cndmask_b32_e32 v2, v2, v20, vcc
	s_and_saveexec_b64 s[8:9], s[0:1]
	s_cbranch_execz .LBB185_72
; %bb.71:
	flat_load_dwordx2 v[10:11], v[2:3]
.LBB185_72:
	s_or_b64 exec, exec, s[8:9]
	s_movk_i32 s0, 0x108
	v_add_u32_e32 v5, 8, v8
	v_mul_u32_u24_e32 v4, 0x108, v8
	v_mad_u32_u24 v1, v8, s0, v0
	v_cmp_le_i32_e64 s[0:1], s26, v5
	s_waitcnt vmcnt(0) lgkmcnt(0)
	ds_write_b64 v1, v[10:11]
	s_and_saveexec_b64 s[8:9], s[0:1]
	s_xor_b64 s[0:1], exec, s[8:9]
; %bb.73:
	v_mov_b32_e32 v10, 0
	v_add_u32_e32 v1, v4, v0
	v_mov_b32_e32 v11, v10
	ds_write_b64 v1, v[10:11] offset:2112
; %bb.74:
	s_andn2_saveexec_b64 s[0:1], s[0:1]
	s_cbranch_execz .LBB185_76
; %bb.75:
	s_lshl_b32 s8, s24, 3
	s_ashr_i32 s9, s8, 31
	v_lshl_add_u64 v[10:11], s[8:9], 3, v[2:3]
	flat_load_dwordx2 v[10:11], v[10:11]
	v_add_u32_e32 v1, v4, v0
	s_waitcnt vmcnt(0) lgkmcnt(0)
	ds_write_b64 v1, v[10:11] offset:2112
.LBB185_76:
	s_or_b64 exec, exec, s[0:1]
	v_add_u32_e32 v7, 16, v8
	v_cmp_le_i32_e64 s[0:1], s26, v7
	s_and_saveexec_b64 s[8:9], s[0:1]
	s_xor_b64 s[0:1], exec, s[8:9]
; %bb.77:
	v_mov_b32_e32 v10, 0
	v_add_u32_e32 v1, v4, v0
	v_mov_b32_e32 v11, v10
	ds_write_b64 v1, v[10:11] offset:4224
; %bb.78:
	s_andn2_saveexec_b64 s[0:1], s[0:1]
	s_cbranch_execz .LBB185_80
; %bb.79:
	s_lshl_b32 s8, s24, 4
	s_ashr_i32 s9, s8, 31
	v_lshl_add_u64 v[10:11], s[8:9], 3, v[2:3]
	flat_load_dwordx2 v[10:11], v[10:11]
	v_add_u32_e32 v1, v4, v0
	s_waitcnt vmcnt(0) lgkmcnt(0)
	ds_write_b64 v1, v[10:11] offset:4224
.LBB185_80:
	s_or_b64 exec, exec, s[0:1]
	v_add_u32_e32 v10, 24, v8
	v_cmp_le_i32_e64 s[0:1], s26, v10
                                        ; implicit-def: $vgpr11
	s_and_saveexec_b64 s[8:9], s[0:1]
	s_xor_b64 s[0:1], exec, s[8:9]
; %bb.81:
	v_add_u32_e32 v11, 0x18c0, v4
	v_mov_b32_e32 v12, 0
	v_add_u32_e32 v1, v0, v11
	v_mov_b32_e32 v13, v12
	ds_write_b64 v1, v[12:13]
; %bb.82:
	s_andn2_saveexec_b64 s[0:1], s[0:1]
	s_cbranch_execz .LBB185_84
; %bb.83:
	s_mul_i32 s8, s24, 24
	s_ashr_i32 s9, s8, 31
	v_lshl_add_u64 v[12:13], s[8:9], 3, v[2:3]
	flat_load_dwordx2 v[12:13], v[12:13]
	v_add_u32_e32 v11, 0x18c0, v4
	v_add_u32_e32 v1, v0, v11
	s_waitcnt vmcnt(0) lgkmcnt(0)
	ds_write_b64 v1, v[12:13]
.LBB185_84:
	s_or_b64 exec, exec, s[0:1]
	v_mov_b32_e32 v1, 0
	v_lshl_add_u64 v[2:3], v[2:3], 0, v[0:1]
	s_lshl_b64 s[0:1], s[26:27], 3
	v_mov_b32_e32 v1, s1
	v_subrev_co_u32_e64 v2, s[0:1], s0, v2
	s_nop 1
	v_subb_co_u32_e64 v3, s[0:1], v3, v1, s[0:1]
	s_mov_b64 s[0:1], 0x108
	s_nop 0
	v_lshl_add_u64 v[2:3], v[2:3], 0, s[0:1]
	v_cndmask_b32_e32 v21, v3, v21, vcc
	v_cndmask_b32_e32 v20, v2, v20, vcc
	v_add_u32_e32 v1, 0x840, v4
	v_add_u32_e32 v3, 0x1080, v4
.LBB185_85:
	v_add_u32_e32 v25, v0, v4
	v_add_u32_e32 v28, v0, v1
	v_lshlrev_b32_e32 v30, 3, v5
	v_add_u32_e32 v40, v0, v3
	v_lshlrev_b32_e32 v46, 3, v7
	;; [unrolled: 2-line block ×3, first 2 shown]
	v_lshl_add_u32 v0, v9, 3, v23
	s_waitcnt lgkmcnt(0)
	s_barrier
	v_lshlrev_b32_e32 v35, 3, v8
	ds_read2_b64 v[8:11], v0 offset1:1
	ds_read2_b64 v[0:3], v0 offset0:2 offset1:3
	ds_read_b128 v[12:15], v6 offset:256
	ds_read_b128 v[4:7], v6 offset:272
	ds_read_b64 v[26:27], v25
	ds_read_b64 v[28:29], v28
	ds_read_b64 v[30:31], v30 offset:9088
	ds_read_b64 v[38:39], v35 offset:9088
	ds_read_b64 v[40:41], v40
	ds_read2_b32 v[42:43], v42 offset1:1
	ds_read_b64 v[44:45], v44 offset:9088
	ds_read_b64 v[46:47], v46 offset:9088
	s_waitcnt lgkmcnt(4)
	v_pk_mul_f32 v[48:49], v[38:39], v[26:27] op_sel:[1,1] op_sel_hi:[0,1]
	v_pk_fma_f32 v[50:51], v[38:39], v[26:27], v[48:49] neg_lo:[0,0,1] neg_hi:[0,0,1]
	v_pk_fma_f32 v[26:27], v[38:39], v[26:27], v[48:49] op_sel_hi:[1,0,1]
	v_pk_mul_f32 v[38:39], v[30:31], v[28:29] op_sel:[1,1] op_sel_hi:[0,1]
	v_pk_fma_f32 v[48:49], v[30:31], v[28:29], v[38:39] neg_lo:[0,0,1] neg_hi:[0,0,1]
	v_pk_fma_f32 v[28:29], v[30:31], v[28:29], v[38:39] op_sel_hi:[1,0,1]
	v_mov_b32_e32 v51, v27
	v_mov_b32_e32 v49, v29
	s_waitcnt lgkmcnt(0)
	v_pk_mul_f32 v[28:29], v[46:47], v[40:41] op_sel:[1,1] op_sel_hi:[0,1]
	v_pk_add_f32 v[26:27], v[50:51], 0 op_sel_hi:[1,0]
	v_pk_fma_f32 v[30:31], v[46:47], v[40:41], v[28:29] neg_lo:[0,0,1] neg_hi:[0,0,1]
	v_pk_fma_f32 v[28:29], v[46:47], v[40:41], v[28:29] op_sel_hi:[1,0,1]
	v_pk_add_f32 v[26:27], v[26:27], v[48:49]
	v_mov_b32_e32 v31, v29
	v_pk_mul_f32 v[28:29], v[44:45], v[42:43] op_sel:[1,1] op_sel_hi:[0,1]
	v_pk_add_f32 v[26:27], v[26:27], v[30:31]
	v_pk_fma_f32 v[30:31], v[44:45], v[42:43], v[28:29] neg_lo:[0,0,1] neg_hi:[0,0,1]
	v_pk_fma_f32 v[28:29], v[44:45], v[42:43], v[28:29] op_sel_hi:[1,0,1]
	s_nop 0
	v_mov_b32_e32 v31, v29
	v_pk_add_f32 v[26:27], v[26:27], v[30:31]
	s_barrier
	ds_write_b64 v24, v[26:27]
	s_waitcnt lgkmcnt(0)
	s_barrier
	s_and_saveexec_b64 s[0:1], s[6:7]
	s_cbranch_execz .LBB185_87
; %bb.86:
	ds_read2_b64 v[26:29], v23 offset1:1
	ds_read2_b64 v[38:41], v23 offset0:2 offset1:3
	ds_read2_b64 v[42:45], v23 offset0:4 offset1:5
	s_waitcnt lgkmcnt(2)
	v_pk_add_f32 v[26:27], v[36:37], v[26:27]
	s_nop 0
	v_pk_add_f32 v[30:31], v[26:27], v[28:29]
	ds_read2_b64 v[26:29], v23 offset0:6 offset1:7
	s_waitcnt lgkmcnt(2)
	v_pk_add_f32 v[30:31], v[30:31], v[38:39]
	s_nop 0
	v_pk_add_f32 v[30:31], v[30:31], v[40:41]
	s_waitcnt lgkmcnt(1)
	v_pk_add_f32 v[30:31], v[30:31], v[42:43]
	s_nop 0
	v_pk_add_f32 v[30:31], v[30:31], v[44:45]
	s_waitcnt lgkmcnt(0)
	v_pk_add_f32 v[26:27], v[30:31], v[26:27]
	s_nop 0
	v_pk_add_f32 v[36:37], v[26:27], v[28:29]
.LBB185_87:
	s_or_b64 exec, exec, s[0:1]
	v_pk_mul_f32 v[26:27], v[12:13], v[8:9] op_sel:[1,1] op_sel_hi:[0,1]
	v_pk_fma_f32 v[28:29], v[12:13], v[8:9], v[26:27] neg_lo:[0,0,1] neg_hi:[0,0,1]
	v_pk_fma_f32 v[8:9], v[12:13], v[8:9], v[26:27] op_sel_hi:[1,0,1]
	v_mov_b32_e32 v12, v11
	v_pk_mul_f32 v[12:13], v[14:15], v[12:13] op_sel:[1,0] op_sel_hi:[0,0]
	v_pk_fma_f32 v[26:27], v[14:15], v[10:11], v[12:13] neg_lo:[0,0,1] neg_hi:[0,0,1]
	v_pk_fma_f32 v[10:11], v[14:15], v[10:11], v[12:13] op_sel_hi:[1,0,1]
	v_mov_b32_e32 v29, v9
	v_mov_b32_e32 v27, v11
	v_pk_mul_f32 v[10:11], v[4:5], v[0:1] op_sel:[1,1] op_sel_hi:[0,1]
	v_pk_add_f32 v[8:9], v[28:29], 0 op_sel_hi:[1,0]
	v_pk_fma_f32 v[12:13], v[4:5], v[0:1], v[10:11] neg_lo:[0,0,1] neg_hi:[0,0,1]
	v_pk_fma_f32 v[0:1], v[4:5], v[0:1], v[10:11] op_sel_hi:[1,0,1]
	v_mov_b32_e32 v4, v3
	v_pk_add_f32 v[8:9], v[8:9], v[26:27]
	v_mov_b32_e32 v13, v1
	v_pk_mul_f32 v[4:5], v[6:7], v[4:5] op_sel:[1,0] op_sel_hi:[0,0]
	v_pk_add_f32 v[0:1], v[8:9], v[12:13]
	v_pk_fma_f32 v[8:9], v[6:7], v[2:3], v[4:5] neg_lo:[0,0,1] neg_hi:[0,0,1]
	v_pk_fma_f32 v[2:3], v[6:7], v[2:3], v[4:5] op_sel_hi:[1,0,1]
	s_nop 0
	v_mov_b32_e32 v9, v3
	v_pk_add_f32 v[0:1], v[0:1], v[8:9]
	s_barrier
	ds_write_b64 v24, v[0:1]
	s_waitcnt lgkmcnt(0)
	s_barrier
	s_and_saveexec_b64 s[0:1], s[4:5]
	s_cbranch_execz .LBB185_89
; %bb.88:
	ds_read2_b64 v[0:3], v23 offset1:1
	ds_read2_b64 v[4:7], v23 offset0:2 offset1:3
	ds_read2_b64 v[8:11], v23 offset0:4 offset1:5
	s_waitcnt lgkmcnt(2)
	v_pk_add_f32 v[0:1], v[36:37], v[0:1]
	s_nop 0
	v_pk_add_f32 v[12:13], v[0:1], v[2:3]
	ds_read2_b64 v[0:3], v23 offset0:6 offset1:7
	s_waitcnt lgkmcnt(2)
	v_pk_add_f32 v[4:5], v[12:13], v[4:5]
	s_nop 0
	v_pk_add_f32 v[4:5], v[4:5], v[6:7]
	s_waitcnt lgkmcnt(1)
	v_pk_add_f32 v[4:5], v[4:5], v[8:9]
	s_nop 0
	v_pk_add_f32 v[4:5], v[4:5], v[10:11]
	;; [unrolled: 4-line block ×3, first 2 shown]
.LBB185_89:
	s_or_b64 exec, exec, s[0:1]
	s_mul_hi_u32 s0, s21, s20
	s_mul_i32 s40, s40, s20
	s_add_i32 s0, s0, s40
	s_mul_i32 s4, s21, s20
	s_mul_i32 s0, s0, s33
	s_mul_hi_u32 s1, s4, s33
	s_add_i32 s1, s1, s0
	s_mul_i32 s0, s4, s33
	s_lshl_b64 s[0:1], s[0:1], 3
	s_add_u32 s4, s22, s0
	s_mul_i32 s0, s21, s2
	s_addc_u32 s5, s23, s1
	s_ashr_i32 s1, s0, 31
	s_lshl_b64 s[0:1], s[0:1], 3
	s_add_u32 s6, s4, s0
	v_cmp_le_i32_e32 vcc, s26, v34
	s_addc_u32 s7, s5, s1
	s_and_b64 vcc, s[34:35], vcc
	s_cmp_lt_i32 s2, 1
	v_lshlrev_b32_e32 v74, 3, v34
	s_barrier
	s_cbranch_scc1 .LBB185_96
; %bb.90:
	s_mul_i32 s0, s3, s28
	s_ashr_i32 s1, s0, 31
	s_lshl_b64 s[0:1], s[0:1], 3
	v_mov_b32_e32 v0, s1
	v_subrev_co_u32_e64 v38, s[0:1], s0, v16
	v_lshlrev_b64 v[2:3], 3, v[18:19]
	s_nop 0
	v_subb_co_u32_e64 v39, s[0:1], v17, v0, s[0:1]
	s_lshl_b64 s[0:1], s[30:31], 3
	s_nop 0
	v_mov_b32_e32 v1, s1
	v_subrev_co_u32_e64 v0, s[0:1], s0, v20
	s_ashr_i32 s27, s26, 31
	s_nop 0
	v_subb_co_u32_e64 v1, s[0:1], v21, v1, s[0:1]
	s_movk_i32 s0, 0xff00
	s_mov_b32 s1, -1
	v_lshl_add_u64 v[0:1], v[0:1], 0, s[0:1]
	v_sub_co_u32_e64 v0, s[0:1], v0, v2
	v_mul_lo_u32 v2, v33, s24
	v_lshl_add_u32 v2, v2, 2, v34
	v_subb_co_u32_e64 v1, s[0:1], v1, v3, s[0:1]
	v_ashrrev_i32_e32 v3, 31, v2
	v_lshl_add_u64 v[0:1], v[2:3], 3, v[0:1]
	v_sub_co_u32_e64 v2, s[0:1], v0, v74
	v_lshrrev_b32_e32 v4, 4, v22
	s_nop 0
	v_subbrev_co_u32_e64 v3, s[0:1], 0, v1, s[0:1]
	v_lshl_add_u64 v[2:3], s[26:27], 3, v[2:3]
	v_lshl_add_u64 v[2:3], v[2:3], 0, -8
	v_cndmask_b32_e32 v41, v1, v3, vcc
	v_cndmask_b32_e32 v40, v0, v2, vcc
	v_mov_b32_e32 v0, 0x2180
	s_movk_i32 s0, 0x860
	v_and_b32_e32 v1, 48, v34
	v_and_b32_e32 v5, 15, v34
	v_lshl_add_u32 v76, v33, 5, v0
	v_mad_u32_u24 v78, v33, s0, v74
	v_lshlrev_b32_e32 v0, 5, v4
	s_movk_i32 s0, 0x218
	v_lshlrev_b32_e32 v1, 3, v1
	v_mad_u32_u24 v79, v5, s0, v0
	v_mul_i32_i24_e32 v0, 0xffffffe8, v4
	v_mad_u32_u24 v80, v5, s0, v1
	v_or_b32_e32 v1, 0x78, v74
	s_ashr_i32 s25, s24, 31
	v_mov_b32_e32 v35, 0
	s_lshl_b32 s3, s3, 6
	v_add_u32_e32 v75, 0x2180, v74
	v_add_u32_e32 v77, 0x2380, v74
	v_cmp_gt_u32_e64 s[4:5], 64, v22
	v_mad_u32_u24 v81, v5, s0, v1
	s_lshl_b64 s[0:1], s[24:25], 3
	s_lshl_b64 s[8:9], s[24:25], 4
	;; [unrolled: 1-line block ×3, first 2 shown]
	s_mul_hi_i32 s13, s24, 24
	s_mul_i32 s12, s24, 24
	s_lshl_b64 s[14:15], s[24:25], 7
	s_mul_hi_i32 s21, s24, 0x90
	s_mul_i32 s20, s24, 0x90
	s_mul_hi_i32 s23, s24, 0x98
	s_mul_i32 s22, s24, 0x98
	s_lshl_b64 s[26:27], s[24:25], 8
	s_mul_hi_i32 s29, s24, 0x110
	s_mul_i32 s28, s24, 0x110
	s_mul_hi_i32 s31, s24, 0x118
	s_mul_i32 s30, s24, 0x118
	s_mul_hi_i32 s35, s24, 0x180
	s_mul_i32 s34, s24, 0x180
	s_mul_hi_i32 s37, s24, 0x190
	s_mul_i32 s36, s24, 0x190
	s_mul_hi_i32 s39, s24, 0x198
	s_mul_i32 s38, s24, 0x198
	s_mul_hi_i32 s41, s24, 0x188
	s_mul_i32 s40, s24, 0x188
	s_mul_hi_i32 s43, s24, 0x108
	s_mul_i32 s42, s24, 0x108
	s_mul_hi_i32 s25, s24, 0x88
	s_mulk_i32 s24, 0x88
	s_mov_b32 s44, 0
	v_add_u32_e32 v82, v79, v0
	s_branch .LBB185_92
.LBB185_91:                             ;   in Loop: Header=BB185_92 Depth=1
	s_or_b64 exec, exec, s[46:47]
	v_mul_f32_e32 v83, v5, v49
	v_mul_f32_e32 v5, v5, v48
	v_fma_f32 v83, v4, v48, -v83
	v_mul_f32_e32 v48, v7, v47
	v_mul_f32_e32 v7, v7, v46
	v_fmac_f32_e32 v5, v4, v49
	v_fma_f32 v48, v6, v46, -v48
	v_mul_f32_e32 v46, v1, v45
	v_mul_f32_e32 v1, v1, v44
	v_add_f32_e32 v4, v37, v5
	v_fmac_f32_e32 v7, v6, v47
	v_add_f32_e32 v36, v36, v83
	v_fma_f32 v46, v0, v44, -v46
	v_mul_f32_e32 v44, v3, v43
	v_mul_f32_e32 v3, v3, v42
	v_add_f32_e32 v4, v4, v7
	v_fmac_f32_e32 v1, v0, v45
	v_add_f32_e32 v36, v36, v48
	v_add_f32_e32 v0, v4, v1
	v_fmac_f32_e32 v3, v2, v43
	v_add_f32_e32 v36, v36, v46
	v_fma_f32 v44, v2, v42, -v44
	v_add_f32_e32 v1, v0, v3
	v_mul_f32_e32 v0, v13, v57
	v_add_f32_e32 v36, v36, v44
	v_fma_f32 v0, v12, v56, -v0
	v_mul_f32_e32 v6, v13, v56
	v_mul_f32_e32 v2, v15, v55
	v_add_f32_e32 v0, v36, v0
	v_fma_f32 v2, v14, v54, -v2
	v_mul_f32_e32 v7, v15, v54
	v_fmac_f32_e32 v6, v12, v57
	v_add_f32_e32 v0, v0, v2
	v_mul_f32_e32 v2, v9, v51
	v_mul_f32_e32 v3, v9, v50
	v_add_f32_e32 v1, v1, v6
	v_fmac_f32_e32 v7, v14, v55
	v_fma_f32 v2, v8, v50, -v2
	v_add_f32_e32 v1, v1, v7
	v_fmac_f32_e32 v3, v8, v51
	v_mul_f32_e32 v4, v11, v53
	v_mul_f32_e32 v5, v11, v52
	v_pk_add_f32 v[0:1], v[0:1], v[2:3]
	v_mov_b32_e32 v2, v65
	v_fma_f32 v4, v10, v52, -v4
	v_fmac_f32_e32 v5, v10, v53
	v_pk_mul_f32 v[2:3], v[16:17], v[2:3] op_sel:[1,0] op_sel_hi:[0,0]
	v_pk_add_f32 v[0:1], v[0:1], v[4:5]
	v_pk_fma_f32 v[4:5], v[16:17], v[64:65], v[2:3] neg_lo:[0,0,1] neg_hi:[0,0,1]
	v_pk_fma_f32 v[2:3], v[16:17], v[64:65], v[2:3] op_sel_hi:[1,0,1]
	s_add_i32 s2, s2, -1
	v_mov_b32_e32 v2, v63
	v_mov_b32_e32 v5, v3
	v_pk_mul_f32 v[2:3], v[18:19], v[2:3] op_sel:[1,0] op_sel_hi:[0,0]
	v_pk_add_f32 v[0:1], v[0:1], v[4:5]
	v_pk_fma_f32 v[4:5], v[18:19], v[62:63], v[2:3] neg_lo:[0,0,1] neg_hi:[0,0,1]
	v_pk_fma_f32 v[2:3], v[18:19], v[62:63], v[2:3] op_sel_hi:[1,0,1]
	s_add_i32 s44, s44, s3
	v_mov_b32_e32 v2, v61
	v_mov_b32_e32 v5, v3
	v_pk_mul_f32 v[2:3], v[20:21], v[2:3] op_sel:[1,0] op_sel_hi:[0,0]
	v_pk_add_f32 v[0:1], v[0:1], v[4:5]
	v_pk_fma_f32 v[4:5], v[20:21], v[60:61], v[2:3] neg_lo:[0,0,1] neg_hi:[0,0,1]
	v_pk_fma_f32 v[2:3], v[20:21], v[60:61], v[2:3] op_sel_hi:[1,0,1]
	v_lshl_add_u64 v[40:41], v[40:41], 0, s[10:11]
	v_mov_b32_e32 v2, v59
	v_mov_b32_e32 v5, v3
	v_pk_mul_f32 v[2:3], v[22:23], v[2:3] op_sel:[1,0] op_sel_hi:[0,0]
	v_pk_add_f32 v[0:1], v[0:1], v[4:5]
	v_pk_fma_f32 v[4:5], v[22:23], v[58:59], v[2:3] neg_lo:[0,0,1] neg_hi:[0,0,1]
	v_pk_fma_f32 v[2:3], v[22:23], v[58:59], v[2:3] op_sel_hi:[1,0,1]
	s_cmp_eq_u32 s2, 0
	v_mov_b32_e32 v2, v73
	v_mov_b32_e32 v5, v3
	v_pk_mul_f32 v[2:3], v[24:25], v[2:3] op_sel:[1,0] op_sel_hi:[0,0]
	v_pk_add_f32 v[0:1], v[0:1], v[4:5]
	v_pk_fma_f32 v[4:5], v[24:25], v[72:73], v[2:3] neg_lo:[0,0,1] neg_hi:[0,0,1]
	v_pk_fma_f32 v[2:3], v[24:25], v[72:73], v[2:3] op_sel_hi:[1,0,1]
	v_add_u32_e32 v34, 64, v34
	v_mov_b32_e32 v2, v71
	v_mov_b32_e32 v5, v3
	v_pk_mul_f32 v[2:3], v[26:27], v[2:3] op_sel:[1,0] op_sel_hi:[0,0]
	v_pk_fma_f32 v[6:7], v[26:27], v[70:71], v[2:3] neg_lo:[0,0,1] neg_hi:[0,0,1]
	v_pk_fma_f32 v[2:3], v[26:27], v[70:71], v[2:3] op_sel_hi:[1,0,1]
	v_pk_add_f32 v[0:1], v[0:1], v[4:5]
	v_mov_b32_e32 v2, v69
	v_mov_b32_e32 v7, v3
	v_pk_mul_f32 v[2:3], v[28:29], v[2:3] op_sel:[1,0] op_sel_hi:[0,0]
	v_pk_fma_f32 v[8:9], v[28:29], v[68:69], v[2:3] neg_lo:[0,0,1] neg_hi:[0,0,1]
	v_pk_fma_f32 v[2:3], v[28:29], v[68:69], v[2:3] op_sel_hi:[1,0,1]
	v_pk_add_f32 v[0:1], v[0:1], v[6:7]
	;; [unrolled: 6-line block ×3, first 2 shown]
	v_mov_b32_e32 v11, v3
	v_pk_add_f32 v[36:37], v[0:1], v[10:11]
	s_barrier
	s_cbranch_scc1 .LBB185_96
.LBB185_92:                             ; =>This Inner Loop Header: Depth=1
	s_and_saveexec_b64 s[46:47], s[18:19]
	s_cbranch_execz .LBB185_94
; %bb.93:                               ;   in Loop: Header=BB185_92 Depth=1
	s_ashr_i32 s45, s44, 31
	v_lshl_add_u64 v[0:1], s[44:45], 3, v[38:39]
	flat_load_dwordx2 v[0:1], v[0:1]
	s_waitcnt vmcnt(0) lgkmcnt(0)
	ds_write_b64 v75, v[0:1]
.LBB185_94:                             ;   in Loop: Header=BB185_92 Depth=1
	s_or_b64 exec, exec, s[46:47]
	v_lshl_add_u64 v[0:1], v[40:41], 0, s[0:1]
	s_waitcnt lgkmcnt(0)
	s_barrier
	flat_load_dwordx2 v[48:49], v[40:41]
	flat_load_dwordx2 v[46:47], v[0:1]
	v_lshl_add_u64 v[0:1], v[40:41], 0, s[8:9]
	flat_load_dwordx2 v[44:45], v[0:1]
	v_lshl_add_u64 v[0:1], v[40:41], 0, s[12:13]
	flat_load_dwordx2 v[42:43], v[0:1]
	ds_read_b64 v[8:9], v77
	ds_read_b128 v[4:7], v76
	ds_read_b128 v[0:3], v76 offset:16
	v_lshl_add_u64 v[10:11], v[40:41], 0, s[14:15]
	v_lshl_add_u64 v[68:69], v[40:41], 0, s[34:35]
	s_waitcnt vmcnt(0) lgkmcnt(0)
	v_mul_f32_e32 v12, v9, v49
	v_mul_f32_e32 v13, v9, v48
	;; [unrolled: 1-line block ×8, first 2 shown]
	v_fma_f32 v12, v8, v48, -v12
	v_fmac_f32_e32 v13, v8, v49
	v_fma_f32 v14, v8, v46, -v14
	v_fmac_f32_e32 v15, v8, v47
	;; [unrolled: 2-line block ×4, first 2 shown]
	v_lshl_add_u64 v[8:9], v[40:41], 0, s[24:25]
	ds_write2_b64 v78, v[12:13], v[14:15] offset1:67
	ds_write2_b64 v78, v[16:17], v[18:19] offset0:134 offset1:201
	s_waitcnt lgkmcnt(0)
	s_barrier
	ds_read2_b64 v[24:27], v79 offset1:1
	ds_read2_b64 v[28:31], v79 offset0:2 offset1:3
	s_waitcnt lgkmcnt(0)
	s_barrier
	flat_load_dwordx2 v[56:57], v[10:11]
	flat_load_dwordx2 v[54:55], v[8:9]
	v_lshl_add_u64 v[8:9], v[40:41], 0, s[20:21]
	flat_load_dwordx2 v[50:51], v[8:9]
	v_lshl_add_u64 v[8:9], v[40:41], 0, s[22:23]
	flat_load_dwordx2 v[52:53], v[8:9]
	ds_read_b64 v[16:17], v77
	v_lshl_add_u64 v[18:19], v[40:41], 0, s[26:27]
	ds_read_b128 v[12:15], v76 offset:128
	ds_read_b128 v[8:11], v76 offset:144
	v_pk_add_f32 v[24:25], v[24:25], 0 op_sel_hi:[1,0]
	s_waitcnt vmcnt(0) lgkmcnt(0)
	v_mul_f32_e32 v20, v17, v57
	v_mul_f32_e32 v21, v17, v56
	;; [unrolled: 1-line block ×8, first 2 shown]
	v_fma_f32 v20, v16, v56, -v20
	v_fmac_f32_e32 v21, v16, v57
	v_fma_f32 v22, v16, v54, -v22
	v_fmac_f32_e32 v23, v16, v55
	;; [unrolled: 2-line block ×4, first 2 shown]
	v_lshl_add_u64 v[16:17], v[40:41], 0, s[42:43]
	ds_write2_b64 v78, v[20:21], v[22:23] offset1:67
	ds_write2_b64 v78, v[58:59], v[60:61] offset0:134 offset1:201
	s_waitcnt lgkmcnt(0)
	s_barrier
	ds_read2_b64 v[84:87], v79 offset1:1
	ds_read2_b64 v[88:91], v79 offset0:2 offset1:3
	s_waitcnt lgkmcnt(0)
	s_barrier
	flat_load_dwordx2 v[64:65], v[18:19]
	flat_load_dwordx2 v[62:63], v[16:17]
	v_lshl_add_u64 v[16:17], v[40:41], 0, s[28:29]
	flat_load_dwordx2 v[60:61], v[16:17]
	v_lshl_add_u64 v[16:17], v[40:41], 0, s[30:31]
	flat_load_dwordx2 v[58:59], v[16:17]
	ds_read_b64 v[66:67], v77
	ds_read_b128 v[16:19], v76 offset:256
	ds_read_b128 v[20:23], v76 offset:272
	v_pk_add_f32 v[24:25], v[24:25], v[26:27]
	s_waitcnt vmcnt(0) lgkmcnt(0)
	v_mul_f32_e32 v70, v67, v65
	v_mul_f32_e32 v71, v67, v64
	;; [unrolled: 1-line block ×8, first 2 shown]
	v_fma_f32 v70, v66, v64, -v70
	v_fma_f32 v72, v66, v62, -v72
	;; [unrolled: 1-line block ×4, first 2 shown]
	v_fmac_f32_e32 v71, v66, v65
	v_fmac_f32_e32 v73, v66, v63
	;; [unrolled: 1-line block ×4, first 2 shown]
	v_lshl_add_u64 v[66:67], v[40:41], 0, s[40:41]
	ds_write2_b64 v78, v[70:71], v[72:73] offset1:67
	ds_write2_b64 v78, v[92:93], v[94:95] offset0:134 offset1:201
	s_waitcnt lgkmcnt(0)
	s_barrier
	ds_read2_b64 v[92:95], v79 offset1:1
	ds_read2_b64 v[96:99], v79 offset0:2 offset1:3
	s_waitcnt lgkmcnt(0)
	s_barrier
	flat_load_dwordx2 v[72:73], v[68:69]
	flat_load_dwordx2 v[70:71], v[66:67]
	v_lshl_add_u64 v[66:67], v[40:41], 0, s[36:37]
	flat_load_dwordx2 v[68:69], v[66:67]
	v_lshl_add_u64 v[66:67], v[40:41], 0, s[38:39]
	flat_load_dwordx2 v[66:67], v[66:67]
	v_pk_add_f32 v[24:25], v[24:25], v[28:29]
	s_nop 0
	v_pk_add_f32 v[100:101], v[24:25], v[30:31]
	v_pk_add_f32 v[24:25], v[84:85], 0 op_sel_hi:[1,0]
	s_nop 0
	v_pk_add_f32 v[24:25], v[24:25], v[86:87]
	v_pk_add_f32 v[86:87], v[92:93], 0 op_sel_hi:[1,0]
	v_pk_add_f32 v[24:25], v[24:25], v[88:89]
	v_pk_add_f32 v[86:87], v[86:87], v[94:95]
	;; [unrolled: 1-line block ×3, first 2 shown]
	ds_read_b64 v[84:85], v77
	ds_read_b128 v[24:27], v76 offset:384
	ds_read_b128 v[28:31], v76 offset:400
	v_pk_add_f32 v[86:87], v[86:87], v[96:97]
	s_waitcnt vmcnt(0) lgkmcnt(0)
	v_mul_f32_e32 v83, v85, v73
	v_pk_add_f32 v[92:93], v[86:87], v[98:99]
	v_mul_f32_e32 v87, v85, v72
	v_mul_f32_e32 v88, v85, v71
	;; [unrolled: 1-line block ×7, first 2 shown]
	v_fma_f32 v86, v84, v72, -v83
	v_fma_f32 v88, v84, v70, -v88
	v_fmac_f32_e32 v87, v84, v73
	v_fmac_f32_e32 v89, v84, v71
	v_fma_f32 v90, v84, v68, -v90
	v_fmac_f32_e32 v91, v84, v69
	v_fma_f32 v94, v84, v66, -v94
	v_fmac_f32_e32 v95, v85, v66
	ds_write2_b64 v78, v[86:87], v[88:89] offset1:67
	ds_write2_b64 v78, v[90:91], v[94:95] offset0:134 offset1:201
	s_waitcnt lgkmcnt(0)
	s_barrier
	ds_read2_b64 v[84:87], v79 offset1:1
	ds_read2_b64 v[88:91], v79 offset0:2 offset1:3
	s_waitcnt lgkmcnt(0)
	s_barrier
	v_pk_add_f32 v[84:85], v[84:85], 0 op_sel_hi:[1,0]
	ds_write2_b64 v82, v[100:101], v[102:103] offset1:16
	v_pk_add_f32 v[84:85], v[84:85], v[86:87]
	s_nop 0
	v_pk_add_f32 v[84:85], v[84:85], v[88:89]
	s_nop 0
	v_pk_add_f32 v[84:85], v[84:85], v[90:91]
	ds_write2_b64 v82, v[92:93], v[84:85] offset0:32 offset1:48
	s_waitcnt lgkmcnt(0)
	s_barrier
	s_and_saveexec_b64 s[46:47], s[4:5]
	s_cbranch_execz .LBB185_91
; %bb.95:                               ;   in Loop: Header=BB185_92 Depth=1
	ds_read_b64 v[92:93], v80
	ds_read2_b64 v[84:87], v80 offset0:1 offset1:2
	ds_read2_b64 v[88:91], v80 offset0:3 offset1:4
	v_lshl_add_u64 v[96:97], v[34:35], 3, s[6:7]
	s_waitcnt lgkmcnt(1)
	v_add_f32_e32 v83, v84, v92
	v_add_f32_e32 v84, v85, v93
	;; [unrolled: 1-line block ×4, first 2 shown]
	ds_read2_b64 v[84:87], v80 offset0:5 offset1:6
	s_waitcnt lgkmcnt(1)
	v_add_f32_e32 v83, v83, v88
	v_add_f32_e32 v88, v92, v89
	;; [unrolled: 1-line block ×4, first 2 shown]
	ds_read2_b64 v[88:91], v80 offset0:7 offset1:8
	s_waitcnt lgkmcnt(1)
	v_pk_add_f32 v[84:85], v[92:93], v[84:85]
	ds_read2_b64 v[92:95], v80 offset0:9 offset1:10
	v_pk_add_f32 v[84:85], v[84:85], v[86:87]
	s_waitcnt lgkmcnt(1)
	v_pk_add_f32 v[84:85], v[84:85], v[88:89]
	s_nop 0
	v_pk_add_f32 v[88:89], v[84:85], v[90:91]
	ds_read2_b64 v[84:87], v80 offset0:11 offset1:12
	s_waitcnt lgkmcnt(1)
	v_pk_add_f32 v[92:93], v[88:89], v[92:93]
	ds_read2_b64 v[88:91], v80 offset0:13 offset1:14
	v_pk_add_f32 v[92:93], v[92:93], v[94:95]
	ds_read_b64 v[94:95], v81
	s_waitcnt lgkmcnt(2)
	v_pk_add_f32 v[84:85], v[92:93], v[84:85]
	s_nop 0
	v_pk_add_f32 v[84:85], v[84:85], v[86:87]
	s_waitcnt lgkmcnt(1)
	v_pk_add_f32 v[84:85], v[84:85], v[88:89]
	s_nop 0
	v_pk_add_f32 v[84:85], v[84:85], v[90:91]
	s_waitcnt lgkmcnt(0)
	v_pk_add_f32 v[84:85], v[84:85], v[94:95]
	global_store_dwordx2 v[96:97], v[84:85], off
	s_branch .LBB185_91
.LBB185_96:
	s_movk_i32 s0, 0x218
	v_mad_u32_u24 v0, v33, s0, v74
	s_nor_b64 s[0:1], s[16:17], vcc
	ds_write_b64 v0, v[36:37]
	s_waitcnt lgkmcnt(0)
	s_barrier
	s_and_saveexec_b64 s[2:3], s[0:1]
	s_cbranch_execz .LBB185_98
; %bb.97:
	ds_read2_b64 v[0:3], v74 offset1:67
	ds_read2_b64 v[4:7], v74 offset0:134 offset1:201
	v_ashrrev_i32_e32 v33, 31, v32
	v_lshl_add_u64 v[8:9], v[32:33], 3, s[6:7]
	s_waitcnt lgkmcnt(1)
	v_pk_add_f32 v[0:1], v[2:3], v[0:1]
	s_waitcnt lgkmcnt(0)
	v_pk_add_f32 v[0:1], v[4:5], v[0:1]
	s_nop 0
	v_pk_add_f32 v[0:1], v[0:1], v[6:7]
	global_store_dwordx2 v[8:9], v[0:1], off
.LBB185_98:
	s_endpgm
	.section	.rodata,"a",@progbits
	.p2align	6, 0x0
	.amdhsa_kernel _ZL26rocblas_hemvn_kernel_lowerILb0ELi64ELi4ELi33ELi32ELi16EiPK19rocblas_complex_numIfEPKS3_PS1_EviT6_lT7_lT5_lS8_lS9_lS7_lT8_i
		.amdhsa_group_segment_fixed_size 9600
		.amdhsa_private_segment_fixed_size 0
		.amdhsa_kernarg_size 376
		.amdhsa_user_sgpr_count 2
		.amdhsa_user_sgpr_dispatch_ptr 0
		.amdhsa_user_sgpr_queue_ptr 0
		.amdhsa_user_sgpr_kernarg_segment_ptr 1
		.amdhsa_user_sgpr_dispatch_id 0
		.amdhsa_user_sgpr_kernarg_preload_length 0
		.amdhsa_user_sgpr_kernarg_preload_offset 0
		.amdhsa_user_sgpr_private_segment_size 0
		.amdhsa_uses_dynamic_stack 0
		.amdhsa_enable_private_segment 0
		.amdhsa_system_sgpr_workgroup_id_x 1
		.amdhsa_system_sgpr_workgroup_id_y 0
		.amdhsa_system_sgpr_workgroup_id_z 1
		.amdhsa_system_sgpr_workgroup_info 0
		.amdhsa_system_vgpr_workitem_id 1
		.amdhsa_next_free_vgpr 104
		.amdhsa_next_free_sgpr 48
		.amdhsa_accum_offset 104
		.amdhsa_reserve_vcc 1
		.amdhsa_float_round_mode_32 0
		.amdhsa_float_round_mode_16_64 0
		.amdhsa_float_denorm_mode_32 3
		.amdhsa_float_denorm_mode_16_64 3
		.amdhsa_dx10_clamp 1
		.amdhsa_ieee_mode 1
		.amdhsa_fp16_overflow 0
		.amdhsa_tg_split 0
		.amdhsa_exception_fp_ieee_invalid_op 0
		.amdhsa_exception_fp_denorm_src 0
		.amdhsa_exception_fp_ieee_div_zero 0
		.amdhsa_exception_fp_ieee_overflow 0
		.amdhsa_exception_fp_ieee_underflow 0
		.amdhsa_exception_fp_ieee_inexact 0
		.amdhsa_exception_int_div_zero 0
	.end_amdhsa_kernel
	.section	.text._ZL26rocblas_hemvn_kernel_lowerILb0ELi64ELi4ELi33ELi32ELi16EiPK19rocblas_complex_numIfEPKS3_PS1_EviT6_lT7_lT5_lS8_lS9_lS7_lT8_i,"axG",@progbits,_ZL26rocblas_hemvn_kernel_lowerILb0ELi64ELi4ELi33ELi32ELi16EiPK19rocblas_complex_numIfEPKS3_PS1_EviT6_lT7_lT5_lS8_lS9_lS7_lT8_i,comdat
.Lfunc_end185:
	.size	_ZL26rocblas_hemvn_kernel_lowerILb0ELi64ELi4ELi33ELi32ELi16EiPK19rocblas_complex_numIfEPKS3_PS1_EviT6_lT7_lT5_lS8_lS9_lS7_lT8_i, .Lfunc_end185-_ZL26rocblas_hemvn_kernel_lowerILb0ELi64ELi4ELi33ELi32ELi16EiPK19rocblas_complex_numIfEPKS3_PS1_EviT6_lT7_lT5_lS8_lS9_lS7_lT8_i
                                        ; -- End function
	.set _ZL26rocblas_hemvn_kernel_lowerILb0ELi64ELi4ELi33ELi32ELi16EiPK19rocblas_complex_numIfEPKS3_PS1_EviT6_lT7_lT5_lS8_lS9_lS7_lT8_i.num_vgpr, 104
	.set _ZL26rocblas_hemvn_kernel_lowerILb0ELi64ELi4ELi33ELi32ELi16EiPK19rocblas_complex_numIfEPKS3_PS1_EviT6_lT7_lT5_lS8_lS9_lS7_lT8_i.num_agpr, 0
	.set _ZL26rocblas_hemvn_kernel_lowerILb0ELi64ELi4ELi33ELi32ELi16EiPK19rocblas_complex_numIfEPKS3_PS1_EviT6_lT7_lT5_lS8_lS9_lS7_lT8_i.numbered_sgpr, 48
	.set _ZL26rocblas_hemvn_kernel_lowerILb0ELi64ELi4ELi33ELi32ELi16EiPK19rocblas_complex_numIfEPKS3_PS1_EviT6_lT7_lT5_lS8_lS9_lS7_lT8_i.num_named_barrier, 0
	.set _ZL26rocblas_hemvn_kernel_lowerILb0ELi64ELi4ELi33ELi32ELi16EiPK19rocblas_complex_numIfEPKS3_PS1_EviT6_lT7_lT5_lS8_lS9_lS7_lT8_i.private_seg_size, 0
	.set _ZL26rocblas_hemvn_kernel_lowerILb0ELi64ELi4ELi33ELi32ELi16EiPK19rocblas_complex_numIfEPKS3_PS1_EviT6_lT7_lT5_lS8_lS9_lS7_lT8_i.uses_vcc, 1
	.set _ZL26rocblas_hemvn_kernel_lowerILb0ELi64ELi4ELi33ELi32ELi16EiPK19rocblas_complex_numIfEPKS3_PS1_EviT6_lT7_lT5_lS8_lS9_lS7_lT8_i.uses_flat_scratch, 0
	.set _ZL26rocblas_hemvn_kernel_lowerILb0ELi64ELi4ELi33ELi32ELi16EiPK19rocblas_complex_numIfEPKS3_PS1_EviT6_lT7_lT5_lS8_lS9_lS7_lT8_i.has_dyn_sized_stack, 0
	.set _ZL26rocblas_hemvn_kernel_lowerILb0ELi64ELi4ELi33ELi32ELi16EiPK19rocblas_complex_numIfEPKS3_PS1_EviT6_lT7_lT5_lS8_lS9_lS7_lT8_i.has_recursion, 0
	.set _ZL26rocblas_hemvn_kernel_lowerILb0ELi64ELi4ELi33ELi32ELi16EiPK19rocblas_complex_numIfEPKS3_PS1_EviT6_lT7_lT5_lS8_lS9_lS7_lT8_i.has_indirect_call, 0
	.section	.AMDGPU.csdata,"",@progbits
; Kernel info:
; codeLenInByte = 7332
; TotalNumSgprs: 54
; NumVgprs: 104
; NumAgprs: 0
; TotalNumVgprs: 104
; ScratchSize: 0
; MemoryBound: 1
; FloatMode: 240
; IeeeMode: 1
; LDSByteSize: 9600 bytes/workgroup (compile time only)
; SGPRBlocks: 6
; VGPRBlocks: 12
; NumSGPRsForWavesPerEU: 54
; NumVGPRsForWavesPerEU: 104
; AccumOffset: 104
; Occupancy: 4
; WaveLimiterHint : 1
; COMPUTE_PGM_RSRC2:SCRATCH_EN: 0
; COMPUTE_PGM_RSRC2:USER_SGPR: 2
; COMPUTE_PGM_RSRC2:TRAP_HANDLER: 0
; COMPUTE_PGM_RSRC2:TGID_X_EN: 1
; COMPUTE_PGM_RSRC2:TGID_Y_EN: 0
; COMPUTE_PGM_RSRC2:TGID_Z_EN: 1
; COMPUTE_PGM_RSRC2:TIDIG_COMP_CNT: 1
; COMPUTE_PGM_RSRC3_GFX90A:ACCUM_OFFSET: 25
; COMPUTE_PGM_RSRC3_GFX90A:TG_SPLIT: 0
	.section	.text._ZL26rocblas_hemvn_kernel_lowerILb0ELi64ELi4ELi33ELi32ELi16El19rocblas_complex_numIfEPKPKS1_PS1_EviT6_lT7_lT5_lS8_lS9_lS7_lT8_i,"axG",@progbits,_ZL26rocblas_hemvn_kernel_lowerILb0ELi64ELi4ELi33ELi32ELi16El19rocblas_complex_numIfEPKPKS1_PS1_EviT6_lT7_lT5_lS8_lS9_lS7_lT8_i,comdat
	.globl	_ZL26rocblas_hemvn_kernel_lowerILb0ELi64ELi4ELi33ELi32ELi16El19rocblas_complex_numIfEPKPKS1_PS1_EviT6_lT7_lT5_lS8_lS9_lS7_lT8_i ; -- Begin function _ZL26rocblas_hemvn_kernel_lowerILb0ELi64ELi4ELi33ELi32ELi16El19rocblas_complex_numIfEPKPKS1_PS1_EviT6_lT7_lT5_lS8_lS9_lS7_lT8_i
	.p2align	8
	.type	_ZL26rocblas_hemvn_kernel_lowerILb0ELi64ELi4ELi33ELi32ELi16El19rocblas_complex_numIfEPKPKS1_PS1_EviT6_lT7_lT5_lS8_lS9_lS7_lT8_i,@function
_ZL26rocblas_hemvn_kernel_lowerILb0ELi64ELi4ELi33ELi32ELi16El19rocblas_complex_numIfEPKPKS1_PS1_EviT6_lT7_lT5_lS8_lS9_lS7_lT8_i: ; @_ZL26rocblas_hemvn_kernel_lowerILb0ELi64ELi4ELi33ELi32ELi16El19rocblas_complex_numIfEPKPKS1_PS1_EviT6_lT7_lT5_lS8_lS9_lS7_lT8_i
; %bb.0:
	s_load_dwordx2 s[4:5], s[0:1], 0x84
	s_add_u32 s10, s0, 0x78
	s_mov_b32 s28, s3
	s_addc_u32 s11, s1, 0
	s_waitcnt lgkmcnt(0)
	s_and_b32 s3, s5, 0xffff
	s_lshr_b32 s5, s4, 16
	s_and_b32 s4, s4, 0xffff
	s_mul_i32 s4, s5, s4
	s_mul_i32 s4, s4, s3
	s_cmpk_lg_i32 s4, 0x100
	s_cbranch_scc1 .LBB186_98
; %bb.1:
	s_load_dwordx2 s[4:5], s[0:1], 0x4
	s_waitcnt lgkmcnt(0)
	s_or_b32 s3, s4, s5
	s_bitset0_b32 s3, 31
	s_cmp_lg_u32 s3, 0
	s_mov_b64 s[4:5], -1
	s_cbranch_scc1 .LBB186_3
; %bb.2:
	s_load_dwordx2 s[4:5], s[0:1], 0x58
	s_waitcnt lgkmcnt(0)
	v_cmp_eq_f32_e64 s[6:7], s4, 1.0
	v_cmp_eq_f32_e64 s[4:5], s5, 0
	s_and_b64 s[4:5], s[6:7], s[4:5]
	s_andn2_b64 vcc, exec, s[4:5]
	s_mov_b64 s[4:5], 0
.LBB186_3:
	s_andn2_b64 vcc, exec, s[4:5]
	s_cbranch_vccnz .LBB186_98
; %bb.4:
	s_load_dword s3, s[0:1], 0x0
	s_load_dwordx4 s[4:7], s[0:1], 0x18
	s_load_dwordx2 s[26:27], s[0:1], 0x28
	s_load_dwordx4 s[12:15], s[0:1], 0x38
	s_mov_b32 s29, 0
	s_lshl_b64 s[8:9], s[28:29], 3
	s_waitcnt lgkmcnt(0)
	s_add_u32 s4, s4, s8
	s_addc_u32 s5, s5, s9
	s_add_u32 s12, s12, s8
	s_addc_u32 s13, s13, s9
	s_load_dwordx2 s[16:17], s[12:13], 0x0
	s_load_dword s29, s[10:11], 0x0
	s_load_dwordx2 s[22:23], s[0:1], 0x48
	s_load_dwordx2 s[8:9], s[4:5], 0x0
	s_lshl_b64 s[4:5], s[14:15], 3
	s_waitcnt lgkmcnt(0)
	s_add_u32 s4, s16, s4
	s_addc_u32 s5, s17, s5
	s_ashr_i32 s33, s3, 31
	s_lshr_b32 s11, s33, 26
	s_add_i32 s11, s3, s11
	v_and_b32_e32 v77, 0x3ff, v0
	s_lshl_b32 s34, s2, 6
	s_andn2_b32 s11, s11, 63
	s_add_i32 s10, s29, -1
	s_sub_i32 s11, s3, s11
	v_add_u32_e32 v32, s34, v77
	s_cmp_eq_u32 s2, s10
	v_ashrrev_i32_e32 v33, 31, v32
	v_bfe_u32 v76, v0, 10, 10
	s_cselect_b32 s30, s11, 0
	v_mul_lo_u32 v2, s22, v33
	v_mul_lo_u32 v3, s23, v32
	v_mad_u64_u32 v[0:1], s[10:11], s22, v32, 0
	v_add3_u32 v1, v1, v2, v3
	v_lshl_add_u64 v[16:17], v[0:1], 3, s[4:5]
	v_cmp_ne_u32_e64 s[4:5], 0, v76
	v_cmp_eq_u32_e64 s[18:19], 0, v76
	s_and_saveexec_b64 s[10:11], s[18:19]
	s_cbranch_execz .LBB186_9
; %bb.5:
	s_cmp_lg_u32 s30, 0
	s_cselect_b64 s[12:13], -1, 0
	v_cmp_le_i32_e32 vcc, s30, v77
	v_mov_b32_e32 v0, 0x2380
	s_and_b64 s[12:13], s[12:13], vcc
	v_lshl_add_u32 v0, v77, 3, v0
	s_and_saveexec_b64 s[14:15], s[12:13]
	s_xor_b64 s[12:13], exec, s[14:15]
; %bb.6:
	v_mov_b32_e32 v2, 0
	v_mov_b32_e32 v3, v2
	ds_write_b64 v0, v[2:3]
                                        ; implicit-def: $vgpr0
; %bb.7:
	s_andn2_saveexec_b64 s[12:13], s[12:13]
	s_cbranch_execz .LBB186_9
; %bb.8:
	flat_load_dwordx2 v[2:3], v[16:17]
	s_waitcnt vmcnt(0) lgkmcnt(0)
	ds_write_b64 v0, v[2:3]
.LBB186_9:
	s_or_b64 exec, exec, s[10:11]
	s_lshl_b64 s[6:7], s[6:7], 3
	s_add_u32 s8, s8, s6
	s_addc_u32 s9, s9, s7
	s_ashr_i32 s35, s34, 31
	v_lshl_add_u32 v22, v76, 6, v77
	s_lshl_b64 s[6:7], s[34:35], 3
	v_and_b32_e32 v0, 31, v77
	v_lshrrev_b32_e32 v8, 5, v22
	s_add_u32 s6, s8, s6
	v_mov_b32_e32 v1, 0
	s_addc_u32 s7, s9, s7
	v_mad_u64_u32 v[18:19], s[8:9], s26, v8, v[0:1]
	v_mov_b32_e32 v2, v19
	v_mad_u64_u32 v[2:3], s[8:9], s27, v8, v[2:3]
	v_mov_b32_e32 v19, v2
	v_lshl_add_u64 v[2:3], v[18:19], 3, s[6:7]
	s_mul_hi_u32 s6, s26, s34
	s_mul_i32 s7, s26, s35
	s_add_i32 s6, s6, s7
	s_mul_i32 s7, s27, s34
	s_add_i32 s37, s6, s7
	s_cmp_lg_u32 s30, 0
	s_mul_i32 s36, s26, s34
	s_cselect_b64 s[38:39], -1, 0
	s_cmp_eq_u32 s30, 0
	v_lshl_add_u64 v[2:3], s[36:37], 3, v[2:3]
	s_cselect_b64 s[20:21], -1, 0
	s_mov_b64 s[6:7], -1
	s_and_b64 vcc, exec, s[38:39]
	s_cbranch_vccnz .LBB186_11
; %bb.10:
	s_lshl_b64 s[6:7], s[26:27], 6
	v_lshl_add_u64 v[4:5], v[2:3], 0, s[6:7]
	v_lshl_add_u64 v[6:7], v[4:5], 0, s[6:7]
	;; [unrolled: 1-line block ×3, first 2 shown]
	flat_load_dwordx2 v[12:13], v[2:3]
	flat_load_dwordx2 v[14:15], v[4:5]
	;; [unrolled: 1-line block ×4, first 2 shown]
	v_mul_u32_u24_e32 v1, 0x108, v8
	v_lshl_add_u32 v1, v0, 3, v1
	s_mov_b64 s[6:7], 0
	s_waitcnt vmcnt(0) lgkmcnt(0)
	ds_write_b64 v1, v[12:13]
	ds_write_b64 v1, v[14:15] offset:2112
	ds_write_b64 v1, v[20:21] offset:4224
	;; [unrolled: 1-line block ×3, first 2 shown]
.LBB186_11:
	s_andn2_b64 vcc, exec, s[6:7]
	s_cbranch_vccnz .LBB186_27
; %bb.12:
	v_lshlrev_b32_e32 v4, 3, v0
	v_sub_co_u32_e32 v6, vcc, v2, v4
	s_ashr_i32 s31, s30, 31
	s_nop 0
	v_subbrev_co_u32_e32 v7, vcc, 0, v3, vcc
	v_lshl_add_u64 v[6:7], s[30:31], 3, v[6:7]
	v_mov_b32_e32 v10, 0
	v_lshl_add_u64 v[6:7], v[6:7], 0, -8
	v_cmp_gt_i32_e32 vcc, s30, v0
	v_cmp_gt_i32_e64 s[6:7], s30, v8
	v_mov_b32_e32 v11, v10
	v_cndmask_b32_e32 v7, v7, v3, vcc
	v_cndmask_b32_e32 v6, v6, v2, vcc
	s_and_saveexec_b64 s[8:9], s[6:7]
	s_cbranch_execz .LBB186_14
; %bb.13:
	flat_load_dwordx2 v[10:11], v[6:7]
.LBB186_14:
	s_or_b64 exec, exec, s[8:9]
	v_lshlrev_b32_e32 v1, 3, v0
	s_movk_i32 s6, 0x108
	v_mad_u32_u24 v9, v8, s6, v1
	s_waitcnt vmcnt(0) lgkmcnt(0)
	ds_write_b64 v9, v[10:11]
	v_add_u32_e32 v9, 8, v8
	v_mul_u32_u24_e32 v5, 0x108, v8
	v_cmp_le_i32_e64 s[6:7], s30, v9
	s_and_saveexec_b64 s[8:9], s[6:7]
	s_xor_b64 s[6:7], exec, s[8:9]
; %bb.15:
	v_mov_b32_e32 v10, 0
	v_add_u32_e32 v9, v5, v1
	v_mov_b32_e32 v11, v10
	ds_write_b64 v9, v[10:11] offset:2112
; %bb.16:
	s_andn2_saveexec_b64 s[6:7], s[6:7]
	s_cbranch_execz .LBB186_18
; %bb.17:
	s_lshl_b64 s[8:9], s[26:27], 6
	v_lshl_add_u64 v[10:11], v[6:7], 0, s[8:9]
	flat_load_dwordx2 v[10:11], v[10:11]
	v_add_u32_e32 v9, v5, v1
	s_waitcnt vmcnt(0) lgkmcnt(0)
	ds_write_b64 v9, v[10:11] offset:2112
.LBB186_18:
	s_or_b64 exec, exec, s[6:7]
	v_add_u32_e32 v9, 16, v8
	v_cmp_le_i32_e64 s[6:7], s30, v9
	s_and_saveexec_b64 s[8:9], s[6:7]
	s_xor_b64 s[6:7], exec, s[8:9]
; %bb.19:
	v_mov_b32_e32 v10, 0
	v_add_u32_e32 v9, v5, v1
	v_mov_b32_e32 v11, v10
	ds_write_b64 v9, v[10:11] offset:4224
; %bb.20:
	s_andn2_saveexec_b64 s[6:7], s[6:7]
	s_cbranch_execz .LBB186_22
; %bb.21:
	s_lshl_b64 s[8:9], s[26:27], 7
	v_lshl_add_u64 v[10:11], v[6:7], 0, s[8:9]
	flat_load_dwordx2 v[10:11], v[10:11]
	v_add_u32_e32 v9, v5, v1
	s_waitcnt vmcnt(0) lgkmcnt(0)
	ds_write_b64 v9, v[10:11] offset:4224
.LBB186_22:
	s_or_b64 exec, exec, s[6:7]
	v_add_u32_e32 v9, 24, v8
	v_cmp_le_i32_e64 s[6:7], s30, v9
	s_and_saveexec_b64 s[8:9], s[6:7]
	s_xor_b64 s[6:7], exec, s[8:9]
; %bb.23:
	v_mov_b32_e32 v10, 0
	v_add_u32_e32 v1, v5, v1
	v_mov_b32_e32 v11, v10
	ds_write_b64 v1, v[10:11] offset:6336
                                        ; implicit-def: $vgpr5
                                        ; implicit-def: $vgpr1
; %bb.24:
	s_andn2_saveexec_b64 s[6:7], s[6:7]
	s_cbranch_execz .LBB186_26
; %bb.25:
	v_mov_b32_e32 v9, 0xc0
	v_mad_u64_u32 v[10:11], s[8:9], s26, v9, v[6:7]
	s_mul_i32 s8, s27, 0xc0
	s_nop 0
	v_add_u32_e32 v11, s8, v11
	flat_load_dwordx2 v[10:11], v[10:11]
	v_add_u32_e32 v1, v5, v1
	s_waitcnt vmcnt(0) lgkmcnt(0)
	ds_write_b64 v1, v[10:11] offset:6336
.LBB186_26:
	s_or_b64 exec, exec, s[6:7]
	v_mov_b32_e32 v5, 0
	v_lshl_add_u64 v[4:5], v[6:7], 0, v[4:5]
	s_lshl_b64 s[6:7], s[30:31], 3
	v_mov_b32_e32 v1, s7
	v_subrev_co_u32_e64 v4, s[6:7], s6, v4
	s_nop 1
	v_subb_co_u32_e64 v5, s[6:7], v5, v1, s[6:7]
	v_lshl_add_u64 v[4:5], v[4:5], 0, 8
	v_cndmask_b32_e32 v3, v5, v3, vcc
	v_cndmask_b32_e32 v2, v4, v2, vcc
.LBB186_27:
	v_lshlrev_b32_e32 v1, 2, v8
	v_lshlrev_b32_e32 v9, 3, v0
	v_lshl_or_b32 v4, v0, 8, v9
	v_cmp_lt_u32_e64 s[8:9], v1, v0
	s_waitcnt lgkmcnt(0)
	s_barrier
	s_and_saveexec_b64 s[6:7], s[8:9]
	s_cbranch_execz .LBB186_29
; %bb.28:
	s_movk_i32 s10, 0x420
	v_mad_u32_u24 v5, v8, s10, v9
	ds_read_b64 v[6:7], v5
	v_lshl_add_u32 v5, v1, 3, v4
	s_waitcnt lgkmcnt(0)
	ds_write_b64 v5, v[6:7]
.LBB186_29:
	s_or_b64 exec, exec, s[6:7]
	v_or_b32_e32 v10, 1, v1
	v_cmp_lt_u32_e64 s[10:11], v10, v0
	s_and_saveexec_b64 s[6:7], s[10:11]
	s_cbranch_execz .LBB186_31
; %bb.30:
	s_movk_i32 s12, 0x108
	v_mad_u32_u24 v5, v10, s12, v9
	ds_read_b64 v[6:7], v5
	v_lshl_add_u32 v5, v1, 3, v4
	s_waitcnt lgkmcnt(0)
	ds_write_b64 v5, v[6:7] offset:8
.LBB186_31:
	s_or_b64 exec, exec, s[6:7]
	v_or_b32_e32 v5, 2, v1
	v_cmp_lt_u32_e64 s[12:13], v5, v0
	s_and_saveexec_b64 s[6:7], s[12:13]
	s_cbranch_execz .LBB186_33
; %bb.32:
	s_movk_i32 s14, 0x108
	v_mad_u32_u24 v5, v5, s14, v9
	ds_read_b64 v[6:7], v5
	v_lshl_add_u32 v5, v1, 3, v4
	s_waitcnt lgkmcnt(0)
	ds_write_b64 v5, v[6:7] offset:16
.LBB186_33:
	s_or_b64 exec, exec, s[6:7]
	v_or_b32_e32 v6, 3, v1
	v_cmp_lt_u32_e64 s[14:15], v6, v0
	v_cmp_ge_u32_e32 vcc, v6, v0
                                        ; implicit-def: $vgpr5
	s_and_saveexec_b64 s[6:7], vcc
	s_xor_b64 s[6:7], exec, s[6:7]
; %bb.34:
	v_mul_u32_u24_e32 v5, 0x108, v6
                                        ; implicit-def: $vgpr4
                                        ; implicit-def: $vgpr6
; %bb.35:
	s_andn2_saveexec_b64 s[6:7], s[6:7]
	s_cbranch_execz .LBB186_37
; %bb.36:
	s_movk_i32 s16, 0x108
	v_mad_u32_u24 v5, v6, s16, v9
	ds_read_b64 v[12:13], v5
	v_lshl_add_u32 v4, v1, 3, v4
	v_mul_u32_u24_e32 v5, 0x108, v6
	s_waitcnt lgkmcnt(0)
	ds_write_b64 v4, v[12:13] offset:24
.LBB186_37:
	s_or_b64 exec, exec, s[6:7]
	s_movk_i32 s6, 0x420
	v_mad_u32_u24 v4, v8, s6, v9
	s_movk_i32 s6, 0x108
	v_mad_u32_u24 v6, v10, s6, v9
	s_waitcnt lgkmcnt(0)
	s_barrier
	v_lshlrev_b32_e32 v12, 3, v1
	ds_read2_b64 v[26:29], v6 offset1:33
	v_add_u32_e32 v11, v9, v5
	ds_read_b64 v[14:15], v4
	ds_read_b128 v[4:7], v12 offset:9088
	ds_read_b64 v[20:21], v11
	ds_read_b128 v[36:39], v12 offset:9104
	v_mul_u32_u24_e32 v13, 33, v0
	v_lshlrev_b32_e32 v23, 3, v13
	v_lshl_add_u32 v24, v8, 3, v23
	s_waitcnt lgkmcnt(2)
	v_pk_mul_f32 v[30:31], v[4:5], v[14:15] op_sel:[1,1] op_sel_hi:[0,1]
	v_pk_fma_f32 v[34:35], v[4:5], v[14:15], v[30:31] neg_lo:[0,0,1] neg_hi:[0,0,1]
	v_pk_fma_f32 v[4:5], v[4:5], v[14:15], v[30:31] op_sel_hi:[1,0,1]
	v_pk_mul_f32 v[14:15], v[6:7], v[26:27] op_sel:[1,1] op_sel_hi:[0,1]
	v_pk_fma_f32 v[30:31], v[6:7], v[26:27], v[14:15] neg_lo:[0,0,1] neg_hi:[0,0,1]
	v_pk_fma_f32 v[6:7], v[6:7], v[26:27], v[14:15] op_sel_hi:[1,0,1]
	v_mov_b32_e32 v35, v5
	v_mov_b32_e32 v31, v7
	s_waitcnt lgkmcnt(0)
	v_pk_mul_f32 v[6:7], v[36:37], v[28:29] op_sel:[1,1] op_sel_hi:[0,1]
	v_pk_add_f32 v[4:5], v[34:35], 0 op_sel_hi:[1,0]
	v_pk_fma_f32 v[14:15], v[36:37], v[28:29], v[6:7] neg_lo:[0,0,1] neg_hi:[0,0,1]
	v_pk_fma_f32 v[6:7], v[36:37], v[28:29], v[6:7] op_sel_hi:[1,0,1]
	v_pk_add_f32 v[4:5], v[4:5], v[30:31]
	v_mov_b32_e32 v15, v7
	v_pk_mul_f32 v[6:7], v[38:39], v[20:21] op_sel:[1,1] op_sel_hi:[0,1]
	v_pk_add_f32 v[4:5], v[4:5], v[14:15]
	v_pk_fma_f32 v[14:15], v[38:39], v[20:21], v[6:7] neg_lo:[0,0,1] neg_hi:[0,0,1]
	v_pk_fma_f32 v[6:7], v[38:39], v[20:21], v[6:7] op_sel_hi:[1,0,1]
	v_mov_b32_e32 v34, 0
	v_mov_b32_e32 v15, v7
	v_mov_b32_e32 v35, v34
	v_pk_add_f32 v[4:5], v[4:5], v[14:15]
	v_cmp_gt_u32_e64 s[6:7], 32, v22
	s_barrier
	ds_write_b64 v24, v[4:5]
	s_waitcnt lgkmcnt(0)
	s_barrier
	s_and_saveexec_b64 s[16:17], s[6:7]
	s_cbranch_execz .LBB186_39
; %bb.38:
	ds_read2_b64 v[4:7], v23 offset1:7
	ds_read2_b64 v[26:29], v23 offset0:1 offset1:2
	ds_read2_b64 v[34:37], v23 offset0:3 offset1:4
	s_waitcnt lgkmcnt(1)
	v_add_f32_e32 v4, v26, v4
	v_add_f32_e32 v5, v27, v5
	;; [unrolled: 1-line block ×4, first 2 shown]
	ds_read2_b64 v[26:29], v23 offset0:5 offset1:6
	s_waitcnt lgkmcnt(1)
	v_add_f32_e32 v4, v4, v34
	v_add_f32_e32 v5, v5, v35
	;; [unrolled: 1-line block ×4, first 2 shown]
	s_waitcnt lgkmcnt(0)
	v_add_f32_e32 v4, v4, v26
	v_add_f32_e32 v5, v5, v27
	;; [unrolled: 1-line block ×4, first 2 shown]
	v_pk_add_f32 v[34:35], v[4:5], v[6:7]
.LBB186_39:
	s_or_b64 exec, exec, s[16:17]
	s_lshl_b64 s[24:25], s[26:27], 8
	v_lshl_add_u64 v[6:7], v[2:3], 0, s[24:25]
	v_cndmask_b32_e64 v2, 0, 1, s[20:21]
	s_mov_b64 s[40:41], 0x100
	v_cmp_ne_u32_e64 s[16:17], 1, v2
	s_andn2_b64 vcc, exec, s[20:21]
	s_mov_b64 s[20:21], -1
	s_barrier
	s_cbranch_vccnz .LBB186_41
; %bb.40:
	s_lshl_b64 s[20:21], s[26:27], 6
	v_lshl_add_u64 v[2:3], v[6:7], 0, s[20:21]
	v_lshl_add_u64 v[4:5], v[2:3], 0, s[20:21]
	;; [unrolled: 1-line block ×3, first 2 shown]
	flat_load_dwordx2 v[20:21], v[6:7] offset:256
	flat_load_dwordx2 v[26:27], v[2:3] offset:256
	flat_load_dwordx2 v[28:29], v[4:5] offset:256
	flat_load_dwordx2 v[30:31], v[14:15] offset:256
	s_movk_i32 s20, 0x108
	v_mad_u32_u24 v2, v8, s20, v9
	s_mov_b64 s[20:21], 0
	s_waitcnt vmcnt(0) lgkmcnt(0)
	ds_write_b64 v2, v[20:21]
	ds_write_b64 v2, v[26:27] offset:2112
	ds_write_b64 v2, v[28:29] offset:4224
	;; [unrolled: 1-line block ×3, first 2 shown]
.LBB186_41:
	s_andn2_b64 vcc, exec, s[20:21]
	v_lshl_add_u64 v[2:3], v[6:7], 0, s[40:41]
	s_cbranch_vccnz .LBB186_57
; %bb.42:
	v_lshlrev_b32_e32 v4, 3, v0
	v_sub_co_u32_e32 v6, vcc, v6, v4
	s_ashr_i32 s31, s30, 31
	s_nop 0
	v_subbrev_co_u32_e32 v7, vcc, 0, v7, vcc
	v_or_b32_e32 v5, 32, v0
	v_lshl_add_u64 v[6:7], s[30:31], 3, v[6:7]
	v_mov_b32_e32 v14, 0
	v_lshl_add_u64 v[6:7], v[6:7], 0, -8
	v_cmp_gt_i32_e32 vcc, s30, v5
	s_sub_i32 s42, s30, 32
	v_cmp_gt_i32_e64 s[20:21], s42, v8
	v_cndmask_b32_e32 v7, v7, v3, vcc
	v_cndmask_b32_e32 v6, v6, v2, vcc
	v_mov_b32_e32 v15, v14
	s_and_saveexec_b64 s[40:41], s[20:21]
	s_cbranch_execz .LBB186_44
; %bb.43:
	flat_load_dwordx2 v[14:15], v[6:7]
.LBB186_44:
	s_or_b64 exec, exec, s[40:41]
	s_movk_i32 s20, 0x108
	v_mad_u32_u24 v13, v8, s20, v9
	s_waitcnt vmcnt(0) lgkmcnt(0)
	ds_write_b64 v13, v[14:15]
	v_add_u32_e32 v13, 8, v8
	v_mul_u32_u24_e32 v5, 0x108, v8
	v_cmp_le_i32_e64 s[20:21], s42, v13
	s_and_saveexec_b64 s[40:41], s[20:21]
	s_xor_b64 s[20:21], exec, s[40:41]
; %bb.45:
	v_mov_b32_e32 v14, 0
	v_add_u32_e32 v13, v5, v9
	v_mov_b32_e32 v15, v14
	ds_write_b64 v13, v[14:15] offset:2112
; %bb.46:
	s_andn2_saveexec_b64 s[20:21], s[20:21]
	s_cbranch_execz .LBB186_48
; %bb.47:
	s_lshl_b64 s[40:41], s[26:27], 6
	v_lshl_add_u64 v[14:15], v[6:7], 0, s[40:41]
	flat_load_dwordx2 v[14:15], v[14:15]
	v_add_u32_e32 v13, v5, v9
	s_waitcnt vmcnt(0) lgkmcnt(0)
	ds_write_b64 v13, v[14:15] offset:2112
.LBB186_48:
	s_or_b64 exec, exec, s[20:21]
	v_add_u32_e32 v13, 16, v8
	v_cmp_le_i32_e64 s[20:21], s42, v13
	s_and_saveexec_b64 s[40:41], s[20:21]
	s_xor_b64 s[20:21], exec, s[40:41]
; %bb.49:
	v_mov_b32_e32 v14, 0
	v_add_u32_e32 v13, v5, v9
	v_mov_b32_e32 v15, v14
	ds_write_b64 v13, v[14:15] offset:4224
; %bb.50:
	s_andn2_saveexec_b64 s[20:21], s[20:21]
	s_cbranch_execz .LBB186_52
; %bb.51:
	s_lshl_b64 s[40:41], s[26:27], 7
	v_lshl_add_u64 v[14:15], v[6:7], 0, s[40:41]
	flat_load_dwordx2 v[14:15], v[14:15]
	v_add_u32_e32 v13, v5, v9
	s_waitcnt vmcnt(0) lgkmcnt(0)
	ds_write_b64 v13, v[14:15] offset:4224
.LBB186_52:
	s_or_b64 exec, exec, s[20:21]
	v_add_u32_e32 v13, 24, v8
	v_cmp_le_i32_e64 s[20:21], s42, v13
	s_and_saveexec_b64 s[40:41], s[20:21]
	s_xor_b64 s[20:21], exec, s[40:41]
; %bb.53:
	v_mov_b32_e32 v14, 0
	v_add_u32_e32 v5, v5, v9
	v_mov_b32_e32 v15, v14
	ds_write_b64 v5, v[14:15] offset:6336
                                        ; implicit-def: $vgpr5
; %bb.54:
	s_andn2_saveexec_b64 s[20:21], s[20:21]
	s_cbranch_execz .LBB186_56
; %bb.55:
	v_mov_b32_e32 v13, 0xc0
	v_mad_u64_u32 v[14:15], s[40:41], s26, v13, v[6:7]
	s_mul_i32 s40, s27, 0xc0
	s_nop 0
	v_add_u32_e32 v15, s40, v15
	flat_load_dwordx2 v[14:15], v[14:15]
	v_add_u32_e32 v5, v5, v9
	s_waitcnt vmcnt(0) lgkmcnt(0)
	ds_write_b64 v5, v[14:15] offset:6336
.LBB186_56:
	s_or_b64 exec, exec, s[20:21]
	v_mov_b32_e32 v5, 0
	v_lshl_add_u64 v[4:5], v[6:7], 0, v[4:5]
	s_lshl_b64 s[20:21], s[30:31], 3
	v_mov_b32_e32 v6, s21
	v_subrev_co_u32_e64 v4, s[20:21], s20, v4
	s_nop 1
	v_subb_co_u32_e64 v5, s[20:21], v5, v6, s[20:21]
	s_mov_b64 s[20:21], 0x108
	s_nop 0
	v_lshl_add_u64 v[4:5], v[4:5], 0, s[20:21]
	v_cndmask_b32_e32 v3, v5, v3, vcc
	v_cndmask_b32_e32 v2, v4, v2, vcc
.LBB186_57:
	v_mul_u32_u24_e32 v5, 0x420, v8
	v_add_u32_e32 v4, 0x2380, v12
	v_mul_u32_u24_e32 v6, 0x108, v10
	s_lshl_b64 s[20:21], s[26:27], 5
	v_add_u32_e32 v5, v9, v5
	s_waitcnt lgkmcnt(0)
	s_barrier
	s_and_saveexec_b64 s[40:41], s[8:9]
	s_cbranch_execnz .LBB186_66
; %bb.58:
	s_or_b64 exec, exec, s[40:41]
	v_add_u32_e32 v6, v9, v6
	s_and_saveexec_b64 s[8:9], s[10:11]
	s_cbranch_execnz .LBB186_67
.LBB186_59:
	s_or_b64 exec, exec, s[8:9]
	s_and_saveexec_b64 s[8:9], s[12:13]
	s_cbranch_execnz .LBB186_68
.LBB186_60:
	s_or_b64 exec, exec, s[8:9]
	s_and_saveexec_b64 s[8:9], s[14:15]
	s_cbranch_execz .LBB186_62
.LBB186_61:
	ds_read_b64 v[12:13], v11
	v_lshl_add_u32 v7, v1, 3, v23
	s_waitcnt lgkmcnt(0)
	ds_write_b64 v7, v[12:13] offset:24
.LBB186_62:
	s_or_b64 exec, exec, s[8:9]
	s_waitcnt lgkmcnt(0)
	s_barrier
	ds_read_b64 v[20:21], v5
	ds_read_b128 v[12:15], v4 offset:256
	ds_read2_b64 v[26:29], v6 offset1:33
	ds_read_b64 v[6:7], v11
	ds_read_b128 v[36:39], v4 offset:272
	v_cmp_eq_u32_e64 s[8:9], 1, v8
	s_waitcnt lgkmcnt(3)
	v_pk_mul_f32 v[10:11], v[12:13], v[20:21] op_sel:[1,1] op_sel_hi:[0,1]
	v_pk_fma_f32 v[30:31], v[12:13], v[20:21], v[10:11] neg_lo:[0,0,1] neg_hi:[0,0,1]
	v_pk_fma_f32 v[10:11], v[12:13], v[20:21], v[10:11] op_sel_hi:[1,0,1]
	s_waitcnt lgkmcnt(2)
	v_pk_mul_f32 v[12:13], v[14:15], v[26:27] op_sel:[1,1] op_sel_hi:[0,1]
	v_pk_fma_f32 v[20:21], v[14:15], v[26:27], v[12:13] neg_lo:[0,0,1] neg_hi:[0,0,1]
	v_pk_fma_f32 v[12:13], v[14:15], v[26:27], v[12:13] op_sel_hi:[1,0,1]
	v_mov_b32_e32 v31, v11
	v_mov_b32_e32 v21, v13
	s_waitcnt lgkmcnt(0)
	v_pk_mul_f32 v[12:13], v[36:37], v[28:29] op_sel:[1,1] op_sel_hi:[0,1]
	v_pk_add_f32 v[10:11], v[30:31], 0 op_sel_hi:[1,0]
	v_pk_fma_f32 v[14:15], v[36:37], v[28:29], v[12:13] neg_lo:[0,0,1] neg_hi:[0,0,1]
	v_pk_fma_f32 v[12:13], v[36:37], v[28:29], v[12:13] op_sel_hi:[1,0,1]
	v_pk_add_f32 v[10:11], v[10:11], v[20:21]
	v_mov_b32_e32 v15, v13
	v_pk_mul_f32 v[12:13], v[38:39], v[6:7] op_sel:[1,1] op_sel_hi:[0,1]
	v_pk_add_f32 v[10:11], v[10:11], v[14:15]
	v_pk_fma_f32 v[14:15], v[38:39], v[6:7], v[12:13] neg_lo:[0,0,1] neg_hi:[0,0,1]
	v_pk_fma_f32 v[6:7], v[38:39], v[6:7], v[12:13] op_sel_hi:[1,0,1]
	s_nop 0
	v_mov_b32_e32 v15, v7
	v_pk_add_f32 v[6:7], v[10:11], v[14:15]
	s_barrier
	ds_write_b64 v24, v[6:7]
	s_waitcnt lgkmcnt(0)
	s_barrier
	s_and_saveexec_b64 s[10:11], s[8:9]
	s_cbranch_execz .LBB186_64
; %bb.63:
	ds_read2_b64 v[10:13], v23 offset1:7
	ds_read2_b64 v[26:29], v23 offset0:1 offset1:2
	ds_read2_b64 v[34:37], v23 offset0:3 offset1:4
	s_waitcnt lgkmcnt(1)
	v_add_f32_e32 v5, v26, v10
	v_add_f32_e32 v6, v27, v11
	;; [unrolled: 1-line block ×4, first 2 shown]
	ds_read2_b64 v[26:29], v23 offset0:5 offset1:6
	s_waitcnt lgkmcnt(1)
	v_add_f32_e32 v5, v5, v34
	v_add_f32_e32 v6, v6, v35
	v_add_f32_e32 v5, v5, v36
	v_add_f32_e32 v7, v6, v37
	s_waitcnt lgkmcnt(0)
	v_add_f32_e32 v6, v5, v26
	v_add_f32_e32 v7, v7, v27
	v_pk_add_f32 v[6:7], v[6:7], v[28:29]
	s_nop 0
	v_pk_add_f32 v[34:35], v[6:7], v[12:13]
.LBB186_64:
	s_or_b64 exec, exec, s[10:11]
	s_lshl_b64 s[10:11], s[20:21], 3
	v_mov_b32_e32 v5, s11
	v_subrev_co_u32_e64 v20, s[10:11], s10, v2
	s_and_b64 vcc, exec, s[16:17]
	s_nop 0
	v_subb_co_u32_e64 v21, s[10:11], v3, v5, s[10:11]
	s_barrier
	s_cbranch_vccnz .LBB186_69
; %bb.65:
	s_lshl_b64 s[10:11], s[26:27], 6
	v_lshl_add_u64 v[2:3], v[20:21], 0, s[10:11]
	v_lshl_add_u64 v[6:7], v[2:3], 0, s[10:11]
	;; [unrolled: 1-line block ×3, first 2 shown]
	flat_load_dwordx2 v[12:13], v[20:21]
	flat_load_dwordx2 v[14:15], v[2:3]
	;; [unrolled: 1-line block ×4, first 2 shown]
	s_movk_i32 s10, 0x108
	v_mov_b32_e32 v2, 0x840
	v_mov_b32_e32 v3, 0x1080
	;; [unrolled: 1-line block ×3, first 2 shown]
	v_mul_u32_u24_e32 v5, 0x108, v8
	v_add_u32_e32 v6, 8, v8
	v_add_u32_e32 v7, 16, v8
	;; [unrolled: 1-line block ×3, first 2 shown]
	v_mad_u32_u24 v25, v8, s10, v9
	v_mad_u32_u24 v2, v8, s10, v2
	;; [unrolled: 1-line block ×4, first 2 shown]
	v_add_u32_e32 v30, v9, v2
	v_add_u32_e32 v31, v9, v3
	;; [unrolled: 1-line block ×3, first 2 shown]
	s_waitcnt vmcnt(0) lgkmcnt(0)
	ds_write_b64 v25, v[12:13]
	ds_write_b64 v30, v[14:15]
	;; [unrolled: 1-line block ×4, first 2 shown]
	s_cbranch_execz .LBB186_70
	s_branch .LBB186_85
.LBB186_66:
	ds_read_b64 v[12:13], v5
	v_lshl_add_u32 v7, v1, 3, v23
	s_waitcnt lgkmcnt(0)
	ds_write_b64 v7, v[12:13]
	s_or_b64 exec, exec, s[40:41]
	v_add_u32_e32 v6, v9, v6
	s_and_saveexec_b64 s[8:9], s[10:11]
	s_cbranch_execz .LBB186_59
.LBB186_67:
	ds_read_b64 v[12:13], v6
	v_lshl_add_u32 v7, v1, 3, v23
	s_waitcnt lgkmcnt(0)
	ds_write_b64 v7, v[12:13] offset:8
	s_or_b64 exec, exec, s[8:9]
	s_and_saveexec_b64 s[8:9], s[12:13]
	s_cbranch_execz .LBB186_60
.LBB186_68:
	ds_read_b64 v[12:13], v6 offset:264
	v_lshl_add_u32 v7, v1, 3, v23
	s_waitcnt lgkmcnt(0)
	ds_write_b64 v7, v[12:13] offset:16
	s_or_b64 exec, exec, s[8:9]
	s_and_saveexec_b64 s[8:9], s[14:15]
	s_cbranch_execnz .LBB186_61
	s_branch .LBB186_62
.LBB186_69:
                                        ; implicit-def: $vgpr5
                                        ; implicit-def: $vgpr6
                                        ; implicit-def: $vgpr2
                                        ; implicit-def: $vgpr7
                                        ; implicit-def: $vgpr3
                                        ; implicit-def: $vgpr10
                                        ; implicit-def: $vgpr11
.LBB186_70:
	v_or_b32_e32 v5, 32, v0
	v_lshlrev_b32_e32 v2, 3, v5
	v_sub_co_u32_e32 v2, vcc, v20, v2
	s_ashr_i32 s31, s30, 31
	s_nop 0
	v_subbrev_co_u32_e32 v3, vcc, 0, v21, vcc
	v_lshl_add_u64 v[2:3], s[30:31], 3, v[2:3]
	v_mov_b32_e32 v6, 0
	v_lshl_add_u64 v[2:3], v[2:3], 0, -8
	v_cmp_gt_i32_e32 vcc, s30, v5
	v_cmp_gt_i32_e64 s[10:11], s30, v8
	v_mov_b32_e32 v7, v6
	v_cndmask_b32_e32 v3, v3, v21, vcc
	v_cndmask_b32_e32 v2, v2, v20, vcc
	s_and_saveexec_b64 s[12:13], s[10:11]
	s_cbranch_execz .LBB186_72
; %bb.71:
	flat_load_dwordx2 v[6:7], v[2:3]
.LBB186_72:
	s_or_b64 exec, exec, s[12:13]
	s_movk_i32 s10, 0x108
	v_mad_u32_u24 v10, v8, s10, v9
	s_waitcnt vmcnt(0) lgkmcnt(0)
	ds_write_b64 v10, v[6:7]
	v_add_u32_e32 v6, 8, v8
	v_mul_u32_u24_e32 v5, 0x108, v8
	v_cmp_le_i32_e64 s[10:11], s30, v6
	s_and_saveexec_b64 s[12:13], s[10:11]
	s_xor_b64 s[10:11], exec, s[12:13]
; %bb.73:
	v_mov_b32_e32 v10, 0
	v_add_u32_e32 v7, v5, v9
	v_mov_b32_e32 v11, v10
	ds_write_b64 v7, v[10:11] offset:2112
; %bb.74:
	s_andn2_saveexec_b64 s[10:11], s[10:11]
	s_cbranch_execz .LBB186_76
; %bb.75:
	s_lshl_b64 s[12:13], s[26:27], 6
	v_lshl_add_u64 v[10:11], v[2:3], 0, s[12:13]
	flat_load_dwordx2 v[10:11], v[10:11]
	v_add_u32_e32 v7, v5, v9
	s_waitcnt vmcnt(0) lgkmcnt(0)
	ds_write_b64 v7, v[10:11] offset:2112
.LBB186_76:
	s_or_b64 exec, exec, s[10:11]
	v_add_u32_e32 v7, 16, v8
	v_cmp_le_i32_e64 s[10:11], s30, v7
	s_and_saveexec_b64 s[12:13], s[10:11]
	s_xor_b64 s[10:11], exec, s[12:13]
; %bb.77:
	v_mov_b32_e32 v12, 0
	v_add_u32_e32 v10, v5, v9
	v_mov_b32_e32 v13, v12
	ds_write_b64 v10, v[12:13] offset:4224
; %bb.78:
	s_andn2_saveexec_b64 s[10:11], s[10:11]
	s_cbranch_execz .LBB186_80
; %bb.79:
	s_lshl_b64 s[12:13], s[26:27], 7
	v_lshl_add_u64 v[10:11], v[2:3], 0, s[12:13]
	flat_load_dwordx2 v[10:11], v[10:11]
	v_add_u32_e32 v12, v5, v9
	s_waitcnt vmcnt(0) lgkmcnt(0)
	ds_write_b64 v12, v[10:11] offset:4224
.LBB186_80:
	s_or_b64 exec, exec, s[10:11]
	v_add_u32_e32 v10, 24, v8
	v_cmp_le_i32_e64 s[10:11], s30, v10
                                        ; implicit-def: $vgpr11
	s_and_saveexec_b64 s[12:13], s[10:11]
	s_xor_b64 s[10:11], exec, s[12:13]
; %bb.81:
	v_add_u32_e32 v11, 0x18c0, v5
	v_mov_b32_e32 v14, 0
	v_add_u32_e32 v12, v9, v11
	v_mov_b32_e32 v15, v14
	ds_write_b64 v12, v[14:15]
; %bb.82:
	s_andn2_saveexec_b64 s[10:11], s[10:11]
	s_cbranch_execz .LBB186_84
; %bb.83:
	v_mov_b32_e32 v11, 0xc0
	v_mad_u64_u32 v[12:13], s[12:13], s26, v11, v[2:3]
	s_mul_i32 s12, s27, 0xc0
	s_nop 0
	v_add_u32_e32 v13, s12, v13
	flat_load_dwordx2 v[12:13], v[12:13]
	v_add_u32_e32 v11, 0x18c0, v5
	v_add_u32_e32 v14, v9, v11
	s_waitcnt vmcnt(0) lgkmcnt(0)
	ds_write_b64 v14, v[12:13]
.LBB186_84:
	s_or_b64 exec, exec, s[10:11]
	v_lshlrev_b32_e32 v12, 3, v0
	v_mov_b32_e32 v13, 0
	v_lshl_add_u64 v[2:3], v[2:3], 0, v[12:13]
	s_lshl_b64 s[10:11], s[30:31], 3
	v_mov_b32_e32 v0, s11
	v_subrev_co_u32_e64 v2, s[10:11], s10, v2
	s_nop 1
	v_subb_co_u32_e64 v3, s[10:11], v3, v0, s[10:11]
	s_mov_b64 s[10:11], 0x108
	s_nop 0
	v_lshl_add_u64 v[2:3], v[2:3], 0, s[10:11]
	v_cndmask_b32_e32 v21, v3, v21, vcc
	v_cndmask_b32_e32 v20, v2, v20, vcc
	v_add_u32_e32 v2, 0x840, v5
	v_add_u32_e32 v3, 0x1080, v5
.LBB186_85:
	v_lshlrev_b32_e32 v36, 3, v8
	v_add_u32_e32 v28, v9, v2
	v_lshlrev_b32_e32 v30, 3, v6
	v_add_u32_e32 v38, v9, v3
	;; [unrolled: 2-line block ×3, first 2 shown]
	v_lshlrev_b32_e32 v42, 3, v10
	v_lshl_add_u32 v0, v1, 3, v23
	s_waitcnt lgkmcnt(0)
	s_barrier
	v_add_u32_e32 v25, v9, v5
	ds_read2_b64 v[8:11], v0 offset1:1
	ds_read2_b64 v[0:3], v0 offset0:2 offset1:3
	ds_read_b128 v[12:15], v4 offset:256
	ds_read_b128 v[4:7], v4 offset:272
	ds_read_b64 v[26:27], v25
	ds_read_b64 v[28:29], v28
	ds_read_b64 v[30:31], v30 offset:9088
	ds_read_b64 v[36:37], v36 offset:9088
	ds_read_b64 v[38:39], v38
	ds_read2_b32 v[40:41], v40 offset1:1
	ds_read_b64 v[42:43], v42 offset:9088
	ds_read_b64 v[44:45], v44 offset:9088
	s_waitcnt lgkmcnt(4)
	v_pk_mul_f32 v[46:47], v[36:37], v[26:27] op_sel:[1,1] op_sel_hi:[0,1]
	v_pk_fma_f32 v[48:49], v[36:37], v[26:27], v[46:47] neg_lo:[0,0,1] neg_hi:[0,0,1]
	v_pk_fma_f32 v[26:27], v[36:37], v[26:27], v[46:47] op_sel_hi:[1,0,1]
	v_pk_mul_f32 v[36:37], v[30:31], v[28:29] op_sel:[1,1] op_sel_hi:[0,1]
	v_pk_fma_f32 v[46:47], v[30:31], v[28:29], v[36:37] neg_lo:[0,0,1] neg_hi:[0,0,1]
	v_pk_fma_f32 v[28:29], v[30:31], v[28:29], v[36:37] op_sel_hi:[1,0,1]
	v_mov_b32_e32 v49, v27
	v_mov_b32_e32 v47, v29
	s_waitcnt lgkmcnt(0)
	v_pk_mul_f32 v[28:29], v[44:45], v[38:39] op_sel:[1,1] op_sel_hi:[0,1]
	v_pk_add_f32 v[26:27], v[48:49], 0 op_sel_hi:[1,0]
	v_pk_fma_f32 v[30:31], v[44:45], v[38:39], v[28:29] neg_lo:[0,0,1] neg_hi:[0,0,1]
	v_pk_fma_f32 v[28:29], v[44:45], v[38:39], v[28:29] op_sel_hi:[1,0,1]
	v_pk_add_f32 v[26:27], v[26:27], v[46:47]
	v_mov_b32_e32 v31, v29
	v_pk_mul_f32 v[28:29], v[42:43], v[40:41] op_sel:[1,1] op_sel_hi:[0,1]
	v_pk_add_f32 v[26:27], v[26:27], v[30:31]
	v_pk_fma_f32 v[30:31], v[42:43], v[40:41], v[28:29] neg_lo:[0,0,1] neg_hi:[0,0,1]
	v_pk_fma_f32 v[28:29], v[42:43], v[40:41], v[28:29] op_sel_hi:[1,0,1]
	s_nop 0
	v_mov_b32_e32 v31, v29
	v_pk_add_f32 v[26:27], v[26:27], v[30:31]
	s_barrier
	ds_write_b64 v24, v[26:27]
	s_waitcnt lgkmcnt(0)
	s_barrier
	s_and_saveexec_b64 s[10:11], s[8:9]
	s_cbranch_execz .LBB186_87
; %bb.86:
	ds_read2_b64 v[26:29], v23 offset1:1
	ds_read2_b64 v[36:39], v23 offset0:2 offset1:3
	ds_read2_b64 v[40:43], v23 offset0:4 offset1:5
	s_waitcnt lgkmcnt(2)
	v_pk_add_f32 v[26:27], v[34:35], v[26:27]
	s_nop 0
	v_pk_add_f32 v[30:31], v[26:27], v[28:29]
	ds_read2_b64 v[26:29], v23 offset0:6 offset1:7
	s_waitcnt lgkmcnt(2)
	v_pk_add_f32 v[30:31], v[30:31], v[36:37]
	s_nop 0
	v_pk_add_f32 v[30:31], v[30:31], v[38:39]
	s_waitcnt lgkmcnt(1)
	v_pk_add_f32 v[30:31], v[30:31], v[40:41]
	s_nop 0
	v_pk_add_f32 v[30:31], v[30:31], v[42:43]
	;; [unrolled: 4-line block ×3, first 2 shown]
.LBB186_87:
	s_or_b64 exec, exec, s[10:11]
	v_pk_mul_f32 v[26:27], v[12:13], v[8:9] op_sel:[1,1] op_sel_hi:[0,1]
	v_pk_fma_f32 v[28:29], v[12:13], v[8:9], v[26:27] neg_lo:[0,0,1] neg_hi:[0,0,1]
	v_pk_fma_f32 v[8:9], v[12:13], v[8:9], v[26:27] op_sel_hi:[1,0,1]
	v_mov_b32_e32 v12, v11
	v_pk_mul_f32 v[12:13], v[14:15], v[12:13] op_sel:[1,0] op_sel_hi:[0,0]
	v_pk_fma_f32 v[26:27], v[14:15], v[10:11], v[12:13] neg_lo:[0,0,1] neg_hi:[0,0,1]
	v_pk_fma_f32 v[10:11], v[14:15], v[10:11], v[12:13] op_sel_hi:[1,0,1]
	v_mov_b32_e32 v29, v9
	v_mov_b32_e32 v27, v11
	v_pk_mul_f32 v[10:11], v[4:5], v[0:1] op_sel:[1,1] op_sel_hi:[0,1]
	v_pk_add_f32 v[8:9], v[28:29], 0 op_sel_hi:[1,0]
	v_pk_fma_f32 v[12:13], v[4:5], v[0:1], v[10:11] neg_lo:[0,0,1] neg_hi:[0,0,1]
	v_pk_fma_f32 v[0:1], v[4:5], v[0:1], v[10:11] op_sel_hi:[1,0,1]
	v_mov_b32_e32 v4, v3
	v_pk_add_f32 v[8:9], v[8:9], v[26:27]
	v_mov_b32_e32 v13, v1
	v_pk_mul_f32 v[4:5], v[6:7], v[4:5] op_sel:[1,0] op_sel_hi:[0,0]
	v_pk_add_f32 v[0:1], v[8:9], v[12:13]
	v_pk_fma_f32 v[8:9], v[6:7], v[2:3], v[4:5] neg_lo:[0,0,1] neg_hi:[0,0,1]
	v_pk_fma_f32 v[2:3], v[6:7], v[2:3], v[4:5] op_sel_hi:[1,0,1]
	s_nop 0
	v_mov_b32_e32 v9, v3
	v_pk_add_f32 v[0:1], v[0:1], v[8:9]
	s_barrier
	ds_write_b64 v24, v[0:1]
	s_waitcnt lgkmcnt(0)
	s_barrier
	s_and_saveexec_b64 s[8:9], s[6:7]
	s_cbranch_execz .LBB186_89
; %bb.88:
	ds_read2_b64 v[0:3], v23 offset1:1
	ds_read2_b64 v[4:7], v23 offset0:2 offset1:3
	ds_read2_b64 v[8:11], v23 offset0:4 offset1:5
	s_waitcnt lgkmcnt(2)
	v_pk_add_f32 v[0:1], v[34:35], v[0:1]
	s_nop 0
	v_pk_add_f32 v[12:13], v[0:1], v[2:3]
	ds_read2_b64 v[0:3], v23 offset0:6 offset1:7
	s_waitcnt lgkmcnt(2)
	v_pk_add_f32 v[4:5], v[12:13], v[4:5]
	s_nop 0
	v_pk_add_f32 v[4:5], v[4:5], v[6:7]
	s_waitcnt lgkmcnt(1)
	v_pk_add_f32 v[4:5], v[4:5], v[8:9]
	s_nop 0
	v_pk_add_f32 v[4:5], v[4:5], v[10:11]
	s_waitcnt lgkmcnt(0)
	v_pk_add_f32 v[0:1], v[4:5], v[0:1]
	s_nop 0
	v_pk_add_f32 v[34:35], v[0:1], v[2:3]
.LBB186_89:
	s_or_b64 exec, exec, s[8:9]
	s_load_dwordx2 s[0:1], s[0:1], 0x68
	s_mul_hi_u32 s6, s3, s28
	s_mul_i32 s33, s33, s28
	s_add_i32 s6, s6, s33
	s_mul_i32 s8, s3, s28
	s_mul_i32 s6, s6, s29
	s_mul_hi_u32 s7, s8, s29
	s_add_i32 s7, s7, s6
	s_mul_i32 s6, s8, s29
	s_lshl_b64 s[6:7], s[6:7], 3
	s_waitcnt lgkmcnt(0)
	s_add_u32 s6, s0, s6
	s_mul_i32 s0, s3, s2
	s_addc_u32 s7, s1, s7
	s_ashr_i32 s1, s0, 31
	s_lshl_b64 s[0:1], s[0:1], 3
	s_add_u32 s6, s6, s0
	v_cmp_le_i32_e32 vcc, s30, v77
	s_addc_u32 s7, s7, s1
	s_and_b64 vcc, s[38:39], vcc
	s_cmp_lt_i32 s2, 1
	v_lshlrev_b32_e32 v36, 3, v77
	s_barrier
	s_cbranch_scc1 .LBB186_96
; %bb.90:
	s_mul_i32 s0, s22, s35
	s_mul_hi_u32 s1, s22, s34
	s_add_i32 s0, s1, s0
	s_mul_i32 s1, s23, s34
	s_add_i32 s1, s0, s1
	s_mul_i32 s0, s22, s34
	s_lshl_b64 s[0:1], s[0:1], 3
	v_mov_b32_e32 v0, s1
	v_subrev_co_u32_e64 v38, s[0:1], s0, v16
	v_lshlrev_b64 v[2:3], 3, v[18:19]
	s_nop 0
	v_subb_co_u32_e64 v39, s[0:1], v17, v0, s[0:1]
	s_lshl_b64 s[0:1], s[36:37], 3
	s_nop 0
	v_mov_b32_e32 v1, s1
	v_subrev_co_u32_e64 v0, s[0:1], s0, v20
	v_lshlrev_b32_e32 v5, 2, v76
	s_nop 0
	v_subb_co_u32_e64 v1, s[0:1], v21, v1, s[0:1]
	s_movk_i32 s0, 0xff00
	s_mov_b32 s1, -1
	v_lshl_add_u64 v[0:1], v[0:1], 0, s[0:1]
	v_sub_co_u32_e64 v0, s[0:1], v0, v2
	s_ashr_i32 s31, s30, 31
	s_nop 0
	v_subb_co_u32_e64 v1, s[0:1], v1, v3, s[0:1]
	v_mad_u64_u32 v[2:3], s[0:1], s26, v5, 0
	v_mov_b32_e32 v4, v3
	v_mad_u64_u32 v[4:5], s[0:1], s27, v5, v[4:5]
	v_mov_b32_e32 v3, v4
	v_lshl_add_u64 v[0:1], v[2:3], 3, v[0:1]
	v_mov_b32_e32 v41, 0
	v_lshl_add_u64 v[2:3], s[30:31], 3, v[0:1]
	v_mov_b32_e32 v37, v41
	v_lshl_add_u64 v[2:3], v[2:3], 0, -8
	v_lshl_add_u64 v[0:1], v[0:1], 0, v[36:37]
	v_cndmask_b32_e32 v43, v1, v3, vcc
	v_and_b32_e32 v1, 48, v77
	v_lshrrev_b32_e32 v6, 4, v22
	v_and_b32_e32 v7, 15, v77
	v_cndmask_b32_e32 v42, v0, v2, vcc
	v_mov_b32_e32 v0, 0x2180
	s_movk_i32 s3, 0x218
	v_lshlrev_b32_e32 v1, 3, v1
	v_lshl_add_u32 v78, v76, 5, v0
	v_lshlrev_b32_e32 v0, 5, v6
	v_mad_u32_u24 v82, v7, s3, v1
	v_or_b32_e32 v1, 0x78, v36
	v_mad_u32_u24 v81, v7, s3, v0
	v_mad_u32_u24 v83, v7, s3, v1
	s_mul_i32 s3, s27, 24
	s_mul_hi_u32 s14, s26, 24
	s_add_i32 s15, s14, s3
	s_mul_i32 s3, s27, 0x90
	s_mul_hi_u32 s20, s26, 0x90
	s_add_i32 s21, s20, s3
	;; [unrolled: 3-line block ×9, first 2 shown]
	s_mul_i32 s3, s27, 0x108
	s_mul_hi_u32 s33, s26, 0x108
	s_movk_i32 s0, 0x860
	v_mul_i32_i24_e32 v0, 0xffffffe8, v6
	s_lshl_b64 s[8:9], s[26:27], 3
	s_lshl_b64 s[10:11], s[26:27], 4
	;; [unrolled: 1-line block ×4, first 2 shown]
	s_add_i32 s45, s33, s3
	s_mul_i32 s3, s27, 0x88
	s_mul_hi_u32 s27, s26, 0x88
	v_add_u32_e32 v37, 0x2180, v36
	v_add_u32_e32 v79, 0x2380, v36
	v_mad_u32_u24 v80, v76, s0, v36
	v_cmp_gt_u32_e64 s[0:1], 64, v22
	s_mul_i32 s14, s26, 24
	s_mul_i32 s20, s26, 0x90
	;; [unrolled: 1-line block ×10, first 2 shown]
	s_add_i32 s27, s27, s3
	s_mulk_i32 s26, 0x88
	s_mov_b32 s3, 0
	v_add_u32_e32 v84, v81, v0
	s_branch .LBB186_92
.LBB186_91:                             ;   in Loop: Header=BB186_92 Depth=1
	s_or_b64 exec, exec, s[46:47]
	v_mul_f32_e32 v40, v5, v51
	v_fma_f32 v40, v4, v50, -v40
	v_add_f32_e32 v34, v34, v40
	v_mul_f32_e32 v40, v7, v49
	v_mul_f32_e32 v5, v5, v50
	v_fma_f32 v40, v6, v48, -v40
	v_mul_f32_e32 v7, v7, v48
	v_add_f32_e32 v34, v34, v40
	v_mul_f32_e32 v40, v1, v47
	v_fmac_f32_e32 v5, v4, v51
	v_fma_f32 v40, v0, v46, -v40
	v_mul_f32_e32 v1, v1, v46
	v_add_f32_e32 v4, v35, v5
	v_fmac_f32_e32 v7, v6, v49
	v_add_f32_e32 v34, v34, v40
	v_mul_f32_e32 v40, v3, v45
	v_mul_f32_e32 v3, v3, v44
	v_add_f32_e32 v4, v4, v7
	v_fmac_f32_e32 v1, v0, v47
	v_add_f32_e32 v0, v4, v1
	v_fmac_f32_e32 v3, v2, v45
	v_fma_f32 v40, v2, v44, -v40
	v_add_f32_e32 v1, v0, v3
	v_mul_f32_e32 v0, v13, v59
	v_add_f32_e32 v34, v34, v40
	v_fma_f32 v0, v12, v58, -v0
	v_mul_f32_e32 v6, v13, v58
	v_mul_f32_e32 v2, v15, v57
	v_add_f32_e32 v0, v34, v0
	v_fma_f32 v2, v14, v56, -v2
	v_mul_f32_e32 v7, v15, v56
	v_fmac_f32_e32 v6, v12, v59
	v_add_f32_e32 v0, v0, v2
	v_mul_f32_e32 v2, v9, v53
	v_mul_f32_e32 v3, v9, v52
	v_add_f32_e32 v1, v1, v6
	v_fmac_f32_e32 v7, v14, v57
	v_fma_f32 v2, v8, v52, -v2
	v_add_f32_e32 v1, v1, v7
	v_fmac_f32_e32 v3, v8, v53
	v_mul_f32_e32 v4, v11, v55
	v_mul_f32_e32 v5, v11, v54
	v_pk_add_f32 v[0:1], v[0:1], v[2:3]
	v_mov_b32_e32 v2, v67
	v_fma_f32 v4, v10, v54, -v4
	v_fmac_f32_e32 v5, v10, v55
	v_pk_mul_f32 v[2:3], v[16:17], v[2:3] op_sel:[1,0] op_sel_hi:[0,0]
	v_pk_add_f32 v[0:1], v[0:1], v[4:5]
	v_pk_fma_f32 v[4:5], v[16:17], v[66:67], v[2:3] neg_lo:[0,0,1] neg_hi:[0,0,1]
	v_pk_fma_f32 v[2:3], v[16:17], v[66:67], v[2:3] op_sel_hi:[1,0,1]
	s_add_i32 s3, s3, 64
	v_mov_b32_e32 v2, v65
	v_mov_b32_e32 v5, v3
	v_pk_mul_f32 v[2:3], v[18:19], v[2:3] op_sel:[1,0] op_sel_hi:[0,0]
	v_pk_add_f32 v[0:1], v[0:1], v[4:5]
	v_pk_fma_f32 v[4:5], v[18:19], v[64:65], v[2:3] neg_lo:[0,0,1] neg_hi:[0,0,1]
	v_pk_fma_f32 v[2:3], v[18:19], v[64:65], v[2:3] op_sel_hi:[1,0,1]
	s_add_i32 s2, s2, -1
	v_mov_b32_e32 v2, v63
	v_mov_b32_e32 v5, v3
	v_pk_mul_f32 v[2:3], v[20:21], v[2:3] op_sel:[1,0] op_sel_hi:[0,0]
	v_pk_add_f32 v[0:1], v[0:1], v[4:5]
	v_pk_fma_f32 v[4:5], v[20:21], v[62:63], v[2:3] neg_lo:[0,0,1] neg_hi:[0,0,1]
	v_pk_fma_f32 v[2:3], v[20:21], v[62:63], v[2:3] op_sel_hi:[1,0,1]
	s_cmp_eq_u32 s2, 0
	v_mov_b32_e32 v2, v61
	v_mov_b32_e32 v5, v3
	v_pk_mul_f32 v[2:3], v[22:23], v[2:3] op_sel:[1,0] op_sel_hi:[0,0]
	v_pk_add_f32 v[0:1], v[0:1], v[4:5]
	v_pk_fma_f32 v[4:5], v[22:23], v[60:61], v[2:3] neg_lo:[0,0,1] neg_hi:[0,0,1]
	v_pk_fma_f32 v[2:3], v[22:23], v[60:61], v[2:3] op_sel_hi:[1,0,1]
	v_lshl_add_u64 v[42:43], v[42:43], 0, s[12:13]
	v_mov_b32_e32 v2, v75
	v_mov_b32_e32 v5, v3
	v_pk_mul_f32 v[2:3], v[24:25], v[2:3] op_sel:[1,0] op_sel_hi:[0,0]
	v_pk_add_f32 v[0:1], v[0:1], v[4:5]
	v_pk_fma_f32 v[4:5], v[24:25], v[74:75], v[2:3] neg_lo:[0,0,1] neg_hi:[0,0,1]
	v_pk_fma_f32 v[2:3], v[24:25], v[74:75], v[2:3] op_sel_hi:[1,0,1]
	s_nop 0
	v_mov_b32_e32 v2, v73
	v_mov_b32_e32 v5, v3
	v_pk_mul_f32 v[2:3], v[26:27], v[2:3] op_sel:[1,0] op_sel_hi:[0,0]
	v_pk_fma_f32 v[6:7], v[26:27], v[72:73], v[2:3] neg_lo:[0,0,1] neg_hi:[0,0,1]
	v_pk_fma_f32 v[2:3], v[26:27], v[72:73], v[2:3] op_sel_hi:[1,0,1]
	v_pk_add_f32 v[0:1], v[0:1], v[4:5]
	v_mov_b32_e32 v2, v71
	v_mov_b32_e32 v7, v3
	v_pk_mul_f32 v[2:3], v[28:29], v[2:3] op_sel:[1,0] op_sel_hi:[0,0]
	v_pk_fma_f32 v[8:9], v[28:29], v[70:71], v[2:3] neg_lo:[0,0,1] neg_hi:[0,0,1]
	v_pk_fma_f32 v[2:3], v[28:29], v[70:71], v[2:3] op_sel_hi:[1,0,1]
	v_pk_add_f32 v[0:1], v[0:1], v[6:7]
	;; [unrolled: 6-line block ×3, first 2 shown]
	v_mov_b32_e32 v11, v3
	v_pk_add_f32 v[34:35], v[0:1], v[10:11]
	s_barrier
	s_cbranch_scc1 .LBB186_96
.LBB186_92:                             ; =>This Inner Loop Header: Depth=1
	s_and_saveexec_b64 s[46:47], s[18:19]
	s_cbranch_execz .LBB186_94
; %bb.93:                               ;   in Loop: Header=BB186_92 Depth=1
	s_mul_i32 s33, s23, s3
	s_mul_hi_u32 s48, s22, s3
	s_add_i32 s49, s48, s33
	s_mul_i32 s48, s22, s3
	v_lshl_add_u64 v[0:1], s[48:49], 3, v[38:39]
	flat_load_dwordx2 v[0:1], v[0:1]
	s_waitcnt vmcnt(0) lgkmcnt(0)
	ds_write_b64 v37, v[0:1]
.LBB186_94:                             ;   in Loop: Header=BB186_92 Depth=1
	s_or_b64 exec, exec, s[46:47]
	v_lshl_add_u64 v[0:1], v[42:43], 0, s[8:9]
	s_waitcnt lgkmcnt(0)
	s_barrier
	flat_load_dwordx2 v[50:51], v[42:43]
	flat_load_dwordx2 v[48:49], v[0:1]
	v_lshl_add_u64 v[0:1], v[42:43], 0, s[10:11]
	flat_load_dwordx2 v[46:47], v[0:1]
	v_lshl_add_u64 v[0:1], v[42:43], 0, s[14:15]
	flat_load_dwordx2 v[44:45], v[0:1]
	ds_read_b64 v[8:9], v79
	ds_read_b128 v[4:7], v78
	ds_read_b128 v[0:3], v78 offset:16
	v_lshl_add_u64 v[10:11], v[42:43], 0, s[16:17]
	v_lshl_add_u64 v[70:71], v[42:43], 0, s[36:37]
	s_waitcnt vmcnt(0) lgkmcnt(0)
	v_mul_f32_e32 v12, v9, v51
	v_mul_f32_e32 v13, v9, v50
	;; [unrolled: 1-line block ×8, first 2 shown]
	v_fma_f32 v12, v8, v50, -v12
	v_fmac_f32_e32 v13, v8, v51
	v_fma_f32 v14, v8, v48, -v14
	v_fmac_f32_e32 v15, v8, v49
	;; [unrolled: 2-line block ×4, first 2 shown]
	v_lshl_add_u64 v[8:9], v[42:43], 0, s[26:27]
	ds_write2_b64 v80, v[12:13], v[14:15] offset1:67
	ds_write2_b64 v80, v[16:17], v[18:19] offset0:134 offset1:201
	s_waitcnt lgkmcnt(0)
	s_barrier
	ds_read2_b64 v[24:27], v81 offset1:1
	ds_read2_b64 v[28:31], v81 offset0:2 offset1:3
	s_waitcnt lgkmcnt(0)
	s_barrier
	flat_load_dwordx2 v[58:59], v[10:11]
	flat_load_dwordx2 v[56:57], v[8:9]
	v_lshl_add_u64 v[8:9], v[42:43], 0, s[20:21]
	flat_load_dwordx2 v[52:53], v[8:9]
	v_lshl_add_u64 v[8:9], v[42:43], 0, s[28:29]
	flat_load_dwordx2 v[54:55], v[8:9]
	ds_read_b64 v[16:17], v79
	v_lshl_add_u64 v[18:19], v[42:43], 0, s[24:25]
	ds_read_b128 v[12:15], v78 offset:128
	ds_read_b128 v[8:11], v78 offset:144
	v_pk_add_f32 v[24:25], v[24:25], 0 op_sel_hi:[1,0]
	s_waitcnt vmcnt(0) lgkmcnt(0)
	v_mul_f32_e32 v20, v17, v59
	v_mul_f32_e32 v21, v17, v58
	v_mul_f32_e32 v22, v17, v57
	v_mul_f32_e32 v23, v17, v56
	v_mul_f32_e32 v40, v17, v53
	v_mul_f32_e32 v61, v17, v52
	v_mul_f32_e32 v62, v17, v55
	v_mul_f32_e32 v63, v16, v55
	v_fma_f32 v20, v16, v58, -v20
	v_fmac_f32_e32 v21, v16, v59
	v_fma_f32 v22, v16, v56, -v22
	v_fmac_f32_e32 v23, v16, v57
	;; [unrolled: 2-line block ×4, first 2 shown]
	v_lshl_add_u64 v[16:17], v[42:43], 0, s[44:45]
	ds_write2_b64 v80, v[20:21], v[22:23] offset1:67
	ds_write2_b64 v80, v[60:61], v[62:63] offset0:134 offset1:201
	s_waitcnt lgkmcnt(0)
	s_barrier
	ds_read2_b64 v[86:89], v81 offset1:1
	ds_read2_b64 v[90:93], v81 offset0:2 offset1:3
	s_waitcnt lgkmcnt(0)
	s_barrier
	flat_load_dwordx2 v[66:67], v[18:19]
	flat_load_dwordx2 v[64:65], v[16:17]
	v_lshl_add_u64 v[16:17], v[42:43], 0, s[30:31]
	flat_load_dwordx2 v[62:63], v[16:17]
	v_lshl_add_u64 v[16:17], v[42:43], 0, s[34:35]
	flat_load_dwordx2 v[60:61], v[16:17]
	ds_read_b64 v[68:69], v79
	ds_read_b128 v[16:19], v78 offset:256
	ds_read_b128 v[20:23], v78 offset:272
	v_pk_add_f32 v[24:25], v[24:25], v[26:27]
	s_waitcnt vmcnt(0) lgkmcnt(0)
	v_mul_f32_e32 v40, v69, v67
	v_mul_f32_e32 v73, v69, v66
	;; [unrolled: 1-line block ×8, first 2 shown]
	v_fma_f32 v72, v68, v66, -v40
	v_fma_f32 v74, v68, v64, -v74
	;; [unrolled: 1-line block ×4, first 2 shown]
	v_fmac_f32_e32 v73, v68, v67
	v_fmac_f32_e32 v75, v68, v65
	v_fmac_f32_e32 v95, v68, v63
	v_fmac_f32_e32 v97, v69, v60
	v_lshl_add_u64 v[68:69], v[42:43], 0, s[42:43]
	ds_write2_b64 v80, v[72:73], v[74:75] offset1:67
	ds_write2_b64 v80, v[94:95], v[96:97] offset0:134 offset1:201
	s_waitcnt lgkmcnt(0)
	s_barrier
	ds_read2_b64 v[94:97], v81 offset1:1
	ds_read2_b64 v[98:101], v81 offset0:2 offset1:3
	s_waitcnt lgkmcnt(0)
	s_barrier
	flat_load_dwordx2 v[74:75], v[70:71]
	flat_load_dwordx2 v[72:73], v[68:69]
	v_lshl_add_u64 v[68:69], v[42:43], 0, s[38:39]
	flat_load_dwordx2 v[70:71], v[68:69]
	v_lshl_add_u64 v[68:69], v[42:43], 0, s[40:41]
	flat_load_dwordx2 v[68:69], v[68:69]
	v_pk_add_f32 v[24:25], v[24:25], v[28:29]
	s_nop 0
	v_pk_add_f32 v[102:103], v[24:25], v[30:31]
	v_pk_add_f32 v[24:25], v[86:87], 0 op_sel_hi:[1,0]
	s_nop 0
	v_pk_add_f32 v[24:25], v[24:25], v[88:89]
	v_pk_add_f32 v[88:89], v[94:95], 0 op_sel_hi:[1,0]
	v_pk_add_f32 v[24:25], v[24:25], v[90:91]
	v_pk_add_f32 v[88:89], v[88:89], v[96:97]
	;; [unrolled: 1-line block ×3, first 2 shown]
	ds_read_b64 v[86:87], v79
	ds_read_b128 v[24:27], v78 offset:384
	ds_read_b128 v[28:31], v78 offset:400
	v_pk_add_f32 v[88:89], v[88:89], v[98:99]
	s_waitcnt vmcnt(0) lgkmcnt(0)
	v_mul_f32_e32 v40, v87, v75
	v_pk_add_f32 v[94:95], v[88:89], v[100:101]
	v_mul_f32_e32 v89, v87, v74
	v_mul_f32_e32 v85, v87, v73
	;; [unrolled: 1-line block ×7, first 2 shown]
	v_fma_f32 v88, v86, v74, -v40
	v_fma_f32 v90, v86, v72, -v85
	v_fmac_f32_e32 v89, v86, v75
	v_fmac_f32_e32 v91, v86, v73
	v_fma_f32 v92, v86, v70, -v92
	v_fmac_f32_e32 v93, v86, v71
	v_fma_f32 v96, v86, v68, -v96
	v_fmac_f32_e32 v97, v87, v68
	ds_write2_b64 v80, v[88:89], v[90:91] offset1:67
	ds_write2_b64 v80, v[92:93], v[96:97] offset0:134 offset1:201
	s_waitcnt lgkmcnt(0)
	s_barrier
	ds_read2_b64 v[86:89], v81 offset1:1
	ds_read2_b64 v[90:93], v81 offset0:2 offset1:3
	s_waitcnt lgkmcnt(0)
	s_barrier
	v_pk_add_f32 v[86:87], v[86:87], 0 op_sel_hi:[1,0]
	ds_write2_b64 v84, v[102:103], v[104:105] offset1:16
	v_pk_add_f32 v[86:87], v[86:87], v[88:89]
	s_nop 0
	v_pk_add_f32 v[86:87], v[86:87], v[90:91]
	s_nop 0
	v_pk_add_f32 v[86:87], v[86:87], v[92:93]
	ds_write2_b64 v84, v[94:95], v[86:87] offset0:32 offset1:48
	s_waitcnt lgkmcnt(0)
	s_barrier
	s_and_saveexec_b64 s[46:47], s[0:1]
	s_cbranch_execz .LBB186_91
; %bb.95:                               ;   in Loop: Header=BB186_92 Depth=1
	ds_read_b64 v[94:95], v82
	ds_read2_b64 v[86:89], v82 offset0:1 offset1:2
	ds_read2_b64 v[90:93], v82 offset0:3 offset1:4
	s_waitcnt lgkmcnt(1)
	v_add_f32_e32 v40, v86, v94
	v_add_f32_e32 v85, v87, v95
	;; [unrolled: 1-line block ×4, first 2 shown]
	ds_read2_b64 v[86:89], v82 offset0:5 offset1:6
	s_waitcnt lgkmcnt(1)
	v_add_f32_e32 v40, v40, v90
	v_add_f32_e32 v85, v85, v91
	;; [unrolled: 1-line block ×4, first 2 shown]
	ds_read2_b64 v[90:93], v82 offset0:7 offset1:8
	s_waitcnt lgkmcnt(1)
	v_pk_add_f32 v[86:87], v[94:95], v[86:87]
	ds_read2_b64 v[94:97], v82 offset0:9 offset1:10
	v_pk_add_f32 v[86:87], v[86:87], v[88:89]
	v_add_u32_e32 v40, s3, v77
	s_waitcnt lgkmcnt(1)
	v_pk_add_f32 v[86:87], v[86:87], v[90:91]
	v_lshl_add_u64 v[98:99], v[40:41], 3, s[6:7]
	v_pk_add_f32 v[90:91], v[86:87], v[92:93]
	ds_read2_b64 v[86:89], v82 offset0:11 offset1:12
	s_waitcnt lgkmcnt(1)
	v_pk_add_f32 v[94:95], v[90:91], v[94:95]
	ds_read2_b64 v[90:93], v82 offset0:13 offset1:14
	v_pk_add_f32 v[94:95], v[94:95], v[96:97]
	ds_read_b64 v[96:97], v83
	s_waitcnt lgkmcnt(2)
	v_pk_add_f32 v[86:87], v[94:95], v[86:87]
	s_nop 0
	v_pk_add_f32 v[86:87], v[86:87], v[88:89]
	s_waitcnt lgkmcnt(1)
	v_pk_add_f32 v[86:87], v[86:87], v[90:91]
	s_nop 0
	v_pk_add_f32 v[86:87], v[86:87], v[92:93]
	s_waitcnt lgkmcnt(0)
	v_pk_add_f32 v[86:87], v[86:87], v[96:97]
	global_store_dwordx2 v[98:99], v[86:87], off
	s_branch .LBB186_91
.LBB186_96:
	s_movk_i32 s0, 0x218
	v_mad_u32_u24 v0, v76, s0, v36
	s_nor_b64 s[0:1], s[4:5], vcc
	ds_write_b64 v0, v[34:35]
	s_waitcnt lgkmcnt(0)
	s_barrier
	s_and_saveexec_b64 s[2:3], s[0:1]
	s_cbranch_execz .LBB186_98
; %bb.97:
	ds_read2_b64 v[0:3], v36 offset1:67
	ds_read2_b64 v[4:7], v36 offset0:134 offset1:201
	v_lshl_add_u64 v[8:9], v[32:33], 3, s[6:7]
	s_waitcnt lgkmcnt(1)
	v_pk_add_f32 v[0:1], v[2:3], v[0:1]
	s_waitcnt lgkmcnt(0)
	v_pk_add_f32 v[0:1], v[4:5], v[0:1]
	s_nop 0
	v_pk_add_f32 v[0:1], v[0:1], v[6:7]
	global_store_dwordx2 v[8:9], v[0:1], off
.LBB186_98:
	s_endpgm
	.section	.rodata,"a",@progbits
	.p2align	6, 0x0
	.amdhsa_kernel _ZL26rocblas_hemvn_kernel_lowerILb0ELi64ELi4ELi33ELi32ELi16El19rocblas_complex_numIfEPKPKS1_PS1_EviT6_lT7_lT5_lS8_lS9_lS7_lT8_i
		.amdhsa_group_segment_fixed_size 9600
		.amdhsa_private_segment_fixed_size 0
		.amdhsa_kernarg_size 376
		.amdhsa_user_sgpr_count 2
		.amdhsa_user_sgpr_dispatch_ptr 0
		.amdhsa_user_sgpr_queue_ptr 0
		.amdhsa_user_sgpr_kernarg_segment_ptr 1
		.amdhsa_user_sgpr_dispatch_id 0
		.amdhsa_user_sgpr_kernarg_preload_length 0
		.amdhsa_user_sgpr_kernarg_preload_offset 0
		.amdhsa_user_sgpr_private_segment_size 0
		.amdhsa_uses_dynamic_stack 0
		.amdhsa_enable_private_segment 0
		.amdhsa_system_sgpr_workgroup_id_x 1
		.amdhsa_system_sgpr_workgroup_id_y 0
		.amdhsa_system_sgpr_workgroup_id_z 1
		.amdhsa_system_sgpr_workgroup_info 0
		.amdhsa_system_vgpr_workitem_id 1
		.amdhsa_next_free_vgpr 106
		.amdhsa_next_free_sgpr 50
		.amdhsa_accum_offset 108
		.amdhsa_reserve_vcc 1
		.amdhsa_float_round_mode_32 0
		.amdhsa_float_round_mode_16_64 0
		.amdhsa_float_denorm_mode_32 3
		.amdhsa_float_denorm_mode_16_64 3
		.amdhsa_dx10_clamp 1
		.amdhsa_ieee_mode 1
		.amdhsa_fp16_overflow 0
		.amdhsa_tg_split 0
		.amdhsa_exception_fp_ieee_invalid_op 0
		.amdhsa_exception_fp_denorm_src 0
		.amdhsa_exception_fp_ieee_div_zero 0
		.amdhsa_exception_fp_ieee_overflow 0
		.amdhsa_exception_fp_ieee_underflow 0
		.amdhsa_exception_fp_ieee_inexact 0
		.amdhsa_exception_int_div_zero 0
	.end_amdhsa_kernel
	.section	.text._ZL26rocblas_hemvn_kernel_lowerILb0ELi64ELi4ELi33ELi32ELi16El19rocblas_complex_numIfEPKPKS1_PS1_EviT6_lT7_lT5_lS8_lS9_lS7_lT8_i,"axG",@progbits,_ZL26rocblas_hemvn_kernel_lowerILb0ELi64ELi4ELi33ELi32ELi16El19rocblas_complex_numIfEPKPKS1_PS1_EviT6_lT7_lT5_lS8_lS9_lS7_lT8_i,comdat
.Lfunc_end186:
	.size	_ZL26rocblas_hemvn_kernel_lowerILb0ELi64ELi4ELi33ELi32ELi16El19rocblas_complex_numIfEPKPKS1_PS1_EviT6_lT7_lT5_lS8_lS9_lS7_lT8_i, .Lfunc_end186-_ZL26rocblas_hemvn_kernel_lowerILb0ELi64ELi4ELi33ELi32ELi16El19rocblas_complex_numIfEPKPKS1_PS1_EviT6_lT7_lT5_lS8_lS9_lS7_lT8_i
                                        ; -- End function
	.set _ZL26rocblas_hemvn_kernel_lowerILb0ELi64ELi4ELi33ELi32ELi16El19rocblas_complex_numIfEPKPKS1_PS1_EviT6_lT7_lT5_lS8_lS9_lS7_lT8_i.num_vgpr, 106
	.set _ZL26rocblas_hemvn_kernel_lowerILb0ELi64ELi4ELi33ELi32ELi16El19rocblas_complex_numIfEPKPKS1_PS1_EviT6_lT7_lT5_lS8_lS9_lS7_lT8_i.num_agpr, 0
	.set _ZL26rocblas_hemvn_kernel_lowerILb0ELi64ELi4ELi33ELi32ELi16El19rocblas_complex_numIfEPKPKS1_PS1_EviT6_lT7_lT5_lS8_lS9_lS7_lT8_i.numbered_sgpr, 50
	.set _ZL26rocblas_hemvn_kernel_lowerILb0ELi64ELi4ELi33ELi32ELi16El19rocblas_complex_numIfEPKPKS1_PS1_EviT6_lT7_lT5_lS8_lS9_lS7_lT8_i.num_named_barrier, 0
	.set _ZL26rocblas_hemvn_kernel_lowerILb0ELi64ELi4ELi33ELi32ELi16El19rocblas_complex_numIfEPKPKS1_PS1_EviT6_lT7_lT5_lS8_lS9_lS7_lT8_i.private_seg_size, 0
	.set _ZL26rocblas_hemvn_kernel_lowerILb0ELi64ELi4ELi33ELi32ELi16El19rocblas_complex_numIfEPKPKS1_PS1_EviT6_lT7_lT5_lS8_lS9_lS7_lT8_i.uses_vcc, 1
	.set _ZL26rocblas_hemvn_kernel_lowerILb0ELi64ELi4ELi33ELi32ELi16El19rocblas_complex_numIfEPKPKS1_PS1_EviT6_lT7_lT5_lS8_lS9_lS7_lT8_i.uses_flat_scratch, 0
	.set _ZL26rocblas_hemvn_kernel_lowerILb0ELi64ELi4ELi33ELi32ELi16El19rocblas_complex_numIfEPKPKS1_PS1_EviT6_lT7_lT5_lS8_lS9_lS7_lT8_i.has_dyn_sized_stack, 0
	.set _ZL26rocblas_hemvn_kernel_lowerILb0ELi64ELi4ELi33ELi32ELi16El19rocblas_complex_numIfEPKPKS1_PS1_EviT6_lT7_lT5_lS8_lS9_lS7_lT8_i.has_recursion, 0
	.set _ZL26rocblas_hemvn_kernel_lowerILb0ELi64ELi4ELi33ELi32ELi16El19rocblas_complex_numIfEPKPKS1_PS1_EviT6_lT7_lT5_lS8_lS9_lS7_lT8_i.has_indirect_call, 0
	.section	.AMDGPU.csdata,"",@progbits
; Kernel info:
; codeLenInByte = 7468
; TotalNumSgprs: 56
; NumVgprs: 106
; NumAgprs: 0
; TotalNumVgprs: 106
; ScratchSize: 0
; MemoryBound: 1
; FloatMode: 240
; IeeeMode: 1
; LDSByteSize: 9600 bytes/workgroup (compile time only)
; SGPRBlocks: 6
; VGPRBlocks: 13
; NumSGPRsForWavesPerEU: 56
; NumVGPRsForWavesPerEU: 106
; AccumOffset: 108
; Occupancy: 4
; WaveLimiterHint : 1
; COMPUTE_PGM_RSRC2:SCRATCH_EN: 0
; COMPUTE_PGM_RSRC2:USER_SGPR: 2
; COMPUTE_PGM_RSRC2:TRAP_HANDLER: 0
; COMPUTE_PGM_RSRC2:TGID_X_EN: 1
; COMPUTE_PGM_RSRC2:TGID_Y_EN: 0
; COMPUTE_PGM_RSRC2:TGID_Z_EN: 1
; COMPUTE_PGM_RSRC2:TIDIG_COMP_CNT: 1
; COMPUTE_PGM_RSRC3_GFX90A:ACCUM_OFFSET: 26
; COMPUTE_PGM_RSRC3_GFX90A:TG_SPLIT: 0
	.section	.text._ZL26rocblas_hemvn_kernel_lowerILb0ELi64ELi4ELi33ELi32ELi16Ei19rocblas_complex_numIfEPKPKS1_PS1_EviT6_lT7_lT5_lS8_lS9_lS7_lT8_i,"axG",@progbits,_ZL26rocblas_hemvn_kernel_lowerILb0ELi64ELi4ELi33ELi32ELi16Ei19rocblas_complex_numIfEPKPKS1_PS1_EviT6_lT7_lT5_lS8_lS9_lS7_lT8_i,comdat
	.globl	_ZL26rocblas_hemvn_kernel_lowerILb0ELi64ELi4ELi33ELi32ELi16Ei19rocblas_complex_numIfEPKPKS1_PS1_EviT6_lT7_lT5_lS8_lS9_lS7_lT8_i ; -- Begin function _ZL26rocblas_hemvn_kernel_lowerILb0ELi64ELi4ELi33ELi32ELi16Ei19rocblas_complex_numIfEPKPKS1_PS1_EviT6_lT7_lT5_lS8_lS9_lS7_lT8_i
	.p2align	8
	.type	_ZL26rocblas_hemvn_kernel_lowerILb0ELi64ELi4ELi33ELi32ELi16Ei19rocblas_complex_numIfEPKPKS1_PS1_EviT6_lT7_lT5_lS8_lS9_lS7_lT8_i,@function
_ZL26rocblas_hemvn_kernel_lowerILb0ELi64ELi4ELi33ELi32ELi16Ei19rocblas_complex_numIfEPKPKS1_PS1_EviT6_lT7_lT5_lS8_lS9_lS7_lT8_i: ; @_ZL26rocblas_hemvn_kernel_lowerILb0ELi64ELi4ELi33ELi32ELi16Ei19rocblas_complex_numIfEPKPKS1_PS1_EviT6_lT7_lT5_lS8_lS9_lS7_lT8_i
; %bb.0:
	s_load_dwordx2 s[4:5], s[0:1], 0x84
	s_add_u32 s10, s0, 0x78
	s_mov_b32 s22, s3
	s_addc_u32 s11, s1, 0
	s_waitcnt lgkmcnt(0)
	s_and_b32 s3, s5, 0xffff
	s_lshr_b32 s5, s4, 16
	s_and_b32 s4, s4, 0xffff
	s_mul_i32 s4, s5, s4
	s_mul_i32 s4, s4, s3
	s_cmpk_lg_i32 s4, 0x100
	s_cbranch_scc1 .LBB187_98
; %bb.1:
	s_load_dwordx2 s[4:5], s[0:1], 0x4
	s_waitcnt lgkmcnt(0)
	s_or_b32 s3, s4, s5
	s_bitset0_b32 s3, 31
	s_cmp_lg_u32 s3, 0
	s_mov_b64 s[4:5], -1
	s_cbranch_scc1 .LBB187_3
; %bb.2:
	s_load_dwordx2 s[4:5], s[0:1], 0x58
	s_waitcnt lgkmcnt(0)
	v_cmp_eq_f32_e64 s[6:7], s4, 1.0
	v_cmp_eq_f32_e64 s[4:5], s5, 0
	s_and_b64 s[4:5], s[6:7], s[4:5]
	s_andn2_b64 vcc, exec, s[4:5]
	s_mov_b64 s[4:5], 0
.LBB187_3:
	s_andn2_b64 vcc, exec, s[4:5]
	s_cbranch_vccnz .LBB187_98
; %bb.4:
	s_load_dwordx4 s[4:7], s[0:1], 0x18
	s_load_dwordx4 s[12:15], s[0:1], 0x38
	s_load_dword s3, s[0:1], 0x48
	s_mov_b32 s23, 0
	s_lshl_b64 s[8:9], s[22:23], 3
	s_waitcnt lgkmcnt(0)
	s_add_u32 s4, s4, s8
	s_addc_u32 s5, s5, s9
	s_add_u32 s12, s12, s8
	s_addc_u32 s13, s13, s9
	s_load_dwordx2 s[16:17], s[12:13], 0x0
	s_load_dword s23, s[0:1], 0x0
	s_load_dword s33, s[10:11], 0x0
	s_load_dwordx2 s[8:9], s[4:5], 0x0
	s_lshl_b64 s[4:5], s[14:15], 3
	s_waitcnt lgkmcnt(0)
	s_add_u32 s4, s16, s4
	s_addc_u32 s5, s17, s5
	s_ashr_i32 s40, s23, 31
	s_lshr_b32 s11, s40, 26
	v_and_b32_e32 v34, 0x3ff, v0
	s_lshl_b32 s28, s2, 6
	s_add_i32 s11, s23, s11
	s_andn2_b32 s11, s11, 63
	v_add_u32_e32 v32, s28, v34
	v_bfe_u32 v33, v0, 10, 10
	s_add_i32 s10, s33, -1
	s_sub_i32 s11, s23, s11
	v_mul_lo_u32 v0, s3, v32
	s_cmp_eq_u32 s2, s10
	v_ashrrev_i32_e32 v1, 31, v0
	s_cselect_b32 s26, s11, 0
	v_lshl_add_u64 v[16:17], v[0:1], 3, s[4:5]
	v_cmp_ne_u32_e64 s[4:5], 0, v33
	v_cmp_eq_u32_e64 s[18:19], 0, v33
	s_and_saveexec_b64 s[10:11], s[18:19]
	s_cbranch_execz .LBB187_9
; %bb.5:
	s_cmp_lg_u32 s26, 0
	s_cselect_b64 s[12:13], -1, 0
	v_cmp_le_i32_e32 vcc, s26, v34
	v_mov_b32_e32 v0, 0x2380
	s_and_b64 s[12:13], s[12:13], vcc
	v_lshl_add_u32 v0, v34, 3, v0
	s_and_saveexec_b64 s[14:15], s[12:13]
	s_xor_b64 s[12:13], exec, s[14:15]
; %bb.6:
	v_mov_b32_e32 v2, 0
	v_mov_b32_e32 v3, v2
	ds_write_b64 v0, v[2:3]
                                        ; implicit-def: $vgpr0
; %bb.7:
	s_andn2_saveexec_b64 s[12:13], s[12:13]
	s_cbranch_execz .LBB187_9
; %bb.8:
	flat_load_dwordx2 v[2:3], v[16:17]
	s_waitcnt vmcnt(0) lgkmcnt(0)
	ds_write_b64 v0, v[2:3]
.LBB187_9:
	s_or_b64 exec, exec, s[10:11]
	s_load_dword s24, s[0:1], 0x28
	s_lshl_b64 s[6:7], s[6:7], 3
	s_add_u32 s8, s8, s6
	s_addc_u32 s9, s9, s7
	s_ashr_i32 s29, s28, 31
	v_lshl_add_u32 v22, v33, 6, v34
	s_lshl_b64 s[6:7], s[28:29], 3
	v_and_b32_e32 v2, 31, v34
	v_lshrrev_b32_e32 v8, 5, v22
	s_add_u32 s6, s8, s6
	s_waitcnt lgkmcnt(0)
	s_mul_i32 s30, s24, s28
	s_addc_u32 s7, s9, s7
	v_mad_u64_u32 v[18:19], s[8:9], s24, v8, v[2:3]
	s_ashr_i32 s31, s30, 31
	v_ashrrev_i32_e32 v19, 31, v18
	s_cmp_lg_u32 s26, 0
	v_lshl_add_u64 v[0:1], v[18:19], 3, s[6:7]
	s_cselect_b64 s[34:35], -1, 0
	s_cmp_eq_u32 s26, 0
	v_lshl_add_u64 v[4:5], s[30:31], 3, v[0:1]
	s_cselect_b64 s[20:21], -1, 0
	s_mov_b64 s[6:7], -1
	s_and_b64 vcc, exec, s[34:35]
	s_cbranch_vccnz .LBB187_11
; %bb.10:
	s_lshl_b32 s6, s24, 3
	s_ashr_i32 s7, s6, 31
	s_ashr_i32 s25, s24, 31
	v_lshl_add_u64 v[0:1], s[6:7], 3, v[4:5]
	s_lshl_b64 s[6:7], s[24:25], 6
	v_lshl_add_u64 v[6:7], v[0:1], 0, s[6:7]
	v_lshl_add_u64 v[10:11], v[6:7], 0, s[6:7]
	flat_load_dwordx2 v[12:13], v[4:5]
	flat_load_dwordx2 v[14:15], v[0:1]
	;; [unrolled: 1-line block ×4, first 2 shown]
	v_mul_u32_u24_e32 v0, 0x108, v8
	v_lshl_add_u32 v0, v2, 3, v0
	s_mov_b64 s[6:7], 0
	s_waitcnt vmcnt(0) lgkmcnt(0)
	ds_write_b64 v0, v[12:13]
	ds_write_b64 v0, v[14:15] offset:2112
	ds_write_b64 v0, v[20:21] offset:4224
	;; [unrolled: 1-line block ×3, first 2 shown]
.LBB187_11:
	s_andn2_b64 vcc, exec, s[6:7]
	v_lshlrev_b32_e32 v0, 3, v2
	s_cbranch_vccnz .LBB187_27
; %bb.12:
	v_sub_co_u32_e32 v6, vcc, v4, v0
	s_ashr_i32 s27, s26, 31
	s_nop 0
	v_subbrev_co_u32_e32 v7, vcc, 0, v5, vcc
	v_lshl_add_u64 v[6:7], s[26:27], 3, v[6:7]
	v_mov_b32_e32 v10, 0
	v_lshl_add_u64 v[6:7], v[6:7], 0, -8
	v_cmp_gt_i32_e32 vcc, s26, v2
	v_cmp_gt_i32_e64 s[6:7], s26, v8
	v_mov_b32_e32 v11, v10
	v_cndmask_b32_e32 v7, v7, v5, vcc
	v_cndmask_b32_e32 v6, v6, v4, vcc
	s_and_saveexec_b64 s[8:9], s[6:7]
	s_cbranch_execz .LBB187_14
; %bb.13:
	flat_load_dwordx2 v[10:11], v[6:7]
.LBB187_14:
	s_or_b64 exec, exec, s[8:9]
	s_movk_i32 s6, 0x108
	v_mad_u32_u24 v3, v8, s6, v0
	s_waitcnt vmcnt(0) lgkmcnt(0)
	ds_write_b64 v3, v[10:11]
	v_add_u32_e32 v3, 8, v8
	v_mul_u32_u24_e32 v1, 0x108, v8
	v_cmp_le_i32_e64 s[6:7], s26, v3
	s_and_saveexec_b64 s[8:9], s[6:7]
	s_xor_b64 s[6:7], exec, s[8:9]
; %bb.15:
	v_mov_b32_e32 v10, 0
	v_add_u32_e32 v3, v1, v0
	v_mov_b32_e32 v11, v10
	ds_write_b64 v3, v[10:11] offset:2112
; %bb.16:
	s_andn2_saveexec_b64 s[6:7], s[6:7]
	s_cbranch_execz .LBB187_18
; %bb.17:
	s_lshl_b32 s8, s24, 3
	s_ashr_i32 s9, s8, 31
	v_lshl_add_u64 v[10:11], s[8:9], 3, v[6:7]
	flat_load_dwordx2 v[10:11], v[10:11]
	v_add_u32_e32 v3, v1, v0
	s_waitcnt vmcnt(0) lgkmcnt(0)
	ds_write_b64 v3, v[10:11] offset:2112
.LBB187_18:
	s_or_b64 exec, exec, s[6:7]
	v_add_u32_e32 v3, 16, v8
	v_cmp_le_i32_e64 s[6:7], s26, v3
	s_and_saveexec_b64 s[8:9], s[6:7]
	s_xor_b64 s[6:7], exec, s[8:9]
; %bb.19:
	v_mov_b32_e32 v10, 0
	v_add_u32_e32 v3, v1, v0
	v_mov_b32_e32 v11, v10
	ds_write_b64 v3, v[10:11] offset:4224
; %bb.20:
	s_andn2_saveexec_b64 s[6:7], s[6:7]
	s_cbranch_execz .LBB187_22
; %bb.21:
	s_lshl_b32 s8, s24, 4
	s_ashr_i32 s9, s8, 31
	v_lshl_add_u64 v[10:11], s[8:9], 3, v[6:7]
	flat_load_dwordx2 v[10:11], v[10:11]
	v_add_u32_e32 v3, v1, v0
	s_waitcnt vmcnt(0) lgkmcnt(0)
	ds_write_b64 v3, v[10:11] offset:4224
.LBB187_22:
	s_or_b64 exec, exec, s[6:7]
	v_add_u32_e32 v3, 24, v8
	v_cmp_le_i32_e64 s[6:7], s26, v3
	s_and_saveexec_b64 s[8:9], s[6:7]
	s_xor_b64 s[6:7], exec, s[8:9]
; %bb.23:
	v_mov_b32_e32 v10, 0
	v_add_u32_e32 v1, v1, v0
	v_mov_b32_e32 v11, v10
	ds_write_b64 v1, v[10:11] offset:6336
                                        ; implicit-def: $vgpr1
; %bb.24:
	s_andn2_saveexec_b64 s[6:7], s[6:7]
	s_cbranch_execz .LBB187_26
; %bb.25:
	s_mul_i32 s8, s24, 24
	s_ashr_i32 s9, s8, 31
	v_lshl_add_u64 v[10:11], s[8:9], 3, v[6:7]
	flat_load_dwordx2 v[10:11], v[10:11]
	v_add_u32_e32 v1, v1, v0
	s_waitcnt vmcnt(0) lgkmcnt(0)
	ds_write_b64 v1, v[10:11] offset:6336
.LBB187_26:
	s_or_b64 exec, exec, s[6:7]
	v_mov_b32_e32 v1, 0
	v_lshl_add_u64 v[6:7], v[6:7], 0, v[0:1]
	s_lshl_b64 s[6:7], s[26:27], 3
	v_mov_b32_e32 v1, s7
	v_subrev_co_u32_e64 v6, s[6:7], s6, v6
	s_nop 1
	v_subb_co_u32_e64 v7, s[6:7], v7, v1, s[6:7]
	v_lshl_add_u64 v[6:7], v[6:7], 0, 8
	v_cndmask_b32_e32 v5, v7, v5, vcc
	v_cndmask_b32_e32 v4, v6, v4, vcc
.LBB187_27:
	v_lshlrev_b32_e32 v9, 2, v8
	v_lshl_or_b32 v1, v2, 8, v0
	v_cmp_lt_u32_e64 s[8:9], v9, v2
	s_waitcnt lgkmcnt(0)
	s_barrier
	s_and_saveexec_b64 s[6:7], s[8:9]
	s_cbranch_execz .LBB187_29
; %bb.28:
	s_movk_i32 s10, 0x420
	v_mad_u32_u24 v3, v8, s10, v0
	ds_read_b64 v[6:7], v3
	v_lshl_add_u32 v3, v9, 3, v1
	s_waitcnt lgkmcnt(0)
	ds_write_b64 v3, v[6:7]
.LBB187_29:
	s_or_b64 exec, exec, s[6:7]
	v_or_b32_e32 v3, 1, v9
	v_cmp_lt_u32_e64 s[10:11], v3, v2
	s_and_saveexec_b64 s[6:7], s[10:11]
	s_cbranch_execz .LBB187_31
; %bb.30:
	s_movk_i32 s12, 0x108
	v_mad_u32_u24 v6, v3, s12, v0
	ds_read_b64 v[6:7], v6
	v_lshl_add_u32 v10, v9, 3, v1
	s_waitcnt lgkmcnt(0)
	ds_write_b64 v10, v[6:7] offset:8
.LBB187_31:
	s_or_b64 exec, exec, s[6:7]
	v_or_b32_e32 v6, 2, v9
	v_cmp_lt_u32_e64 s[12:13], v6, v2
	s_and_saveexec_b64 s[6:7], s[12:13]
	s_cbranch_execz .LBB187_33
; %bb.32:
	s_movk_i32 s14, 0x108
	v_mad_u32_u24 v6, v6, s14, v0
	ds_read_b64 v[6:7], v6
	v_lshl_add_u32 v10, v9, 3, v1
	s_waitcnt lgkmcnt(0)
	ds_write_b64 v10, v[6:7] offset:16
.LBB187_33:
	s_or_b64 exec, exec, s[6:7]
	v_or_b32_e32 v7, 3, v9
	v_cmp_lt_u32_e64 s[14:15], v7, v2
	v_cmp_ge_u32_e32 vcc, v7, v2
                                        ; implicit-def: $vgpr6
	s_and_saveexec_b64 s[6:7], vcc
	s_xor_b64 s[6:7], exec, s[6:7]
; %bb.34:
	v_mul_u32_u24_e32 v6, 0x108, v7
                                        ; implicit-def: $vgpr1
                                        ; implicit-def: $vgpr7
; %bb.35:
	s_andn2_saveexec_b64 s[6:7], s[6:7]
	s_cbranch_execz .LBB187_37
; %bb.36:
	s_movk_i32 s16, 0x108
	v_mad_u32_u24 v6, v7, s16, v0
	ds_read_b64 v[10:11], v6
	v_lshl_add_u32 v1, v9, 3, v1
	v_mul_u32_u24_e32 v6, 0x108, v7
	s_waitcnt lgkmcnt(0)
	ds_write_b64 v1, v[10:11] offset:24
.LBB187_37:
	s_or_b64 exec, exec, s[6:7]
	s_movk_i32 s6, 0x420
	v_mad_u32_u24 v1, v8, s6, v0
	s_movk_i32 s6, 0x108
	v_mad_u32_u24 v7, v3, s6, v0
	s_waitcnt lgkmcnt(0)
	s_barrier
	v_lshlrev_b32_e32 v11, 3, v9
	ds_read2_b64 v[12:15], v7 offset1:33
	v_add_u32_e32 v10, v0, v6
	ds_read_b64 v[6:7], v1
	ds_read_b128 v[26:29], v11 offset:9088
	v_mul_u32_u24_e32 v20, 33, v2
	v_lshlrev_b32_e32 v23, 3, v20
	ds_read_b64 v[20:21], v10
	ds_read_b128 v[38:41], v11 offset:9104
	v_lshl_add_u32 v24, v8, 3, v23
	s_waitcnt lgkmcnt(2)
	v_pk_mul_f32 v[30:31], v[26:27], v[6:7] op_sel:[1,1] op_sel_hi:[0,1]
	v_pk_fma_f32 v[36:37], v[26:27], v[6:7], v[30:31] neg_lo:[0,0,1] neg_hi:[0,0,1]
	v_pk_fma_f32 v[6:7], v[26:27], v[6:7], v[30:31] op_sel_hi:[1,0,1]
	v_pk_mul_f32 v[26:27], v[28:29], v[12:13] op_sel:[1,1] op_sel_hi:[0,1]
	v_pk_fma_f32 v[30:31], v[28:29], v[12:13], v[26:27] neg_lo:[0,0,1] neg_hi:[0,0,1]
	v_pk_fma_f32 v[12:13], v[28:29], v[12:13], v[26:27] op_sel_hi:[1,0,1]
	v_mov_b32_e32 v37, v7
	v_mov_b32_e32 v31, v13
	s_waitcnt lgkmcnt(0)
	v_pk_mul_f32 v[12:13], v[38:39], v[14:15] op_sel:[1,1] op_sel_hi:[0,1]
	v_pk_fma_f32 v[26:27], v[38:39], v[14:15], v[12:13] neg_lo:[0,0,1] neg_hi:[0,0,1]
	v_pk_fma_f32 v[12:13], v[38:39], v[14:15], v[12:13] op_sel_hi:[1,0,1]
	v_pk_add_f32 v[6:7], v[36:37], 0 op_sel_hi:[1,0]
	v_mov_b32_e32 v27, v13
	v_pk_mul_f32 v[12:13], v[40:41], v[20:21] op_sel:[1,1] op_sel_hi:[0,1]
	v_pk_add_f32 v[6:7], v[6:7], v[30:31]
	v_pk_fma_f32 v[14:15], v[40:41], v[20:21], v[12:13] neg_lo:[0,0,1] neg_hi:[0,0,1]
	v_pk_fma_f32 v[12:13], v[40:41], v[20:21], v[12:13] op_sel_hi:[1,0,1]
	v_mov_b32_e32 v36, 0
	v_pk_add_f32 v[6:7], v[6:7], v[26:27]
	v_mov_b32_e32 v15, v13
	v_mov_b32_e32 v37, v36
	v_pk_add_f32 v[6:7], v[6:7], v[14:15]
	v_cmp_gt_u32_e64 s[6:7], 32, v22
	s_barrier
	ds_write_b64 v24, v[6:7]
	s_waitcnt lgkmcnt(0)
	s_barrier
	s_and_saveexec_b64 s[16:17], s[6:7]
	s_cbranch_execz .LBB187_39
; %bb.38:
	ds_read2_b64 v[12:15], v23 offset1:7
	ds_read2_b64 v[26:29], v23 offset0:1 offset1:2
	ds_read2_b64 v[36:39], v23 offset0:3 offset1:4
	s_waitcnt lgkmcnt(1)
	v_add_f32_e32 v1, v26, v12
	v_add_f32_e32 v6, v27, v13
	;; [unrolled: 1-line block ×4, first 2 shown]
	ds_read2_b64 v[26:29], v23 offset0:5 offset1:6
	s_waitcnt lgkmcnt(1)
	v_add_f32_e32 v1, v1, v36
	v_add_f32_e32 v6, v6, v37
	;; [unrolled: 1-line block ×4, first 2 shown]
	s_waitcnt lgkmcnt(0)
	v_add_f32_e32 v1, v1, v26
	v_add_f32_e32 v7, v6, v27
	;; [unrolled: 1-line block ×4, first 2 shown]
	v_pk_add_f32 v[36:37], v[6:7], v[14:15]
.LBB187_39:
	s_or_b64 exec, exec, s[16:17]
	s_lshl_b32 s36, s24, 5
	s_ashr_i32 s37, s36, 31
	v_cndmask_b32_e64 v1, 0, 1, s[20:21]
	v_lshl_add_u64 v[6:7], s[36:37], 3, v[4:5]
	s_mov_b64 s[38:39], 0x100
	v_cmp_ne_u32_e64 s[16:17], 1, v1
	s_andn2_b64 vcc, exec, s[20:21]
	s_mov_b64 s[20:21], -1
	s_barrier
	s_cbranch_vccnz .LBB187_41
; %bb.40:
	s_lshl_b32 s20, s24, 3
	s_ashr_i32 s21, s20, 31
	s_ashr_i32 s25, s24, 31
	v_lshl_add_u64 v[4:5], s[20:21], 3, v[6:7]
	s_lshl_b64 s[20:21], s[24:25], 6
	v_lshl_add_u64 v[12:13], v[4:5], 0, s[20:21]
	v_lshl_add_u64 v[14:15], v[12:13], 0, s[20:21]
	flat_load_dwordx2 v[20:21], v[6:7] offset:256
	flat_load_dwordx2 v[26:27], v[4:5] offset:256
	;; [unrolled: 1-line block ×4, first 2 shown]
	s_movk_i32 s20, 0x108
	v_mad_u32_u24 v1, v8, s20, v0
	s_mov_b64 s[20:21], 0
	s_waitcnt vmcnt(0) lgkmcnt(0)
	ds_write_b64 v1, v[20:21]
	ds_write_b64 v1, v[26:27] offset:2112
	ds_write_b64 v1, v[28:29] offset:4224
	;; [unrolled: 1-line block ×3, first 2 shown]
.LBB187_41:
	s_andn2_b64 vcc, exec, s[20:21]
	v_lshl_add_u64 v[4:5], v[6:7], 0, s[38:39]
	s_cbranch_vccnz .LBB187_57
; %bb.42:
	v_sub_co_u32_e32 v6, vcc, v6, v0
	s_ashr_i32 s27, s26, 31
	s_nop 0
	v_subbrev_co_u32_e32 v7, vcc, 0, v7, vcc
	v_or_b32_e32 v1, 32, v2
	v_lshl_add_u64 v[6:7], s[26:27], 3, v[6:7]
	v_mov_b32_e32 v12, 0
	v_lshl_add_u64 v[6:7], v[6:7], 0, -8
	v_cmp_gt_i32_e32 vcc, s26, v1
	s_sub_i32 s25, s26, 32
	v_cmp_gt_i32_e64 s[20:21], s25, v8
	v_cndmask_b32_e32 v7, v7, v5, vcc
	v_cndmask_b32_e32 v6, v6, v4, vcc
	v_mov_b32_e32 v13, v12
	s_and_saveexec_b64 s[38:39], s[20:21]
	s_cbranch_execz .LBB187_44
; %bb.43:
	flat_load_dwordx2 v[12:13], v[6:7]
.LBB187_44:
	s_or_b64 exec, exec, s[38:39]
	s_movk_i32 s20, 0x108
	v_mad_u32_u24 v14, v8, s20, v0
	s_waitcnt vmcnt(0) lgkmcnt(0)
	ds_write_b64 v14, v[12:13]
	v_add_u32_e32 v12, 8, v8
	v_mul_u32_u24_e32 v1, 0x108, v8
	v_cmp_le_i32_e64 s[20:21], s25, v12
	s_and_saveexec_b64 s[38:39], s[20:21]
	s_xor_b64 s[20:21], exec, s[38:39]
; %bb.45:
	v_mov_b32_e32 v14, 0
	v_add_u32_e32 v12, v1, v0
	v_mov_b32_e32 v15, v14
	ds_write_b64 v12, v[14:15] offset:2112
; %bb.46:
	s_andn2_saveexec_b64 s[20:21], s[20:21]
	s_cbranch_execz .LBB187_48
; %bb.47:
	s_lshl_b32 s38, s24, 3
	s_ashr_i32 s39, s38, 31
	v_lshl_add_u64 v[12:13], s[38:39], 3, v[6:7]
	flat_load_dwordx2 v[12:13], v[12:13]
	v_add_u32_e32 v14, v1, v0
	s_waitcnt vmcnt(0) lgkmcnt(0)
	ds_write_b64 v14, v[12:13] offset:2112
.LBB187_48:
	s_or_b64 exec, exec, s[20:21]
	v_add_u32_e32 v12, 16, v8
	v_cmp_le_i32_e64 s[20:21], s25, v12
	s_and_saveexec_b64 s[38:39], s[20:21]
	s_xor_b64 s[20:21], exec, s[38:39]
; %bb.49:
	v_mov_b32_e32 v14, 0
	v_add_u32_e32 v12, v1, v0
	v_mov_b32_e32 v15, v14
	ds_write_b64 v12, v[14:15] offset:4224
; %bb.50:
	s_andn2_saveexec_b64 s[20:21], s[20:21]
	s_cbranch_execz .LBB187_52
; %bb.51:
	s_lshl_b32 s38, s24, 4
	s_ashr_i32 s39, s38, 31
	v_lshl_add_u64 v[12:13], s[38:39], 3, v[6:7]
	flat_load_dwordx2 v[12:13], v[12:13]
	v_add_u32_e32 v14, v1, v0
	s_waitcnt vmcnt(0) lgkmcnt(0)
	ds_write_b64 v14, v[12:13] offset:4224
.LBB187_52:
	s_or_b64 exec, exec, s[20:21]
	v_add_u32_e32 v12, 24, v8
	v_cmp_le_i32_e64 s[20:21], s25, v12
	s_and_saveexec_b64 s[38:39], s[20:21]
	s_xor_b64 s[20:21], exec, s[38:39]
; %bb.53:
	v_mov_b32_e32 v12, 0
	v_add_u32_e32 v1, v1, v0
	v_mov_b32_e32 v13, v12
	ds_write_b64 v1, v[12:13] offset:6336
                                        ; implicit-def: $vgpr1
; %bb.54:
	s_andn2_saveexec_b64 s[20:21], s[20:21]
	s_cbranch_execz .LBB187_56
; %bb.55:
	s_mul_i32 s38, s24, 24
	s_ashr_i32 s39, s38, 31
	v_lshl_add_u64 v[12:13], s[38:39], 3, v[6:7]
	flat_load_dwordx2 v[12:13], v[12:13]
	v_add_u32_e32 v1, v1, v0
	s_waitcnt vmcnt(0) lgkmcnt(0)
	ds_write_b64 v1, v[12:13] offset:6336
.LBB187_56:
	s_or_b64 exec, exec, s[20:21]
	v_mov_b32_e32 v1, 0
	v_lshl_add_u64 v[6:7], v[6:7], 0, v[0:1]
	s_lshl_b64 s[20:21], s[26:27], 3
	v_mov_b32_e32 v1, s21
	v_subrev_co_u32_e64 v6, s[20:21], s20, v6
	s_nop 1
	v_subb_co_u32_e64 v7, s[20:21], v7, v1, s[20:21]
	s_mov_b64 s[20:21], 0x108
	s_nop 0
	v_lshl_add_u64 v[6:7], v[6:7], 0, s[20:21]
	v_cndmask_b32_e32 v5, v7, v5, vcc
	v_cndmask_b32_e32 v4, v6, v4, vcc
.LBB187_57:
	v_mul_u32_u24_e32 v1, 0x420, v8
	v_add_u32_e32 v6, 0x2380, v11
	v_mul_u32_u24_e32 v3, 0x108, v3
	v_add_u32_e32 v1, v0, v1
	s_waitcnt lgkmcnt(0)
	s_barrier
	s_and_saveexec_b64 s[20:21], s[8:9]
	s_cbranch_execnz .LBB187_66
; %bb.58:
	s_or_b64 exec, exec, s[20:21]
	v_add_u32_e32 v3, v0, v3
	s_and_saveexec_b64 s[8:9], s[10:11]
	s_cbranch_execnz .LBB187_67
.LBB187_59:
	s_or_b64 exec, exec, s[8:9]
	s_and_saveexec_b64 s[8:9], s[12:13]
	s_cbranch_execnz .LBB187_68
.LBB187_60:
	s_or_b64 exec, exec, s[8:9]
	s_and_saveexec_b64 s[8:9], s[14:15]
	s_cbranch_execz .LBB187_62
.LBB187_61:
	ds_read_b64 v[12:13], v10
	v_lshl_add_u32 v7, v9, 3, v23
	s_waitcnt lgkmcnt(0)
	ds_write_b64 v7, v[12:13] offset:24
.LBB187_62:
	s_or_b64 exec, exec, s[8:9]
	s_waitcnt lgkmcnt(0)
	s_barrier
	ds_read_b64 v[20:21], v1
	ds_read_b128 v[12:15], v6 offset:256
	ds_read2_b64 v[26:29], v3 offset1:33
	ds_read_b64 v[10:11], v10
	ds_read_b128 v[38:41], v6 offset:272
	v_cmp_eq_u32_e64 s[8:9], 1, v8
	s_waitcnt lgkmcnt(3)
	v_pk_mul_f32 v[30:31], v[12:13], v[20:21] op_sel:[1,1] op_sel_hi:[0,1]
	v_pk_fma_f32 v[42:43], v[12:13], v[20:21], v[30:31] neg_lo:[0,0,1] neg_hi:[0,0,1]
	v_pk_fma_f32 v[12:13], v[12:13], v[20:21], v[30:31] op_sel_hi:[1,0,1]
	s_waitcnt lgkmcnt(2)
	v_pk_mul_f32 v[20:21], v[14:15], v[26:27] op_sel:[1,1] op_sel_hi:[0,1]
	v_pk_fma_f32 v[30:31], v[14:15], v[26:27], v[20:21] neg_lo:[0,0,1] neg_hi:[0,0,1]
	v_pk_fma_f32 v[14:15], v[14:15], v[26:27], v[20:21] op_sel_hi:[1,0,1]
	v_mov_b32_e32 v43, v13
	v_mov_b32_e32 v31, v15
	s_waitcnt lgkmcnt(0)
	v_pk_mul_f32 v[14:15], v[38:39], v[28:29] op_sel:[1,1] op_sel_hi:[0,1]
	v_pk_add_f32 v[12:13], v[42:43], 0 op_sel_hi:[1,0]
	v_pk_fma_f32 v[20:21], v[38:39], v[28:29], v[14:15] neg_lo:[0,0,1] neg_hi:[0,0,1]
	v_pk_fma_f32 v[14:15], v[38:39], v[28:29], v[14:15] op_sel_hi:[1,0,1]
	v_pk_add_f32 v[12:13], v[12:13], v[30:31]
	v_mov_b32_e32 v21, v15
	v_pk_mul_f32 v[14:15], v[40:41], v[10:11] op_sel:[1,1] op_sel_hi:[0,1]
	v_pk_add_f32 v[12:13], v[12:13], v[20:21]
	v_pk_fma_f32 v[20:21], v[40:41], v[10:11], v[14:15] neg_lo:[0,0,1] neg_hi:[0,0,1]
	v_pk_fma_f32 v[10:11], v[40:41], v[10:11], v[14:15] op_sel_hi:[1,0,1]
	s_nop 0
	v_mov_b32_e32 v21, v11
	v_pk_add_f32 v[10:11], v[12:13], v[20:21]
	s_barrier
	ds_write_b64 v24, v[10:11]
	s_waitcnt lgkmcnt(0)
	s_barrier
	s_and_saveexec_b64 s[10:11], s[8:9]
	s_cbranch_execz .LBB187_64
; %bb.63:
	ds_read2_b64 v[10:13], v23 offset1:7
	ds_read2_b64 v[26:29], v23 offset0:1 offset1:2
	ds_read2_b64 v[36:39], v23 offset0:3 offset1:4
	s_waitcnt lgkmcnt(1)
	v_add_f32_e32 v1, v26, v10
	v_add_f32_e32 v3, v27, v11
	;; [unrolled: 1-line block ×4, first 2 shown]
	ds_read2_b64 v[26:29], v23 offset0:5 offset1:6
	s_waitcnt lgkmcnt(1)
	v_add_f32_e32 v1, v1, v36
	v_add_f32_e32 v3, v3, v37
	;; [unrolled: 1-line block ×4, first 2 shown]
	s_waitcnt lgkmcnt(0)
	v_add_f32_e32 v10, v1, v26
	v_add_f32_e32 v11, v3, v27
	v_pk_add_f32 v[10:11], v[10:11], v[28:29]
	s_nop 0
	v_pk_add_f32 v[36:37], v[10:11], v[12:13]
.LBB187_64:
	s_or_b64 exec, exec, s[10:11]
	s_lshl_b64 s[10:11], s[36:37], 3
	v_mov_b32_e32 v1, s11
	v_subrev_co_u32_e64 v20, s[10:11], s10, v4
	s_and_b64 vcc, exec, s[16:17]
	s_nop 0
	v_subb_co_u32_e64 v21, s[10:11], v5, v1, s[10:11]
	s_barrier
	s_cbranch_vccnz .LBB187_69
; %bb.65:
	s_lshl_b32 s10, s24, 3
	s_ashr_i32 s11, s10, 31
	s_ashr_i32 s25, s24, 31
	v_lshl_add_u64 v[4:5], s[10:11], 3, v[20:21]
	s_lshl_b64 s[10:11], s[24:25], 6
	v_lshl_add_u64 v[10:11], v[4:5], 0, s[10:11]
	v_lshl_add_u64 v[12:13], v[10:11], 0, s[10:11]
	flat_load_dwordx2 v[14:15], v[20:21]
	flat_load_dwordx2 v[26:27], v[4:5]
	;; [unrolled: 1-line block ×4, first 2 shown]
	s_movk_i32 s10, 0x108
	v_mov_b32_e32 v1, 0x840
	v_mov_b32_e32 v3, 0x1080
	;; [unrolled: 1-line block ×3, first 2 shown]
	v_mul_u32_u24_e32 v4, 0x108, v8
	v_add_u32_e32 v5, 8, v8
	v_add_u32_e32 v7, 16, v8
	;; [unrolled: 1-line block ×3, first 2 shown]
	v_mad_u32_u24 v12, v8, s10, v0
	v_mad_u32_u24 v1, v8, s10, v1
	;; [unrolled: 1-line block ×4, first 2 shown]
	v_add_u32_e32 v13, v0, v1
	v_add_u32_e32 v25, v0, v3
	;; [unrolled: 1-line block ×3, first 2 shown]
	s_waitcnt vmcnt(0) lgkmcnt(0)
	ds_write_b64 v12, v[14:15]
	ds_write_b64 v13, v[26:27]
	;; [unrolled: 1-line block ×4, first 2 shown]
	s_cbranch_execz .LBB187_70
	s_branch .LBB187_85
.LBB187_66:
	ds_read_b64 v[12:13], v1
	v_lshl_add_u32 v7, v9, 3, v23
	s_waitcnt lgkmcnt(0)
	ds_write_b64 v7, v[12:13]
	s_or_b64 exec, exec, s[20:21]
	v_add_u32_e32 v3, v0, v3
	s_and_saveexec_b64 s[8:9], s[10:11]
	s_cbranch_execz .LBB187_59
.LBB187_67:
	ds_read_b64 v[12:13], v3
	v_lshl_add_u32 v7, v9, 3, v23
	s_waitcnt lgkmcnt(0)
	ds_write_b64 v7, v[12:13] offset:8
	s_or_b64 exec, exec, s[8:9]
	s_and_saveexec_b64 s[8:9], s[12:13]
	s_cbranch_execz .LBB187_60
.LBB187_68:
	ds_read_b64 v[12:13], v3 offset:264
	v_lshl_add_u32 v7, v9, 3, v23
	s_waitcnt lgkmcnt(0)
	ds_write_b64 v7, v[12:13] offset:16
	s_or_b64 exec, exec, s[8:9]
	s_and_saveexec_b64 s[8:9], s[14:15]
	s_cbranch_execnz .LBB187_61
	s_branch .LBB187_62
.LBB187_69:
                                        ; implicit-def: $vgpr4
                                        ; implicit-def: $vgpr5
                                        ; implicit-def: $vgpr1
                                        ; implicit-def: $vgpr7
                                        ; implicit-def: $vgpr3
                                        ; implicit-def: $vgpr10
                                        ; implicit-def: $vgpr11
.LBB187_70:
	v_or_b32_e32 v1, 32, v2
	v_lshlrev_b32_e32 v2, 3, v1
	v_sub_co_u32_e32 v2, vcc, v20, v2
	s_ashr_i32 s27, s26, 31
	s_nop 0
	v_subbrev_co_u32_e32 v3, vcc, 0, v21, vcc
	v_lshl_add_u64 v[2:3], s[26:27], 3, v[2:3]
	v_mov_b32_e32 v10, 0
	v_lshl_add_u64 v[2:3], v[2:3], 0, -8
	v_cmp_gt_i32_e32 vcc, s26, v1
	v_cmp_gt_i32_e64 s[10:11], s26, v8
	v_mov_b32_e32 v11, v10
	v_cndmask_b32_e32 v3, v3, v21, vcc
	v_cndmask_b32_e32 v2, v2, v20, vcc
	s_and_saveexec_b64 s[12:13], s[10:11]
	s_cbranch_execz .LBB187_72
; %bb.71:
	flat_load_dwordx2 v[10:11], v[2:3]
.LBB187_72:
	s_or_b64 exec, exec, s[12:13]
	s_movk_i32 s10, 0x108
	v_add_u32_e32 v5, 8, v8
	v_mul_u32_u24_e32 v4, 0x108, v8
	v_mad_u32_u24 v1, v8, s10, v0
	v_cmp_le_i32_e64 s[10:11], s26, v5
	s_waitcnt vmcnt(0) lgkmcnt(0)
	ds_write_b64 v1, v[10:11]
	s_and_saveexec_b64 s[12:13], s[10:11]
	s_xor_b64 s[10:11], exec, s[12:13]
; %bb.73:
	v_mov_b32_e32 v10, 0
	v_add_u32_e32 v1, v4, v0
	v_mov_b32_e32 v11, v10
	ds_write_b64 v1, v[10:11] offset:2112
; %bb.74:
	s_andn2_saveexec_b64 s[10:11], s[10:11]
	s_cbranch_execz .LBB187_76
; %bb.75:
	s_lshl_b32 s12, s24, 3
	s_ashr_i32 s13, s12, 31
	v_lshl_add_u64 v[10:11], s[12:13], 3, v[2:3]
	flat_load_dwordx2 v[10:11], v[10:11]
	v_add_u32_e32 v1, v4, v0
	s_waitcnt vmcnt(0) lgkmcnt(0)
	ds_write_b64 v1, v[10:11] offset:2112
.LBB187_76:
	s_or_b64 exec, exec, s[10:11]
	v_add_u32_e32 v7, 16, v8
	v_cmp_le_i32_e64 s[10:11], s26, v7
	s_and_saveexec_b64 s[12:13], s[10:11]
	s_xor_b64 s[10:11], exec, s[12:13]
; %bb.77:
	v_mov_b32_e32 v10, 0
	v_add_u32_e32 v1, v4, v0
	v_mov_b32_e32 v11, v10
	ds_write_b64 v1, v[10:11] offset:4224
; %bb.78:
	s_andn2_saveexec_b64 s[10:11], s[10:11]
	s_cbranch_execz .LBB187_80
; %bb.79:
	s_lshl_b32 s12, s24, 4
	s_ashr_i32 s13, s12, 31
	v_lshl_add_u64 v[10:11], s[12:13], 3, v[2:3]
	flat_load_dwordx2 v[10:11], v[10:11]
	v_add_u32_e32 v1, v4, v0
	s_waitcnt vmcnt(0) lgkmcnt(0)
	ds_write_b64 v1, v[10:11] offset:4224
.LBB187_80:
	s_or_b64 exec, exec, s[10:11]
	v_add_u32_e32 v10, 24, v8
	v_cmp_le_i32_e64 s[10:11], s26, v10
                                        ; implicit-def: $vgpr11
	s_and_saveexec_b64 s[12:13], s[10:11]
	s_xor_b64 s[10:11], exec, s[12:13]
; %bb.81:
	v_add_u32_e32 v11, 0x18c0, v4
	v_mov_b32_e32 v12, 0
	v_add_u32_e32 v1, v0, v11
	v_mov_b32_e32 v13, v12
	ds_write_b64 v1, v[12:13]
; %bb.82:
	s_andn2_saveexec_b64 s[10:11], s[10:11]
	s_cbranch_execz .LBB187_84
; %bb.83:
	s_mul_i32 s12, s24, 24
	s_ashr_i32 s13, s12, 31
	v_lshl_add_u64 v[12:13], s[12:13], 3, v[2:3]
	flat_load_dwordx2 v[12:13], v[12:13]
	v_add_u32_e32 v11, 0x18c0, v4
	v_add_u32_e32 v1, v0, v11
	s_waitcnt vmcnt(0) lgkmcnt(0)
	ds_write_b64 v1, v[12:13]
.LBB187_84:
	s_or_b64 exec, exec, s[10:11]
	v_mov_b32_e32 v1, 0
	v_lshl_add_u64 v[2:3], v[2:3], 0, v[0:1]
	s_lshl_b64 s[10:11], s[26:27], 3
	v_mov_b32_e32 v1, s11
	v_subrev_co_u32_e64 v2, s[10:11], s10, v2
	s_nop 1
	v_subb_co_u32_e64 v3, s[10:11], v3, v1, s[10:11]
	s_mov_b64 s[10:11], 0x108
	s_nop 0
	v_lshl_add_u64 v[2:3], v[2:3], 0, s[10:11]
	v_cndmask_b32_e32 v21, v3, v21, vcc
	v_cndmask_b32_e32 v20, v2, v20, vcc
	v_add_u32_e32 v1, 0x840, v4
	v_add_u32_e32 v3, 0x1080, v4
.LBB187_85:
	v_add_u32_e32 v25, v0, v4
	v_add_u32_e32 v28, v0, v1
	v_lshlrev_b32_e32 v30, 3, v5
	v_add_u32_e32 v40, v0, v3
	v_lshlrev_b32_e32 v46, 3, v7
	;; [unrolled: 2-line block ×3, first 2 shown]
	v_lshl_add_u32 v0, v9, 3, v23
	s_waitcnt lgkmcnt(0)
	s_barrier
	v_lshlrev_b32_e32 v35, 3, v8
	ds_read2_b64 v[8:11], v0 offset1:1
	ds_read2_b64 v[0:3], v0 offset0:2 offset1:3
	ds_read_b128 v[12:15], v6 offset:256
	ds_read_b128 v[4:7], v6 offset:272
	ds_read_b64 v[26:27], v25
	ds_read_b64 v[28:29], v28
	ds_read_b64 v[30:31], v30 offset:9088
	ds_read_b64 v[38:39], v35 offset:9088
	ds_read_b64 v[40:41], v40
	ds_read2_b32 v[42:43], v42 offset1:1
	ds_read_b64 v[44:45], v44 offset:9088
	ds_read_b64 v[46:47], v46 offset:9088
	s_waitcnt lgkmcnt(4)
	v_pk_mul_f32 v[48:49], v[38:39], v[26:27] op_sel:[1,1] op_sel_hi:[0,1]
	v_pk_fma_f32 v[50:51], v[38:39], v[26:27], v[48:49] neg_lo:[0,0,1] neg_hi:[0,0,1]
	v_pk_fma_f32 v[26:27], v[38:39], v[26:27], v[48:49] op_sel_hi:[1,0,1]
	v_pk_mul_f32 v[38:39], v[30:31], v[28:29] op_sel:[1,1] op_sel_hi:[0,1]
	v_pk_fma_f32 v[48:49], v[30:31], v[28:29], v[38:39] neg_lo:[0,0,1] neg_hi:[0,0,1]
	v_pk_fma_f32 v[28:29], v[30:31], v[28:29], v[38:39] op_sel_hi:[1,0,1]
	v_mov_b32_e32 v51, v27
	v_mov_b32_e32 v49, v29
	s_waitcnt lgkmcnt(0)
	v_pk_mul_f32 v[28:29], v[46:47], v[40:41] op_sel:[1,1] op_sel_hi:[0,1]
	v_pk_add_f32 v[26:27], v[50:51], 0 op_sel_hi:[1,0]
	v_pk_fma_f32 v[30:31], v[46:47], v[40:41], v[28:29] neg_lo:[0,0,1] neg_hi:[0,0,1]
	v_pk_fma_f32 v[28:29], v[46:47], v[40:41], v[28:29] op_sel_hi:[1,0,1]
	v_pk_add_f32 v[26:27], v[26:27], v[48:49]
	v_mov_b32_e32 v31, v29
	v_pk_mul_f32 v[28:29], v[44:45], v[42:43] op_sel:[1,1] op_sel_hi:[0,1]
	v_pk_add_f32 v[26:27], v[26:27], v[30:31]
	v_pk_fma_f32 v[30:31], v[44:45], v[42:43], v[28:29] neg_lo:[0,0,1] neg_hi:[0,0,1]
	v_pk_fma_f32 v[28:29], v[44:45], v[42:43], v[28:29] op_sel_hi:[1,0,1]
	s_nop 0
	v_mov_b32_e32 v31, v29
	v_pk_add_f32 v[26:27], v[26:27], v[30:31]
	s_barrier
	ds_write_b64 v24, v[26:27]
	s_waitcnt lgkmcnt(0)
	s_barrier
	s_and_saveexec_b64 s[10:11], s[8:9]
	s_cbranch_execz .LBB187_87
; %bb.86:
	ds_read2_b64 v[26:29], v23 offset1:1
	ds_read2_b64 v[38:41], v23 offset0:2 offset1:3
	ds_read2_b64 v[42:45], v23 offset0:4 offset1:5
	s_waitcnt lgkmcnt(2)
	v_pk_add_f32 v[26:27], v[36:37], v[26:27]
	s_nop 0
	v_pk_add_f32 v[30:31], v[26:27], v[28:29]
	ds_read2_b64 v[26:29], v23 offset0:6 offset1:7
	s_waitcnt lgkmcnt(2)
	v_pk_add_f32 v[30:31], v[30:31], v[38:39]
	s_nop 0
	v_pk_add_f32 v[30:31], v[30:31], v[40:41]
	s_waitcnt lgkmcnt(1)
	v_pk_add_f32 v[30:31], v[30:31], v[42:43]
	s_nop 0
	v_pk_add_f32 v[30:31], v[30:31], v[44:45]
	;; [unrolled: 4-line block ×3, first 2 shown]
.LBB187_87:
	s_or_b64 exec, exec, s[10:11]
	v_pk_mul_f32 v[26:27], v[12:13], v[8:9] op_sel:[1,1] op_sel_hi:[0,1]
	v_pk_fma_f32 v[28:29], v[12:13], v[8:9], v[26:27] neg_lo:[0,0,1] neg_hi:[0,0,1]
	v_pk_fma_f32 v[8:9], v[12:13], v[8:9], v[26:27] op_sel_hi:[1,0,1]
	v_mov_b32_e32 v12, v11
	v_pk_mul_f32 v[12:13], v[14:15], v[12:13] op_sel:[1,0] op_sel_hi:[0,0]
	v_pk_fma_f32 v[26:27], v[14:15], v[10:11], v[12:13] neg_lo:[0,0,1] neg_hi:[0,0,1]
	v_pk_fma_f32 v[10:11], v[14:15], v[10:11], v[12:13] op_sel_hi:[1,0,1]
	v_mov_b32_e32 v29, v9
	v_mov_b32_e32 v27, v11
	v_pk_mul_f32 v[10:11], v[4:5], v[0:1] op_sel:[1,1] op_sel_hi:[0,1]
	v_pk_add_f32 v[8:9], v[28:29], 0 op_sel_hi:[1,0]
	v_pk_fma_f32 v[12:13], v[4:5], v[0:1], v[10:11] neg_lo:[0,0,1] neg_hi:[0,0,1]
	v_pk_fma_f32 v[0:1], v[4:5], v[0:1], v[10:11] op_sel_hi:[1,0,1]
	v_mov_b32_e32 v4, v3
	v_pk_add_f32 v[8:9], v[8:9], v[26:27]
	v_mov_b32_e32 v13, v1
	v_pk_mul_f32 v[4:5], v[6:7], v[4:5] op_sel:[1,0] op_sel_hi:[0,0]
	v_pk_add_f32 v[0:1], v[8:9], v[12:13]
	v_pk_fma_f32 v[8:9], v[6:7], v[2:3], v[4:5] neg_lo:[0,0,1] neg_hi:[0,0,1]
	v_pk_fma_f32 v[2:3], v[6:7], v[2:3], v[4:5] op_sel_hi:[1,0,1]
	s_nop 0
	v_mov_b32_e32 v9, v3
	v_pk_add_f32 v[0:1], v[0:1], v[8:9]
	s_barrier
	ds_write_b64 v24, v[0:1]
	s_waitcnt lgkmcnt(0)
	s_barrier
	s_and_saveexec_b64 s[8:9], s[6:7]
	s_cbranch_execz .LBB187_89
; %bb.88:
	ds_read2_b64 v[0:3], v23 offset1:1
	ds_read2_b64 v[4:7], v23 offset0:2 offset1:3
	ds_read2_b64 v[8:11], v23 offset0:4 offset1:5
	s_waitcnt lgkmcnt(2)
	v_pk_add_f32 v[0:1], v[36:37], v[0:1]
	s_nop 0
	v_pk_add_f32 v[12:13], v[0:1], v[2:3]
	ds_read2_b64 v[0:3], v23 offset0:6 offset1:7
	s_waitcnt lgkmcnt(2)
	v_pk_add_f32 v[4:5], v[12:13], v[4:5]
	s_nop 0
	v_pk_add_f32 v[4:5], v[4:5], v[6:7]
	s_waitcnt lgkmcnt(1)
	v_pk_add_f32 v[4:5], v[4:5], v[8:9]
	s_nop 0
	v_pk_add_f32 v[4:5], v[4:5], v[10:11]
	;; [unrolled: 4-line block ×3, first 2 shown]
.LBB187_89:
	s_or_b64 exec, exec, s[8:9]
	s_load_dwordx2 s[0:1], s[0:1], 0x68
	s_mul_hi_u32 s6, s23, s22
	s_mul_i32 s40, s40, s22
	s_add_i32 s6, s6, s40
	s_mul_i32 s8, s23, s22
	s_mul_i32 s6, s6, s33
	s_mul_hi_u32 s7, s8, s33
	s_add_i32 s7, s7, s6
	s_mul_i32 s6, s8, s33
	s_lshl_b64 s[6:7], s[6:7], 3
	s_waitcnt lgkmcnt(0)
	s_add_u32 s6, s0, s6
	s_mul_i32 s0, s23, s2
	s_addc_u32 s7, s1, s7
	s_ashr_i32 s1, s0, 31
	s_lshl_b64 s[0:1], s[0:1], 3
	s_add_u32 s6, s6, s0
	v_cmp_le_i32_e32 vcc, s26, v34
	s_addc_u32 s7, s7, s1
	s_and_b64 vcc, s[34:35], vcc
	s_cmp_lt_i32 s2, 1
	v_lshlrev_b32_e32 v74, 3, v34
	s_barrier
	s_cbranch_scc1 .LBB187_96
; %bb.90:
	s_mul_i32 s0, s3, s28
	s_ashr_i32 s1, s0, 31
	s_lshl_b64 s[0:1], s[0:1], 3
	v_mov_b32_e32 v0, s1
	v_subrev_co_u32_e64 v38, s[0:1], s0, v16
	v_lshlrev_b64 v[2:3], 3, v[18:19]
	s_nop 0
	v_subb_co_u32_e64 v39, s[0:1], v17, v0, s[0:1]
	s_lshl_b64 s[0:1], s[30:31], 3
	s_nop 0
	v_mov_b32_e32 v1, s1
	v_subrev_co_u32_e64 v0, s[0:1], s0, v20
	s_ashr_i32 s27, s26, 31
	s_nop 0
	v_subb_co_u32_e64 v1, s[0:1], v21, v1, s[0:1]
	s_movk_i32 s0, 0xff00
	s_mov_b32 s1, -1
	v_lshl_add_u64 v[0:1], v[0:1], 0, s[0:1]
	v_sub_co_u32_e64 v0, s[0:1], v0, v2
	v_mul_lo_u32 v2, v33, s24
	v_lshl_add_u32 v2, v2, 2, v34
	v_subb_co_u32_e64 v1, s[0:1], v1, v3, s[0:1]
	v_ashrrev_i32_e32 v3, 31, v2
	v_lshl_add_u64 v[0:1], v[2:3], 3, v[0:1]
	v_sub_co_u32_e64 v2, s[0:1], v0, v74
	v_lshrrev_b32_e32 v4, 4, v22
	s_nop 0
	v_subbrev_co_u32_e64 v3, s[0:1], 0, v1, s[0:1]
	v_lshl_add_u64 v[2:3], s[26:27], 3, v[2:3]
	v_lshl_add_u64 v[2:3], v[2:3], 0, -8
	v_cndmask_b32_e32 v41, v1, v3, vcc
	v_cndmask_b32_e32 v40, v0, v2, vcc
	v_mov_b32_e32 v0, 0x2180
	v_and_b32_e32 v1, 48, v34
	v_and_b32_e32 v5, 15, v34
	v_lshl_add_u32 v76, v33, 5, v0
	v_lshlrev_b32_e32 v0, 5, v4
	s_movk_i32 s8, 0x218
	v_lshlrev_b32_e32 v1, 3, v1
	s_movk_i32 s0, 0x860
	v_mad_u32_u24 v79, v5, s8, v0
	v_mul_i32_i24_e32 v0, 0xffffffe8, v4
	v_mad_u32_u24 v80, v5, s8, v1
	v_or_b32_e32 v1, 0x78, v74
	s_ashr_i32 s25, s24, 31
	v_mov_b32_e32 v35, 0
	s_lshl_b32 s3, s3, 6
	v_add_u32_e32 v75, 0x2180, v74
	v_add_u32_e32 v77, 0x2380, v74
	v_mad_u32_u24 v78, v33, s0, v74
	v_cmp_gt_u32_e64 s[0:1], 64, v22
	v_mad_u32_u24 v81, v5, s8, v1
	s_lshl_b64 s[8:9], s[24:25], 3
	s_lshl_b64 s[10:11], s[24:25], 4
	;; [unrolled: 1-line block ×3, first 2 shown]
	s_mul_hi_i32 s15, s24, 24
	s_mul_i32 s14, s24, 24
	s_lshl_b64 s[16:17], s[24:25], 7
	s_mul_hi_i32 s21, s24, 0x90
	s_mul_i32 s20, s24, 0x90
	s_mul_hi_i32 s23, s24, 0x98
	s_mul_i32 s22, s24, 0x98
	s_lshl_b64 s[26:27], s[24:25], 8
	s_mul_hi_i32 s29, s24, 0x110
	s_mul_i32 s28, s24, 0x110
	s_mul_hi_i32 s31, s24, 0x118
	s_mul_i32 s30, s24, 0x118
	;; [unrolled: 2-line block ×7, first 2 shown]
	s_mul_hi_i32 s25, s24, 0x88
	s_mulk_i32 s24, 0x88
	s_mov_b32 s44, 0
	v_add_u32_e32 v82, v79, v0
	s_branch .LBB187_92
.LBB187_91:                             ;   in Loop: Header=BB187_92 Depth=1
	s_or_b64 exec, exec, s[46:47]
	v_mul_f32_e32 v83, v5, v49
	v_mul_f32_e32 v5, v5, v48
	v_fma_f32 v83, v4, v48, -v83
	v_mul_f32_e32 v48, v7, v47
	v_mul_f32_e32 v7, v7, v46
	v_fmac_f32_e32 v5, v4, v49
	v_fma_f32 v48, v6, v46, -v48
	v_mul_f32_e32 v46, v1, v45
	v_mul_f32_e32 v1, v1, v44
	v_add_f32_e32 v4, v37, v5
	v_fmac_f32_e32 v7, v6, v47
	v_add_f32_e32 v36, v36, v83
	v_fma_f32 v46, v0, v44, -v46
	v_mul_f32_e32 v44, v3, v43
	v_mul_f32_e32 v3, v3, v42
	v_add_f32_e32 v4, v4, v7
	v_fmac_f32_e32 v1, v0, v45
	v_add_f32_e32 v36, v36, v48
	v_add_f32_e32 v0, v4, v1
	v_fmac_f32_e32 v3, v2, v43
	v_add_f32_e32 v36, v36, v46
	v_fma_f32 v44, v2, v42, -v44
	v_add_f32_e32 v1, v0, v3
	v_mul_f32_e32 v0, v13, v57
	v_add_f32_e32 v36, v36, v44
	v_fma_f32 v0, v12, v56, -v0
	v_mul_f32_e32 v6, v13, v56
	v_mul_f32_e32 v2, v15, v55
	v_add_f32_e32 v0, v36, v0
	v_fma_f32 v2, v14, v54, -v2
	v_mul_f32_e32 v7, v15, v54
	v_fmac_f32_e32 v6, v12, v57
	v_add_f32_e32 v0, v0, v2
	v_mul_f32_e32 v2, v9, v51
	v_mul_f32_e32 v3, v9, v50
	v_add_f32_e32 v1, v1, v6
	v_fmac_f32_e32 v7, v14, v55
	v_fma_f32 v2, v8, v50, -v2
	v_add_f32_e32 v1, v1, v7
	v_fmac_f32_e32 v3, v8, v51
	v_mul_f32_e32 v4, v11, v53
	v_mul_f32_e32 v5, v11, v52
	v_pk_add_f32 v[0:1], v[0:1], v[2:3]
	v_mov_b32_e32 v2, v65
	v_fma_f32 v4, v10, v52, -v4
	v_fmac_f32_e32 v5, v10, v53
	v_pk_mul_f32 v[2:3], v[16:17], v[2:3] op_sel:[1,0] op_sel_hi:[0,0]
	v_pk_add_f32 v[0:1], v[0:1], v[4:5]
	v_pk_fma_f32 v[4:5], v[16:17], v[64:65], v[2:3] neg_lo:[0,0,1] neg_hi:[0,0,1]
	v_pk_fma_f32 v[2:3], v[16:17], v[64:65], v[2:3] op_sel_hi:[1,0,1]
	s_add_i32 s2, s2, -1
	v_mov_b32_e32 v2, v63
	v_mov_b32_e32 v5, v3
	v_pk_mul_f32 v[2:3], v[18:19], v[2:3] op_sel:[1,0] op_sel_hi:[0,0]
	v_pk_add_f32 v[0:1], v[0:1], v[4:5]
	v_pk_fma_f32 v[4:5], v[18:19], v[62:63], v[2:3] neg_lo:[0,0,1] neg_hi:[0,0,1]
	v_pk_fma_f32 v[2:3], v[18:19], v[62:63], v[2:3] op_sel_hi:[1,0,1]
	s_add_i32 s44, s44, s3
	v_mov_b32_e32 v2, v61
	v_mov_b32_e32 v5, v3
	v_pk_mul_f32 v[2:3], v[20:21], v[2:3] op_sel:[1,0] op_sel_hi:[0,0]
	v_pk_add_f32 v[0:1], v[0:1], v[4:5]
	v_pk_fma_f32 v[4:5], v[20:21], v[60:61], v[2:3] neg_lo:[0,0,1] neg_hi:[0,0,1]
	v_pk_fma_f32 v[2:3], v[20:21], v[60:61], v[2:3] op_sel_hi:[1,0,1]
	v_lshl_add_u64 v[40:41], v[40:41], 0, s[12:13]
	v_mov_b32_e32 v2, v59
	v_mov_b32_e32 v5, v3
	v_pk_mul_f32 v[2:3], v[22:23], v[2:3] op_sel:[1,0] op_sel_hi:[0,0]
	v_pk_add_f32 v[0:1], v[0:1], v[4:5]
	v_pk_fma_f32 v[4:5], v[22:23], v[58:59], v[2:3] neg_lo:[0,0,1] neg_hi:[0,0,1]
	v_pk_fma_f32 v[2:3], v[22:23], v[58:59], v[2:3] op_sel_hi:[1,0,1]
	s_cmp_eq_u32 s2, 0
	v_mov_b32_e32 v2, v73
	v_mov_b32_e32 v5, v3
	v_pk_mul_f32 v[2:3], v[24:25], v[2:3] op_sel:[1,0] op_sel_hi:[0,0]
	v_pk_add_f32 v[0:1], v[0:1], v[4:5]
	v_pk_fma_f32 v[4:5], v[24:25], v[72:73], v[2:3] neg_lo:[0,0,1] neg_hi:[0,0,1]
	v_pk_fma_f32 v[2:3], v[24:25], v[72:73], v[2:3] op_sel_hi:[1,0,1]
	v_add_u32_e32 v34, 64, v34
	v_mov_b32_e32 v2, v71
	v_mov_b32_e32 v5, v3
	v_pk_mul_f32 v[2:3], v[26:27], v[2:3] op_sel:[1,0] op_sel_hi:[0,0]
	v_pk_fma_f32 v[6:7], v[26:27], v[70:71], v[2:3] neg_lo:[0,0,1] neg_hi:[0,0,1]
	v_pk_fma_f32 v[2:3], v[26:27], v[70:71], v[2:3] op_sel_hi:[1,0,1]
	v_pk_add_f32 v[0:1], v[0:1], v[4:5]
	v_mov_b32_e32 v2, v69
	v_mov_b32_e32 v7, v3
	v_pk_mul_f32 v[2:3], v[28:29], v[2:3] op_sel:[1,0] op_sel_hi:[0,0]
	v_pk_fma_f32 v[8:9], v[28:29], v[68:69], v[2:3] neg_lo:[0,0,1] neg_hi:[0,0,1]
	v_pk_fma_f32 v[2:3], v[28:29], v[68:69], v[2:3] op_sel_hi:[1,0,1]
	v_pk_add_f32 v[0:1], v[0:1], v[6:7]
	;; [unrolled: 6-line block ×3, first 2 shown]
	v_mov_b32_e32 v11, v3
	v_pk_add_f32 v[36:37], v[0:1], v[10:11]
	s_barrier
	s_cbranch_scc1 .LBB187_96
.LBB187_92:                             ; =>This Inner Loop Header: Depth=1
	s_and_saveexec_b64 s[46:47], s[18:19]
	s_cbranch_execz .LBB187_94
; %bb.93:                               ;   in Loop: Header=BB187_92 Depth=1
	s_ashr_i32 s45, s44, 31
	v_lshl_add_u64 v[0:1], s[44:45], 3, v[38:39]
	flat_load_dwordx2 v[0:1], v[0:1]
	s_waitcnt vmcnt(0) lgkmcnt(0)
	ds_write_b64 v75, v[0:1]
.LBB187_94:                             ;   in Loop: Header=BB187_92 Depth=1
	s_or_b64 exec, exec, s[46:47]
	v_lshl_add_u64 v[0:1], v[40:41], 0, s[8:9]
	s_waitcnt lgkmcnt(0)
	s_barrier
	flat_load_dwordx2 v[48:49], v[40:41]
	flat_load_dwordx2 v[46:47], v[0:1]
	v_lshl_add_u64 v[0:1], v[40:41], 0, s[10:11]
	flat_load_dwordx2 v[44:45], v[0:1]
	v_lshl_add_u64 v[0:1], v[40:41], 0, s[14:15]
	flat_load_dwordx2 v[42:43], v[0:1]
	ds_read_b64 v[8:9], v77
	ds_read_b128 v[4:7], v76
	ds_read_b128 v[0:3], v76 offset:16
	v_lshl_add_u64 v[10:11], v[40:41], 0, s[16:17]
	v_lshl_add_u64 v[68:69], v[40:41], 0, s[34:35]
	s_waitcnt vmcnt(0) lgkmcnt(0)
	v_mul_f32_e32 v12, v9, v49
	v_mul_f32_e32 v13, v9, v48
	;; [unrolled: 1-line block ×8, first 2 shown]
	v_fma_f32 v12, v8, v48, -v12
	v_fmac_f32_e32 v13, v8, v49
	v_fma_f32 v14, v8, v46, -v14
	v_fmac_f32_e32 v15, v8, v47
	;; [unrolled: 2-line block ×4, first 2 shown]
	v_lshl_add_u64 v[8:9], v[40:41], 0, s[24:25]
	ds_write2_b64 v78, v[12:13], v[14:15] offset1:67
	ds_write2_b64 v78, v[16:17], v[18:19] offset0:134 offset1:201
	s_waitcnt lgkmcnt(0)
	s_barrier
	ds_read2_b64 v[24:27], v79 offset1:1
	ds_read2_b64 v[28:31], v79 offset0:2 offset1:3
	s_waitcnt lgkmcnt(0)
	s_barrier
	flat_load_dwordx2 v[56:57], v[10:11]
	flat_load_dwordx2 v[54:55], v[8:9]
	v_lshl_add_u64 v[8:9], v[40:41], 0, s[20:21]
	flat_load_dwordx2 v[50:51], v[8:9]
	v_lshl_add_u64 v[8:9], v[40:41], 0, s[22:23]
	flat_load_dwordx2 v[52:53], v[8:9]
	ds_read_b64 v[16:17], v77
	v_lshl_add_u64 v[18:19], v[40:41], 0, s[26:27]
	ds_read_b128 v[12:15], v76 offset:128
	ds_read_b128 v[8:11], v76 offset:144
	v_pk_add_f32 v[24:25], v[24:25], 0 op_sel_hi:[1,0]
	s_waitcnt vmcnt(0) lgkmcnt(0)
	v_mul_f32_e32 v20, v17, v57
	v_mul_f32_e32 v21, v17, v56
	v_mul_f32_e32 v22, v17, v55
	v_mul_f32_e32 v23, v17, v54
	v_mul_f32_e32 v58, v17, v51
	v_mul_f32_e32 v59, v17, v50
	v_mul_f32_e32 v60, v17, v53
	v_mul_f32_e32 v61, v16, v53
	v_fma_f32 v20, v16, v56, -v20
	v_fmac_f32_e32 v21, v16, v57
	v_fma_f32 v22, v16, v54, -v22
	v_fmac_f32_e32 v23, v16, v55
	;; [unrolled: 2-line block ×4, first 2 shown]
	v_lshl_add_u64 v[16:17], v[40:41], 0, s[42:43]
	ds_write2_b64 v78, v[20:21], v[22:23] offset1:67
	ds_write2_b64 v78, v[58:59], v[60:61] offset0:134 offset1:201
	s_waitcnt lgkmcnt(0)
	s_barrier
	ds_read2_b64 v[84:87], v79 offset1:1
	ds_read2_b64 v[88:91], v79 offset0:2 offset1:3
	s_waitcnt lgkmcnt(0)
	s_barrier
	flat_load_dwordx2 v[64:65], v[18:19]
	flat_load_dwordx2 v[62:63], v[16:17]
	v_lshl_add_u64 v[16:17], v[40:41], 0, s[28:29]
	flat_load_dwordx2 v[60:61], v[16:17]
	v_lshl_add_u64 v[16:17], v[40:41], 0, s[30:31]
	flat_load_dwordx2 v[58:59], v[16:17]
	ds_read_b64 v[66:67], v77
	ds_read_b128 v[16:19], v76 offset:256
	ds_read_b128 v[20:23], v76 offset:272
	v_pk_add_f32 v[24:25], v[24:25], v[26:27]
	s_waitcnt vmcnt(0) lgkmcnt(0)
	v_mul_f32_e32 v70, v67, v65
	v_mul_f32_e32 v71, v67, v64
	;; [unrolled: 1-line block ×8, first 2 shown]
	v_fma_f32 v70, v66, v64, -v70
	v_fma_f32 v72, v66, v62, -v72
	;; [unrolled: 1-line block ×4, first 2 shown]
	v_fmac_f32_e32 v71, v66, v65
	v_fmac_f32_e32 v73, v66, v63
	;; [unrolled: 1-line block ×4, first 2 shown]
	v_lshl_add_u64 v[66:67], v[40:41], 0, s[40:41]
	ds_write2_b64 v78, v[70:71], v[72:73] offset1:67
	ds_write2_b64 v78, v[92:93], v[94:95] offset0:134 offset1:201
	s_waitcnt lgkmcnt(0)
	s_barrier
	ds_read2_b64 v[92:95], v79 offset1:1
	ds_read2_b64 v[96:99], v79 offset0:2 offset1:3
	s_waitcnt lgkmcnt(0)
	s_barrier
	flat_load_dwordx2 v[72:73], v[68:69]
	flat_load_dwordx2 v[70:71], v[66:67]
	v_lshl_add_u64 v[66:67], v[40:41], 0, s[36:37]
	flat_load_dwordx2 v[68:69], v[66:67]
	v_lshl_add_u64 v[66:67], v[40:41], 0, s[38:39]
	flat_load_dwordx2 v[66:67], v[66:67]
	v_pk_add_f32 v[24:25], v[24:25], v[28:29]
	s_nop 0
	v_pk_add_f32 v[100:101], v[24:25], v[30:31]
	v_pk_add_f32 v[24:25], v[84:85], 0 op_sel_hi:[1,0]
	s_nop 0
	v_pk_add_f32 v[24:25], v[24:25], v[86:87]
	v_pk_add_f32 v[86:87], v[92:93], 0 op_sel_hi:[1,0]
	v_pk_add_f32 v[24:25], v[24:25], v[88:89]
	v_pk_add_f32 v[86:87], v[86:87], v[94:95]
	;; [unrolled: 1-line block ×3, first 2 shown]
	ds_read_b64 v[84:85], v77
	ds_read_b128 v[24:27], v76 offset:384
	ds_read_b128 v[28:31], v76 offset:400
	v_pk_add_f32 v[86:87], v[86:87], v[96:97]
	s_waitcnt vmcnt(0) lgkmcnt(0)
	v_mul_f32_e32 v83, v85, v73
	v_pk_add_f32 v[92:93], v[86:87], v[98:99]
	v_mul_f32_e32 v87, v85, v72
	v_mul_f32_e32 v88, v85, v71
	;; [unrolled: 1-line block ×7, first 2 shown]
	v_fma_f32 v86, v84, v72, -v83
	v_fma_f32 v88, v84, v70, -v88
	v_fmac_f32_e32 v87, v84, v73
	v_fmac_f32_e32 v89, v84, v71
	v_fma_f32 v90, v84, v68, -v90
	v_fmac_f32_e32 v91, v84, v69
	v_fma_f32 v94, v84, v66, -v94
	v_fmac_f32_e32 v95, v85, v66
	ds_write2_b64 v78, v[86:87], v[88:89] offset1:67
	ds_write2_b64 v78, v[90:91], v[94:95] offset0:134 offset1:201
	s_waitcnt lgkmcnt(0)
	s_barrier
	ds_read2_b64 v[84:87], v79 offset1:1
	ds_read2_b64 v[88:91], v79 offset0:2 offset1:3
	s_waitcnt lgkmcnt(0)
	s_barrier
	v_pk_add_f32 v[84:85], v[84:85], 0 op_sel_hi:[1,0]
	ds_write2_b64 v82, v[100:101], v[102:103] offset1:16
	v_pk_add_f32 v[84:85], v[84:85], v[86:87]
	s_nop 0
	v_pk_add_f32 v[84:85], v[84:85], v[88:89]
	s_nop 0
	v_pk_add_f32 v[84:85], v[84:85], v[90:91]
	ds_write2_b64 v82, v[92:93], v[84:85] offset0:32 offset1:48
	s_waitcnt lgkmcnt(0)
	s_barrier
	s_and_saveexec_b64 s[46:47], s[0:1]
	s_cbranch_execz .LBB187_91
; %bb.95:                               ;   in Loop: Header=BB187_92 Depth=1
	ds_read_b64 v[92:93], v80
	ds_read2_b64 v[84:87], v80 offset0:1 offset1:2
	ds_read2_b64 v[88:91], v80 offset0:3 offset1:4
	v_lshl_add_u64 v[96:97], v[34:35], 3, s[6:7]
	s_waitcnt lgkmcnt(1)
	v_add_f32_e32 v83, v84, v92
	v_add_f32_e32 v84, v85, v93
	;; [unrolled: 1-line block ×4, first 2 shown]
	ds_read2_b64 v[84:87], v80 offset0:5 offset1:6
	s_waitcnt lgkmcnt(1)
	v_add_f32_e32 v83, v83, v88
	v_add_f32_e32 v88, v92, v89
	v_add_f32_e32 v92, v83, v90
	v_add_f32_e32 v93, v88, v91
	ds_read2_b64 v[88:91], v80 offset0:7 offset1:8
	s_waitcnt lgkmcnt(1)
	v_pk_add_f32 v[84:85], v[92:93], v[84:85]
	ds_read2_b64 v[92:95], v80 offset0:9 offset1:10
	v_pk_add_f32 v[84:85], v[84:85], v[86:87]
	s_waitcnt lgkmcnt(1)
	v_pk_add_f32 v[84:85], v[84:85], v[88:89]
	s_nop 0
	v_pk_add_f32 v[88:89], v[84:85], v[90:91]
	ds_read2_b64 v[84:87], v80 offset0:11 offset1:12
	s_waitcnt lgkmcnt(1)
	v_pk_add_f32 v[92:93], v[88:89], v[92:93]
	ds_read2_b64 v[88:91], v80 offset0:13 offset1:14
	v_pk_add_f32 v[92:93], v[92:93], v[94:95]
	ds_read_b64 v[94:95], v81
	s_waitcnt lgkmcnt(2)
	v_pk_add_f32 v[84:85], v[92:93], v[84:85]
	s_nop 0
	v_pk_add_f32 v[84:85], v[84:85], v[86:87]
	s_waitcnt lgkmcnt(1)
	v_pk_add_f32 v[84:85], v[84:85], v[88:89]
	s_nop 0
	v_pk_add_f32 v[84:85], v[84:85], v[90:91]
	s_waitcnt lgkmcnt(0)
	v_pk_add_f32 v[84:85], v[84:85], v[94:95]
	global_store_dwordx2 v[96:97], v[84:85], off
	s_branch .LBB187_91
.LBB187_96:
	s_movk_i32 s0, 0x218
	v_mad_u32_u24 v0, v33, s0, v74
	s_nor_b64 s[0:1], s[4:5], vcc
	ds_write_b64 v0, v[36:37]
	s_waitcnt lgkmcnt(0)
	s_barrier
	s_and_saveexec_b64 s[2:3], s[0:1]
	s_cbranch_execz .LBB187_98
; %bb.97:
	ds_read2_b64 v[0:3], v74 offset1:67
	ds_read2_b64 v[4:7], v74 offset0:134 offset1:201
	v_ashrrev_i32_e32 v33, 31, v32
	v_lshl_add_u64 v[8:9], v[32:33], 3, s[6:7]
	s_waitcnt lgkmcnt(1)
	v_pk_add_f32 v[0:1], v[2:3], v[0:1]
	s_waitcnt lgkmcnt(0)
	v_pk_add_f32 v[0:1], v[4:5], v[0:1]
	s_nop 0
	v_pk_add_f32 v[0:1], v[0:1], v[6:7]
	global_store_dwordx2 v[8:9], v[0:1], off
.LBB187_98:
	s_endpgm
	.section	.rodata,"a",@progbits
	.p2align	6, 0x0
	.amdhsa_kernel _ZL26rocblas_hemvn_kernel_lowerILb0ELi64ELi4ELi33ELi32ELi16Ei19rocblas_complex_numIfEPKPKS1_PS1_EviT6_lT7_lT5_lS8_lS9_lS7_lT8_i
		.amdhsa_group_segment_fixed_size 9600
		.amdhsa_private_segment_fixed_size 0
		.amdhsa_kernarg_size 376
		.amdhsa_user_sgpr_count 2
		.amdhsa_user_sgpr_dispatch_ptr 0
		.amdhsa_user_sgpr_queue_ptr 0
		.amdhsa_user_sgpr_kernarg_segment_ptr 1
		.amdhsa_user_sgpr_dispatch_id 0
		.amdhsa_user_sgpr_kernarg_preload_length 0
		.amdhsa_user_sgpr_kernarg_preload_offset 0
		.amdhsa_user_sgpr_private_segment_size 0
		.amdhsa_uses_dynamic_stack 0
		.amdhsa_enable_private_segment 0
		.amdhsa_system_sgpr_workgroup_id_x 1
		.amdhsa_system_sgpr_workgroup_id_y 0
		.amdhsa_system_sgpr_workgroup_id_z 1
		.amdhsa_system_sgpr_workgroup_info 0
		.amdhsa_system_vgpr_workitem_id 1
		.amdhsa_next_free_vgpr 104
		.amdhsa_next_free_sgpr 48
		.amdhsa_accum_offset 104
		.amdhsa_reserve_vcc 1
		.amdhsa_float_round_mode_32 0
		.amdhsa_float_round_mode_16_64 0
		.amdhsa_float_denorm_mode_32 3
		.amdhsa_float_denorm_mode_16_64 3
		.amdhsa_dx10_clamp 1
		.amdhsa_ieee_mode 1
		.amdhsa_fp16_overflow 0
		.amdhsa_tg_split 0
		.amdhsa_exception_fp_ieee_invalid_op 0
		.amdhsa_exception_fp_denorm_src 0
		.amdhsa_exception_fp_ieee_div_zero 0
		.amdhsa_exception_fp_ieee_overflow 0
		.amdhsa_exception_fp_ieee_underflow 0
		.amdhsa_exception_fp_ieee_inexact 0
		.amdhsa_exception_int_div_zero 0
	.end_amdhsa_kernel
	.section	.text._ZL26rocblas_hemvn_kernel_lowerILb0ELi64ELi4ELi33ELi32ELi16Ei19rocblas_complex_numIfEPKPKS1_PS1_EviT6_lT7_lT5_lS8_lS9_lS7_lT8_i,"axG",@progbits,_ZL26rocblas_hemvn_kernel_lowerILb0ELi64ELi4ELi33ELi32ELi16Ei19rocblas_complex_numIfEPKPKS1_PS1_EviT6_lT7_lT5_lS8_lS9_lS7_lT8_i,comdat
.Lfunc_end187:
	.size	_ZL26rocblas_hemvn_kernel_lowerILb0ELi64ELi4ELi33ELi32ELi16Ei19rocblas_complex_numIfEPKPKS1_PS1_EviT6_lT7_lT5_lS8_lS9_lS7_lT8_i, .Lfunc_end187-_ZL26rocblas_hemvn_kernel_lowerILb0ELi64ELi4ELi33ELi32ELi16Ei19rocblas_complex_numIfEPKPKS1_PS1_EviT6_lT7_lT5_lS8_lS9_lS7_lT8_i
                                        ; -- End function
	.set _ZL26rocblas_hemvn_kernel_lowerILb0ELi64ELi4ELi33ELi32ELi16Ei19rocblas_complex_numIfEPKPKS1_PS1_EviT6_lT7_lT5_lS8_lS9_lS7_lT8_i.num_vgpr, 104
	.set _ZL26rocblas_hemvn_kernel_lowerILb0ELi64ELi4ELi33ELi32ELi16Ei19rocblas_complex_numIfEPKPKS1_PS1_EviT6_lT7_lT5_lS8_lS9_lS7_lT8_i.num_agpr, 0
	.set _ZL26rocblas_hemvn_kernel_lowerILb0ELi64ELi4ELi33ELi32ELi16Ei19rocblas_complex_numIfEPKPKS1_PS1_EviT6_lT7_lT5_lS8_lS9_lS7_lT8_i.numbered_sgpr, 48
	.set _ZL26rocblas_hemvn_kernel_lowerILb0ELi64ELi4ELi33ELi32ELi16Ei19rocblas_complex_numIfEPKPKS1_PS1_EviT6_lT7_lT5_lS8_lS9_lS7_lT8_i.num_named_barrier, 0
	.set _ZL26rocblas_hemvn_kernel_lowerILb0ELi64ELi4ELi33ELi32ELi16Ei19rocblas_complex_numIfEPKPKS1_PS1_EviT6_lT7_lT5_lS8_lS9_lS7_lT8_i.private_seg_size, 0
	.set _ZL26rocblas_hemvn_kernel_lowerILb0ELi64ELi4ELi33ELi32ELi16Ei19rocblas_complex_numIfEPKPKS1_PS1_EviT6_lT7_lT5_lS8_lS9_lS7_lT8_i.uses_vcc, 1
	.set _ZL26rocblas_hemvn_kernel_lowerILb0ELi64ELi4ELi33ELi32ELi16Ei19rocblas_complex_numIfEPKPKS1_PS1_EviT6_lT7_lT5_lS8_lS9_lS7_lT8_i.uses_flat_scratch, 0
	.set _ZL26rocblas_hemvn_kernel_lowerILb0ELi64ELi4ELi33ELi32ELi16Ei19rocblas_complex_numIfEPKPKS1_PS1_EviT6_lT7_lT5_lS8_lS9_lS7_lT8_i.has_dyn_sized_stack, 0
	.set _ZL26rocblas_hemvn_kernel_lowerILb0ELi64ELi4ELi33ELi32ELi16Ei19rocblas_complex_numIfEPKPKS1_PS1_EviT6_lT7_lT5_lS8_lS9_lS7_lT8_i.has_recursion, 0
	.set _ZL26rocblas_hemvn_kernel_lowerILb0ELi64ELi4ELi33ELi32ELi16Ei19rocblas_complex_numIfEPKPKS1_PS1_EviT6_lT7_lT5_lS8_lS9_lS7_lT8_i.has_indirect_call, 0
	.section	.AMDGPU.csdata,"",@progbits
; Kernel info:
; codeLenInByte = 7268
; TotalNumSgprs: 54
; NumVgprs: 104
; NumAgprs: 0
; TotalNumVgprs: 104
; ScratchSize: 0
; MemoryBound: 1
; FloatMode: 240
; IeeeMode: 1
; LDSByteSize: 9600 bytes/workgroup (compile time only)
; SGPRBlocks: 6
; VGPRBlocks: 12
; NumSGPRsForWavesPerEU: 54
; NumVGPRsForWavesPerEU: 104
; AccumOffset: 104
; Occupancy: 4
; WaveLimiterHint : 1
; COMPUTE_PGM_RSRC2:SCRATCH_EN: 0
; COMPUTE_PGM_RSRC2:USER_SGPR: 2
; COMPUTE_PGM_RSRC2:TRAP_HANDLER: 0
; COMPUTE_PGM_RSRC2:TGID_X_EN: 1
; COMPUTE_PGM_RSRC2:TGID_Y_EN: 0
; COMPUTE_PGM_RSRC2:TGID_Z_EN: 1
; COMPUTE_PGM_RSRC2:TIDIG_COMP_CNT: 1
; COMPUTE_PGM_RSRC3_GFX90A:ACCUM_OFFSET: 25
; COMPUTE_PGM_RSRC3_GFX90A:TG_SPLIT: 0
	.section	.text._ZL26rocblas_hemvn_kernel_upperILb0ELi64ELi4ELi33ELi32ELi16ElPK19rocblas_complex_numIdEPKS3_PS1_EviT6_lT7_lT5_lS8_lS9_lS7_lT8_i,"axG",@progbits,_ZL26rocblas_hemvn_kernel_upperILb0ELi64ELi4ELi33ELi32ELi16ElPK19rocblas_complex_numIdEPKS3_PS1_EviT6_lT7_lT5_lS8_lS9_lS7_lT8_i,comdat
	.globl	_ZL26rocblas_hemvn_kernel_upperILb0ELi64ELi4ELi33ELi32ELi16ElPK19rocblas_complex_numIdEPKS3_PS1_EviT6_lT7_lT5_lS8_lS9_lS7_lT8_i ; -- Begin function _ZL26rocblas_hemvn_kernel_upperILb0ELi64ELi4ELi33ELi32ELi16ElPK19rocblas_complex_numIdEPKS3_PS1_EviT6_lT7_lT5_lS8_lS9_lS7_lT8_i
	.p2align	8
	.type	_ZL26rocblas_hemvn_kernel_upperILb0ELi64ELi4ELi33ELi32ELi16ElPK19rocblas_complex_numIdEPKS3_PS1_EviT6_lT7_lT5_lS8_lS9_lS7_lT8_i,@function
_ZL26rocblas_hemvn_kernel_upperILb0ELi64ELi4ELi33ELi32ELi16ElPK19rocblas_complex_numIdEPKS3_PS1_EviT6_lT7_lT5_lS8_lS9_lS7_lT8_i: ; @_ZL26rocblas_hemvn_kernel_upperILb0ELi64ELi4ELi33ELi32ELi16ElPK19rocblas_complex_numIdEPKS3_PS1_EviT6_lT7_lT5_lS8_lS9_lS7_lT8_i
; %bb.0:
	s_load_dwordx2 s[4:5], s[0:1], 0x84
	s_add_u32 s12, s0, 0x78
	s_mov_b32 s26, s3
	s_addc_u32 s13, s1, 0
	s_waitcnt lgkmcnt(0)
	s_and_b32 s3, s5, 0xffff
	s_lshr_b32 s5, s4, 16
	s_and_b32 s4, s4, 0xffff
	s_mul_i32 s4, s5, s4
	s_mul_i32 s4, s4, s3
	s_cmpk_lg_i32 s4, 0x100
	s_cbranch_scc1 .LBB188_155
; %bb.1:
	s_load_dwordx8 s[4:11], s[0:1], 0x8
	s_mov_b32 s27, 0
	s_waitcnt lgkmcnt(0)
	s_mul_i32 s3, s7, s26
	s_mul_hi_u32 s7, s6, s26
	s_mul_i32 s6, s6, s26
	s_add_i32 s7, s7, s3
	s_lshl_b64 s[6:7], s[6:7], 4
	s_add_u32 s14, s4, s6
	s_addc_u32 s15, s5, s7
	s_load_dwordx4 s[16:19], s[14:15], 0x0
	s_load_dwordx2 s[28:29], s[0:1], 0x68
	s_load_dwordx4 s[4:7], s[0:1], 0x58
	s_waitcnt lgkmcnt(0)
	v_cmp_neq_f64_e64 s[14:15], s[16:17], 0
	v_cmp_neq_f64_e64 s[16:17], s[18:19], 0
	s_or_b64 s[16:17], s[14:15], s[16:17]
	s_mov_b64 s[14:15], -1
	s_and_b64 vcc, exec, s[16:17]
	s_cbranch_vccnz .LBB188_3
; %bb.2:
	s_mul_i32 s3, s7, s26
	s_mul_hi_u32 s7, s6, s26
	s_add_i32 s7, s7, s3
	s_mul_i32 s6, s6, s26
	s_lshl_b64 s[6:7], s[6:7], 4
	s_add_u32 s14, s4, s6
	s_addc_u32 s15, s5, s7
	s_load_dwordx4 s[4:7], s[14:15], 0x0
	s_mov_b64 s[14:15], 0
	s_waitcnt lgkmcnt(0)
	v_cmp_eq_f64_e64 s[4:5], s[4:5], 1.0
	v_cmp_eq_f64_e64 s[6:7], s[6:7], 0
	s_and_b64 s[4:5], s[4:5], s[6:7]
	s_andn2_b64 vcc, exec, s[4:5]
.LBB188_3:
	s_andn2_b64 vcc, exec, s[14:15]
	s_cbranch_vccnz .LBB188_155
; %bb.4:
	s_load_dword s3, s[12:13], 0x0
	s_load_dwordx4 s[4:7], s[0:1], 0x38
	s_load_dwordx2 s[16:17], s[0:1], 0x48
	s_lshl_b64 s[12:13], s[26:27], 3
	s_add_u32 s8, s8, s12
	s_addc_u32 s9, s9, s13
	s_waitcnt lgkmcnt(0)
	s_add_u32 s12, s4, s12
	s_addc_u32 s13, s5, s13
	s_load_dwordx2 s[14:15], s[12:13], 0x0
	s_load_dwordx2 s[22:23], s[0:1], 0x28
	s_load_dword s33, s[0:1], 0x0
	s_load_dwordx2 s[4:5], s[8:9], 0x0
	s_lshl_b64 s[0:1], s[6:7], 4
	s_waitcnt lgkmcnt(0)
	s_add_u32 s0, s14, s0
	s_addc_u32 s1, s15, s1
	s_ashr_i32 s34, s33, 31
	s_lshr_b32 s7, s34, 26
	v_and_b32_e32 v202, 0x3ff, v0
	s_lshl_b32 s24, s2, 6
	s_add_i32 s7, s33, s7
	s_andn2_b32 s7, s7, 63
	v_add_u32_e32 v164, s24, v202
	s_add_i32 s6, s3, -1
	s_sub_i32 s27, s33, s7
	v_ashrrev_i32_e32 v165, 31, v164
	v_bfe_u32 v203, v0, 10, 10
	s_cmp_eq_u32 s2, s6
	v_mul_lo_u32 v2, s16, v165
	v_mul_lo_u32 v3, s17, v164
	v_mad_u64_u32 v[0:1], s[6:7], s16, v164, 0
	v_add3_u32 v1, v1, v2, v3
	s_cselect_b32 s18, s27, 0
	v_lshl_add_u64 v[36:37], v[0:1], 4, s[0:1]
	v_cmp_eq_u32_e64 s[0:1], 0, v203
	s_and_saveexec_b64 s[6:7], s[0:1]
	s_cbranch_execz .LBB188_9
; %bb.5:
	s_cmp_lg_u32 s18, 0
	s_cselect_b64 s[8:9], -1, 0
	v_cmp_le_i32_e32 vcc, s18, v202
	v_mov_b32_e32 v0, 0x4700
	s_and_b64 s[8:9], s[8:9], vcc
	v_lshl_add_u32 v0, v202, 4, v0
	s_and_saveexec_b64 s[12:13], s[8:9]
	s_xor_b64 s[8:9], exec, s[12:13]
; %bb.6:
	v_mov_b32_e32 v2, 0
	v_mov_b32_e32 v3, v2
	;; [unrolled: 1-line block ×4, first 2 shown]
	ds_write_b128 v0, v[2:5]
                                        ; implicit-def: $vgpr0
; %bb.7:
	s_andn2_saveexec_b64 s[8:9], s[8:9]
	s_cbranch_execz .LBB188_9
; %bb.8:
	flat_load_dwordx4 v[2:5], v[36:37]
	s_waitcnt vmcnt(0) lgkmcnt(0)
	ds_write2_b64 v0, v[2:3], v[4:5] offset1:1
.LBB188_9:
	s_or_b64 exec, exec, s[6:7]
	s_lshl_b64 s[6:7], s[10:11], 4
	s_add_u32 s6, s4, s6
	s_addc_u32 s7, s5, s7
	s_ashr_i32 s25, s24, 31
	v_lshl_add_u32 v42, v203, 6, v202
	s_lshl_b64 s[4:5], s[24:25], 4
	v_and_b32_e32 v6, 31, v202
	v_lshrrev_b32_e32 v14, 5, v42
	s_add_u32 s4, s6, s4
	v_mov_b32_e32 v7, 0
	s_addc_u32 s5, s7, s5
	v_mad_u64_u32 v[38:39], s[6:7], s22, v14, v[6:7]
	v_mov_b32_e32 v0, v39
	v_mad_u64_u32 v[0:1], s[6:7], s23, v14, v[0:1]
	v_mov_b32_e32 v39, v0
	v_lshl_add_u64 v[0:1], v[38:39], 4, s[4:5]
	s_mul_hi_u32 s4, s22, s24
	s_mul_i32 s5, s22, s25
	s_add_i32 s4, s4, s5
	s_mul_i32 s5, s23, s24
	s_add_i32 s5, s4, s5
	s_cmp_eq_u32 s18, 0
	s_cselect_b64 s[20:21], -1, 0
	s_cmp_lg_u32 s18, 0
	s_mul_i32 s4, s22, s24
	s_cselect_b64 s[30:31], -1, 0
	v_lshl_add_u64 v[0:1], s[4:5], 4, v[0:1]
	s_and_b64 vcc, exec, s[30:31]
	v_cmp_gt_i32_e64 s[4:5], s18, v6
	v_lshlrev_b32_e32 v4, 4, v6
	v_lshlrev_b32_e32 v15, 4, v6
	s_cbranch_vccz .LBB188_27
; %bb.10:
	v_sub_co_u32_e32 v2, vcc, v0, v4
	s_ashr_i32 s19, s18, 31
	s_nop 0
	v_subbrev_co_u32_e32 v3, vcc, 0, v1, vcc
	v_lshl_add_u64 v[2:3], s[18:19], 4, v[2:3]
	v_lshl_add_u64 v[2:3], v[2:3], 0, -16
	s_movk_i32 s6, 0x210
	v_cndmask_b32_e64 v3, v3, v1, s[4:5]
	v_cndmask_b32_e64 v2, v2, v0, s[4:5]
	v_cmp_le_i32_e32 vcc, s18, v14
	v_mad_u32_u24 v7, v14, s6, v15
	s_and_saveexec_b64 s[6:7], vcc
	s_xor_b64 s[6:7], exec, s[6:7]
; %bb.11:
	v_mov_b32_e32 v8, 0
	v_mov_b32_e32 v9, v8
	;; [unrolled: 1-line block ×4, first 2 shown]
	ds_write_b128 v7, v[8:11]
                                        ; implicit-def: $vgpr7
; %bb.12:
	s_or_saveexec_b64 s[6:7], s[6:7]
	v_mul_u32_u24_e32 v5, 0x210, v14
	s_xor_b64 exec, exec, s[6:7]
	s_cbranch_execz .LBB188_14
; %bb.13:
	flat_load_dwordx4 v[8:11], v[2:3]
	s_waitcnt vmcnt(0) lgkmcnt(0)
	ds_write2_b64 v7, v[8:9], v[10:11] offset1:1
.LBB188_14:
	s_or_b64 exec, exec, s[6:7]
	v_add_u32_e32 v7, 8, v14
	v_cmp_le_i32_e32 vcc, s18, v7
	v_add_u32_e32 v7, v5, v15
	s_and_saveexec_b64 s[6:7], vcc
	s_xor_b64 s[6:7], exec, s[6:7]
; %bb.15:
	v_mov_b32_e32 v8, 0
	v_mov_b32_e32 v9, v8
	v_mov_b32_e32 v10, v8
	v_mov_b32_e32 v11, v8
	ds_write_b128 v7, v[8:11] offset:4224
; %bb.16:
	s_andn2_saveexec_b64 s[6:7], s[6:7]
	s_cbranch_execz .LBB188_18
; %bb.17:
	s_lshl_b64 s[8:9], s[22:23], 7
	v_lshl_add_u64 v[8:9], v[2:3], 0, s[8:9]
	flat_load_dwordx4 v[8:11], v[8:9]
	s_movk_i32 s8, 0x1080
	v_add3_u32 v12, v5, v15, s8
	s_waitcnt vmcnt(0) lgkmcnt(0)
	ds_write2_b64 v12, v[8:9], v[10:11] offset1:1
.LBB188_18:
	s_or_b64 exec, exec, s[6:7]
	v_add_u32_e32 v8, 16, v14
	v_cmp_le_i32_e32 vcc, s18, v8
	s_and_saveexec_b64 s[6:7], vcc
	s_xor_b64 s[6:7], exec, s[6:7]
; %bb.19:
	v_mov_b32_e32 v8, 0
	v_mov_b32_e32 v9, v8
	;; [unrolled: 1-line block ×4, first 2 shown]
	ds_write_b128 v7, v[8:11] offset:8448
; %bb.20:
	s_andn2_saveexec_b64 s[6:7], s[6:7]
	s_cbranch_execz .LBB188_22
; %bb.21:
	s_lshl_b64 s[8:9], s[22:23], 8
	v_lshl_add_u64 v[8:9], v[2:3], 0, s[8:9]
	flat_load_dwordx4 v[8:11], v[8:9]
	s_movk_i32 s8, 0x2100
	v_add3_u32 v12, v5, v15, s8
	s_waitcnt vmcnt(0) lgkmcnt(0)
	ds_write2_b64 v12, v[8:9], v[10:11] offset1:1
.LBB188_22:
	s_or_b64 exec, exec, s[6:7]
	v_add_u32_e32 v8, 24, v14
	v_cmp_le_i32_e32 vcc, s18, v8
	s_and_saveexec_b64 s[6:7], vcc
	s_xor_b64 s[6:7], exec, s[6:7]
; %bb.23:
	v_mov_b32_e32 v8, 0
	v_mov_b32_e32 v9, v8
	;; [unrolled: 1-line block ×4, first 2 shown]
	ds_write_b128 v7, v[8:11] offset:12672
                                        ; implicit-def: $vgpr5
; %bb.24:
	s_andn2_saveexec_b64 s[6:7], s[6:7]
	s_cbranch_execz .LBB188_26
; %bb.25:
	v_mov_b32_e32 v7, 0x180
	v_mad_u64_u32 v[8:9], s[8:9], s22, v7, v[2:3]
	s_mul_i32 s8, s23, 0x180
	s_nop 0
	v_add_u32_e32 v9, s8, v9
	flat_load_dwordx4 v[8:11], v[8:9]
	s_movk_i32 s8, 0x3180
	v_add3_u32 v5, v5, v15, s8
	s_waitcnt vmcnt(0) lgkmcnt(0)
	ds_write2_b64 v5, v[8:9], v[10:11] offset1:1
.LBB188_26:
	s_or_b64 exec, exec, s[6:7]
	v_mov_b32_e32 v5, 0
	v_lshl_add_u64 v[2:3], v[2:3], 0, v[4:5]
	s_lshl_b64 s[6:7], s[18:19], 4
	v_mov_b32_e32 v5, s7
	v_subrev_co_u32_e32 v2, vcc, s6, v2
	s_nop 1
	v_subb_co_u32_e32 v3, vcc, v3, v5, vcc
	v_lshl_add_u64 v[2:3], v[2:3], 0, 16
	v_cndmask_b32_e64 v9, v3, v1, s[4:5]
	v_cndmask_b32_e64 v8, v2, v0, s[4:5]
	s_branch .LBB188_29
.LBB188_27:
                                        ; implicit-def: $vgpr8_vgpr9
	s_cbranch_execz .LBB188_29
; %bb.28:
	flat_load_dwordx4 v[8:11], v[0:1]
	v_mul_u32_u24_e32 v2, 0x210, v14
	s_lshl_b64 s[4:5], s[22:23], 7
	v_lshl_add_u32 v5, v6, 4, v2
	v_lshl_add_u64 v[2:3], v[0:1], 0, s[4:5]
	v_add_u32_e32 v7, 0x1080, v5
	s_waitcnt vmcnt(0) lgkmcnt(0)
	ds_write2_b64 v5, v[8:9], v[10:11] offset1:1
	flat_load_dwordx4 v[8:11], v[2:3]
	v_lshl_add_u64 v[2:3], v[2:3], 0, s[4:5]
	s_waitcnt vmcnt(0) lgkmcnt(0)
	ds_write2_b64 v7, v[8:9], v[10:11] offset1:1
	flat_load_dwordx4 v[8:11], v[2:3]
	v_add_u32_e32 v7, 0x2100, v5
	v_lshl_add_u64 v[2:3], v[2:3], 0, s[4:5]
	s_waitcnt vmcnt(0) lgkmcnt(0)
	ds_write2_b64 v7, v[8:9], v[10:11] offset1:1
	flat_load_dwordx4 v[8:11], v[2:3]
	v_add_u32_e32 v2, 0x3180, v5
	s_waitcnt vmcnt(0) lgkmcnt(0)
	ds_write2_b64 v2, v[8:9], v[10:11] offset1:1
	v_mov_b64_e32 v[8:9], v[0:1]
.LBB188_29:
	v_lshlrev_b32_e32 v7, 2, v14
	v_lshl_or_b32 v0, v6, 9, v15
	v_cmp_gt_u32_e64 s[4:5], v7, v6
	v_lshl_add_u32 v1, v7, 4, v0
	s_waitcnt lgkmcnt(0)
	s_barrier
	s_and_saveexec_b64 s[6:7], s[4:5]
	s_cbranch_execz .LBB188_31
; %bb.30:
	s_movk_i32 s8, 0x840
	v_mad_u32_u24 v0, v14, s8, v15
	ds_read_b128 v[10:13], v0
	s_waitcnt lgkmcnt(0)
	ds_write_b128 v1, v[10:13]
.LBB188_31:
	s_or_b64 exec, exec, s[6:7]
	v_or_b32_e32 v0, 1, v7
	v_cmp_ge_u32_e64 s[6:7], v7, v6
	s_and_saveexec_b64 s[8:9], s[6:7]
	s_cbranch_execz .LBB188_33
; %bb.32:
	s_movk_i32 s10, 0x210
	v_mad_u32_u24 v2, v0, s10, v15
	ds_read_b128 v[10:13], v2
	s_waitcnt lgkmcnt(0)
	ds_write_b128 v1, v[10:13] offset:16
.LBB188_33:
	s_or_b64 exec, exec, s[8:9]
	v_or_b32_e32 v2, 2, v7
	v_cmp_gt_u32_e64 s[8:9], v2, v6
	s_and_saveexec_b64 s[10:11], s[8:9]
	s_cbranch_execz .LBB188_35
; %bb.34:
	s_movk_i32 s12, 0x210
	v_mad_u32_u24 v2, v2, s12, v15
	ds_read_b128 v[10:13], v2
	s_waitcnt lgkmcnt(0)
	ds_write_b128 v1, v[10:13] offset:32
.LBB188_35:
	s_or_b64 exec, exec, s[10:11]
	v_or_b32_e32 v3, 3, v7
	v_cmp_gt_u32_e64 s[10:11], v3, v6
	v_cmp_le_u32_e32 vcc, v3, v6
                                        ; implicit-def: $vgpr2
	s_and_saveexec_b64 s[12:13], vcc
	s_xor_b64 s[12:13], exec, s[12:13]
; %bb.36:
	v_mul_u32_u24_e32 v2, 0x210, v3
                                        ; implicit-def: $vgpr3
                                        ; implicit-def: $vgpr1
; %bb.37:
	s_andn2_saveexec_b64 s[12:13], s[12:13]
	s_cbranch_execz .LBB188_39
; %bb.38:
	s_movk_i32 s14, 0x210
	v_mad_u32_u24 v2, v3, s14, v15
	ds_read_b128 v[10:13], v2
	v_mul_u32_u24_e32 v2, 0x210, v3
	s_waitcnt lgkmcnt(0)
	ds_write_b128 v1, v[10:13] offset:48
.LBB188_39:
	s_or_b64 exec, exec, s[12:13]
	s_movk_i32 s12, 0x840
	v_lshlrev_b32_e32 v17, 4, v7
	s_movk_i32 s19, 0x210
	s_waitcnt lgkmcnt(0)
	s_barrier
	v_mad_u32_u24 v20, v14, s12, v15
	ds_read_b128 v[10:13], v17 offset:18176
	ds_read_b128 v[22:25], v17 offset:18192
	ds_read_b128 v[26:29], v20
	ds_read_b128 v[30:33], v17 offset:18208
	ds_read_b128 v[46:49], v17 offset:18224
	v_mad_u32_u24 v21, v0, s19, v15
	ds_read_b128 v[50:53], v21
	s_waitcnt lgkmcnt(3)
	v_mul_f64 v[0:1], v[12:13], v[28:29]
	v_fma_f64 v[18:19], v[10:11], v[26:27], -v[0:1]
	v_mul_f64 v[10:11], v[10:11], v[28:29]
	v_fmac_f64_e32 v[10:11], v[12:13], v[26:27]
	v_add_f64 v[26:27], v[10:11], 0
	s_waitcnt lgkmcnt(0)
	v_mul_f64 v[10:11], v[24:25], v[52:53]
	v_fma_f64 v[28:29], v[22:23], v[50:51], -v[10:11]
	v_mul_f64 v[22:23], v[22:23], v[52:53]
	v_fmac_f64_e32 v[22:23], v[24:25], v[50:51]
	ds_read_b128 v[10:13], v21 offset:528
	v_add_u32_e32 v45, v15, v2
	v_add_f64 v[26:27], v[26:27], v[22:23]
	ds_read_b128 v[22:25], v45
	v_add_f64 v[18:19], v[18:19], 0
	s_waitcnt lgkmcnt(1)
	v_mul_f64 v[2:3], v[32:33], v[12:13]
	v_mul_f64 v[12:13], v[30:31], v[12:13]
	v_add_f64 v[18:19], v[18:19], v[28:29]
	v_fma_f64 v[2:3], v[30:31], v[10:11], -v[2:3]
	v_fmac_f64_e32 v[12:13], v[32:33], v[10:11]
	s_waitcnt lgkmcnt(0)
	v_mul_f64 v[10:11], v[48:49], v[24:25]
	v_add_f64 v[2:3], v[18:19], v[2:3]
	v_fma_f64 v[10:11], v[46:47], v[22:23], -v[10:11]
	v_mul_f64 v[18:19], v[46:47], v[24:25]
	v_add_f64 v[10:11], v[2:3], v[10:11]
	v_mul_u32_u24_e32 v2, 33, v6
	v_add_f64 v[12:13], v[26:27], v[12:13]
	v_fmac_f64_e32 v[18:19], v[48:49], v[22:23]
	v_lshlrev_b32_e32 v43, 4, v2
	v_mov_b64_e32 v[0:1], 0
	v_add_f64 v[12:13], v[12:13], v[18:19]
	v_lshl_add_u32 v44, v14, 4, v43
	v_cmp_gt_u32_e64 s[12:13], 32, v42
	v_mov_b64_e32 v[2:3], 0
	s_barrier
	ds_write_b128 v44, v[10:13]
	s_waitcnt lgkmcnt(0)
	s_barrier
	s_and_saveexec_b64 s[14:15], s[12:13]
	s_cbranch_execz .LBB188_41
; %bb.40:
	ds_read_b128 v[0:3], v43
	ds_read_b128 v[10:13], v43 offset:16
	ds_read_b128 v[22:25], v43 offset:32
	ds_read_b128 v[26:29], v43 offset:48
	s_waitcnt lgkmcnt(2)
	v_add_f64 v[0:1], v[10:11], v[0:1]
	v_add_f64 v[10:11], v[12:13], v[2:3]
	s_waitcnt lgkmcnt(1)
	v_add_f64 v[12:13], v[0:1], v[22:23]
	ds_read_b128 v[0:3], v43 offset:64
	v_add_f64 v[10:11], v[10:11], v[24:25]
	s_waitcnt lgkmcnt(1)
	v_add_f64 v[18:19], v[12:13], v[26:27]
	v_add_f64 v[26:27], v[10:11], v[28:29]
	ds_read_b128 v[10:13], v43 offset:80
	ds_read_b128 v[22:25], v43 offset:96
	s_waitcnt lgkmcnt(2)
	v_add_f64 v[18:19], v[18:19], v[0:1]
	v_add_f64 v[26:27], v[26:27], v[2:3]
	ds_read_b128 v[0:3], v43 offset:112
	s_waitcnt lgkmcnt(2)
	v_add_f64 v[10:11], v[18:19], v[10:11]
	v_add_f64 v[12:13], v[26:27], v[12:13]
	s_waitcnt lgkmcnt(1)
	v_add_f64 v[10:11], v[10:11], v[22:23]
	v_add_f64 v[12:13], v[12:13], v[24:25]
	;; [unrolled: 3-line block ×3, first 2 shown]
.LBB188_41:
	s_or_b64 exec, exec, s[14:15]
	s_lshl_b64 s[14:15], s[22:23], 9
	v_lshl_add_u64 v[12:13], v[8:9], 0, s[14:15]
	s_mov_b64 s[14:15], 0x200
	v_lshl_add_u64 v[10:11], v[12:13], 0, s[14:15]
	v_mad_u32_u24 v16, v14, s19, v15
	s_and_b64 vcc, exec, s[30:31]
	s_barrier
	s_cbranch_vccz .LBB188_59
; %bb.42:
	v_sub_co_u32_e32 v8, vcc, v12, v4
	s_ashr_i32 s19, s18, 31
	s_nop 0
	v_subbrev_co_u32_e32 v9, vcc, 0, v13, vcc
	v_or_b32_e32 v5, 32, v6
	v_lshl_add_u64 v[8:9], s[18:19], 4, v[8:9]
	v_lshl_add_u64 v[8:9], v[8:9], 0, -16
	v_cmp_gt_i32_e32 vcc, s18, v5
	s_sub_i32 s35, s18, 32
	v_cmp_le_i32_e64 s[14:15], s35, v14
	v_cndmask_b32_e32 v9, v9, v11, vcc
	v_cndmask_b32_e32 v8, v8, v10, vcc
	s_and_saveexec_b64 s[36:37], s[14:15]
	s_xor_b64 s[14:15], exec, s[36:37]
; %bb.43:
	v_mov_b32_e32 v22, 0
	v_mov_b32_e32 v23, v22
	v_mov_b32_e32 v24, v22
	v_mov_b32_e32 v25, v22
	ds_write_b128 v16, v[22:25]
; %bb.44:
	s_andn2_saveexec_b64 s[14:15], s[14:15]
	s_cbranch_execz .LBB188_46
; %bb.45:
	flat_load_dwordx4 v[22:25], v[8:9]
	s_waitcnt vmcnt(0) lgkmcnt(0)
	ds_write2_b64 v16, v[22:23], v[24:25] offset1:1
.LBB188_46:
	s_or_b64 exec, exec, s[14:15]
	v_add_u32_e32 v5, 8, v14
	v_cmp_le_i32_e64 s[14:15], s35, v5
	s_and_saveexec_b64 s[36:37], s[14:15]
	s_xor_b64 s[14:15], exec, s[36:37]
	s_cbranch_execz .LBB188_48
; %bb.47:
	s_movk_i32 s36, 0x210
	v_mov_b32_e32 v22, 0
	v_mad_u32_u24 v5, v5, s36, v15
	v_mov_b32_e32 v23, v22
	v_mov_b32_e32 v24, v22
	v_mov_b32_e32 v25, v22
	ds_write_b128 v5, v[22:25]
                                        ; implicit-def: $vgpr5
.LBB188_48:
	s_andn2_saveexec_b64 s[14:15], s[14:15]
	s_cbranch_execz .LBB188_50
; %bb.49:
	s_lshl_b64 s[36:37], s[22:23], 7
	v_lshl_add_u64 v[18:19], v[8:9], 0, s[36:37]
	flat_load_dwordx4 v[22:25], v[18:19]
	s_movk_i32 s36, 0x210
	v_mad_u32_u24 v5, v5, s36, v15
	s_waitcnt vmcnt(0) lgkmcnt(0)
	ds_write2_b64 v5, v[22:23], v[24:25] offset1:1
.LBB188_50:
	s_or_b64 exec, exec, s[14:15]
	v_add_u32_e32 v5, 16, v14
	v_cmp_le_i32_e64 s[14:15], s35, v5
	s_and_saveexec_b64 s[36:37], s[14:15]
	s_xor_b64 s[14:15], exec, s[36:37]
	s_cbranch_execz .LBB188_52
; %bb.51:
	s_movk_i32 s36, 0x210
	v_mov_b32_e32 v22, 0
	v_mad_u32_u24 v5, v5, s36, v15
	v_mov_b32_e32 v23, v22
	v_mov_b32_e32 v24, v22
	;; [unrolled: 1-line block ×3, first 2 shown]
	ds_write_b128 v5, v[22:25]
                                        ; implicit-def: $vgpr5
.LBB188_52:
	s_andn2_saveexec_b64 s[14:15], s[14:15]
	s_cbranch_execz .LBB188_54
; %bb.53:
	s_lshl_b64 s[36:37], s[22:23], 8
	v_lshl_add_u64 v[18:19], v[8:9], 0, s[36:37]
	flat_load_dwordx4 v[22:25], v[18:19]
	s_movk_i32 s36, 0x210
	v_mad_u32_u24 v5, v5, s36, v15
	s_waitcnt vmcnt(0) lgkmcnt(0)
	ds_write2_b64 v5, v[22:23], v[24:25] offset1:1
.LBB188_54:
	s_or_b64 exec, exec, s[14:15]
	v_add_u32_e32 v5, 24, v14
	v_cmp_le_i32_e64 s[14:15], s35, v5
	s_and_saveexec_b64 s[36:37], s[14:15]
	s_xor_b64 s[14:15], exec, s[36:37]
	s_cbranch_execz .LBB188_56
; %bb.55:
	s_movk_i32 s35, 0x210
	v_mov_b32_e32 v22, 0
	v_mad_u32_u24 v5, v5, s35, v15
	v_mov_b32_e32 v23, v22
	v_mov_b32_e32 v24, v22
	;; [unrolled: 1-line block ×3, first 2 shown]
	ds_write_b128 v5, v[22:25]
                                        ; implicit-def: $vgpr5
.LBB188_56:
	s_andn2_saveexec_b64 s[14:15], s[14:15]
	s_cbranch_execz .LBB188_58
; %bb.57:
	v_mov_b32_e32 v18, 0x180
	v_mad_u64_u32 v[18:19], s[36:37], s22, v18, v[8:9]
	s_mul_i32 s35, s23, 0x180
	v_add_u32_e32 v19, s35, v19
	flat_load_dwordx4 v[22:25], v[18:19]
	s_movk_i32 s35, 0x210
	v_mad_u32_u24 v5, v5, s35, v15
	s_waitcnt vmcnt(0) lgkmcnt(0)
	ds_write2_b64 v5, v[22:23], v[24:25] offset1:1
.LBB188_58:
	s_or_b64 exec, exec, s[14:15]
	v_mov_b32_e32 v5, 0
	v_lshl_add_u64 v[8:9], v[8:9], 0, v[4:5]
	s_lshl_b64 s[14:15], s[18:19], 4
	v_mov_b32_e32 v5, s15
	v_subrev_co_u32_e64 v8, s[14:15], s14, v8
	s_nop 1
	v_subb_co_u32_e64 v9, s[14:15], v9, v5, s[14:15]
	s_mov_b64 s[14:15], 0x210
	s_nop 0
	v_lshl_add_u64 v[8:9], v[8:9], 0, s[14:15]
	v_cndmask_b32_e32 v9, v9, v11, vcc
	v_cndmask_b32_e32 v8, v8, v10, vcc
	s_branch .LBB188_61
.LBB188_59:
                                        ; implicit-def: $vgpr8_vgpr9
	s_cbranch_execz .LBB188_61
; %bb.60:
	flat_load_dwordx4 v[22:25], v[10:11]
	s_lshl_b64 s[14:15], s[22:23], 7
	v_lshl_add_u64 v[8:9], v[12:13], 0, s[14:15]
	v_add_u32_e32 v5, 0x1080, v16
	s_waitcnt vmcnt(0) lgkmcnt(0)
	ds_write2_b64 v16, v[22:23], v[24:25] offset1:1
	flat_load_dwordx4 v[22:25], v[8:9] offset:512
	v_lshl_add_u64 v[8:9], v[8:9], 0, s[14:15]
	s_waitcnt vmcnt(0) lgkmcnt(0)
	ds_write2_b64 v5, v[22:23], v[24:25] offset1:1
	flat_load_dwordx4 v[22:25], v[8:9] offset:512
	v_add_u32_e32 v5, 0x2100, v16
	v_lshl_add_u64 v[8:9], v[8:9], 0, s[14:15]
	s_waitcnt vmcnt(0) lgkmcnt(0)
	ds_write2_b64 v5, v[22:23], v[24:25] offset1:1
	flat_load_dwordx4 v[22:25], v[8:9] offset:512
	v_add_u32_e32 v5, 0x3180, v16
	v_mov_b64_e32 v[8:9], v[10:11]
	s_waitcnt vmcnt(0) lgkmcnt(0)
	ds_write2_b64 v5, v[22:23], v[24:25] offset1:1
.LBB188_61:
	v_lshl_add_u32 v5, v7, 4, v43
	s_waitcnt lgkmcnt(0)
	s_barrier
	s_and_saveexec_b64 s[14:15], s[4:5]
	s_cbranch_execz .LBB188_65
; %bb.62:
	ds_read_b128 v[10:13], v20
	s_waitcnt lgkmcnt(0)
	ds_write_b128 v5, v[10:13]
	s_or_b64 exec, exec, s[14:15]
	s_and_saveexec_b64 s[4:5], s[6:7]
	s_cbranch_execnz .LBB188_66
.LBB188_63:
	s_or_b64 exec, exec, s[4:5]
	v_add_u32_e32 v12, 0x210, v21
	s_and_saveexec_b64 s[4:5], s[8:9]
	s_cbranch_execz .LBB188_67
.LBB188_64:
	ds_read_b128 v[22:25], v12
	s_waitcnt lgkmcnt(0)
	ds_write_b128 v5, v[22:25] offset:32
	s_or_b64 exec, exec, s[4:5]
	v_add_u32_e32 v13, 0x4700, v17
	s_and_saveexec_b64 s[4:5], s[10:11]
	s_cbranch_execnz .LBB188_68
	s_branch .LBB188_69
.LBB188_65:
	s_or_b64 exec, exec, s[14:15]
	s_and_saveexec_b64 s[4:5], s[6:7]
	s_cbranch_execz .LBB188_63
.LBB188_66:
	ds_read_b128 v[10:13], v21
	s_waitcnt lgkmcnt(0)
	ds_write_b128 v5, v[10:13] offset:16
	s_or_b64 exec, exec, s[4:5]
	v_add_u32_e32 v12, 0x210, v21
	s_and_saveexec_b64 s[4:5], s[8:9]
	s_cbranch_execnz .LBB188_64
.LBB188_67:
	s_or_b64 exec, exec, s[4:5]
	v_add_u32_e32 v13, 0x4700, v17
	s_and_saveexec_b64 s[4:5], s[10:11]
	s_cbranch_execz .LBB188_69
.LBB188_68:
	ds_read_b128 v[22:25], v45
	s_waitcnt lgkmcnt(0)
	ds_write_b128 v5, v[22:25] offset:48
.LBB188_69:
	s_or_b64 exec, exec, s[4:5]
	s_waitcnt lgkmcnt(0)
	s_barrier
	ds_read_b128 v[22:25], v13 offset:512
	ds_read_b128 v[26:29], v20
	ds_read_b128 v[30:33], v13 offset:528
	ds_read_b128 v[46:49], v13 offset:544
	ds_read_b128 v[50:53], v13 offset:560
	ds_read_b128 v[54:57], v21
	v_cmp_eq_u32_e64 s[4:5], 1, v14
	s_waitcnt lgkmcnt(4)
	v_mul_f64 v[10:11], v[24:25], v[28:29]
	v_fma_f64 v[10:11], v[22:23], v[26:27], -v[10:11]
	v_mul_f64 v[18:19], v[22:23], v[28:29]
	s_waitcnt lgkmcnt(0)
	v_mul_f64 v[22:23], v[32:33], v[56:57]
	v_fmac_f64_e32 v[18:19], v[24:25], v[26:27]
	v_fma_f64 v[26:27], v[30:31], v[54:55], -v[22:23]
	v_mul_f64 v[28:29], v[30:31], v[56:57]
	ds_read_b128 v[22:25], v12
	v_add_f64 v[10:11], v[10:11], 0
	v_add_f64 v[18:19], v[18:19], 0
	v_fmac_f64_e32 v[28:29], v[32:33], v[54:55]
	v_add_f64 v[10:11], v[10:11], v[26:27]
	v_add_f64 v[18:19], v[18:19], v[28:29]
	ds_read_b128 v[26:29], v45
	s_waitcnt lgkmcnt(1)
	v_mul_f64 v[30:31], v[48:49], v[24:25]
	v_mul_f64 v[24:25], v[46:47], v[24:25]
	v_fmac_f64_e32 v[24:25], v[48:49], v[22:23]
	v_fma_f64 v[30:31], v[46:47], v[22:23], -v[30:31]
	v_add_f64 v[18:19], v[18:19], v[24:25]
	s_waitcnt lgkmcnt(0)
	v_mul_f64 v[22:23], v[52:53], v[28:29]
	v_mul_f64 v[24:25], v[50:51], v[28:29]
	v_add_f64 v[10:11], v[10:11], v[30:31]
	v_fma_f64 v[22:23], v[50:51], v[26:27], -v[22:23]
	v_fmac_f64_e32 v[24:25], v[52:53], v[26:27]
	v_add_f64 v[22:23], v[10:11], v[22:23]
	v_add_f64 v[24:25], v[18:19], v[24:25]
	s_barrier
	ds_write_b128 v44, v[22:25]
	s_waitcnt lgkmcnt(0)
	s_barrier
	s_and_saveexec_b64 s[6:7], s[4:5]
	s_cbranch_execz .LBB188_71
; %bb.70:
	ds_read_b128 v[0:3], v43
	ds_read_b128 v[22:25], v43 offset:16
	ds_read_b128 v[26:29], v43 offset:32
	;; [unrolled: 1-line block ×3, first 2 shown]
	s_waitcnt lgkmcnt(2)
	v_add_f64 v[0:1], v[22:23], v[0:1]
	v_add_f64 v[10:11], v[24:25], v[2:3]
	s_waitcnt lgkmcnt(1)
	v_add_f64 v[18:19], v[0:1], v[26:27]
	ds_read_b128 v[0:3], v43 offset:64
	ds_read_b128 v[22:25], v43 offset:80
	v_add_f64 v[10:11], v[10:11], v[28:29]
	s_waitcnt lgkmcnt(2)
	v_add_f64 v[18:19], v[18:19], v[30:31]
	v_add_f64 v[10:11], v[10:11], v[32:33]
	ds_read_b128 v[26:29], v43 offset:96
	s_waitcnt lgkmcnt(2)
	v_add_f64 v[18:19], v[18:19], v[0:1]
	v_add_f64 v[10:11], v[10:11], v[2:3]
	ds_read_b128 v[0:3], v43 offset:112
	s_waitcnt lgkmcnt(2)
	v_add_f64 v[18:19], v[18:19], v[22:23]
	v_add_f64 v[10:11], v[10:11], v[24:25]
	s_waitcnt lgkmcnt(1)
	v_add_f64 v[18:19], v[18:19], v[26:27]
	v_add_f64 v[10:11], v[10:11], v[28:29]
	;; [unrolled: 3-line block ×3, first 2 shown]
.LBB188_71:
	s_or_b64 exec, exec, s[6:7]
	s_movk_i32 s6, 0xfe00
	s_mov_b32 s7, -1
	v_lshl_add_u64 v[8:9], v[8:9], 0, s[6:7]
	s_and_b64 vcc, exec, s[30:31]
	s_barrier
	s_cbranch_vccz .LBB188_89
; %bb.72:
	v_sub_co_u32_e32 v10, vcc, v8, v4
	s_ashr_i32 s19, s18, 31
	s_nop 0
	v_subbrev_co_u32_e32 v11, vcc, 0, v9, vcc
	v_lshl_add_u64 v[10:11], s[18:19], 4, v[10:11]
	v_lshl_add_u64 v[10:11], v[10:11], 0, -16
	v_cmp_gt_i32_e32 vcc, s18, v6
	s_sub_i32 s8, s18, 32
	v_cmp_le_i32_e64 s[6:7], s8, v14
	v_cndmask_b32_e32 v7, v11, v9, vcc
	v_cndmask_b32_e32 v6, v10, v8, vcc
	s_and_saveexec_b64 s[10:11], s[6:7]
	s_xor_b64 s[6:7], exec, s[10:11]
; %bb.73:
	v_mov_b32_e32 v22, 0
	v_mov_b32_e32 v23, v22
	v_mov_b32_e32 v24, v22
	v_mov_b32_e32 v25, v22
	ds_write_b128 v16, v[22:25]
; %bb.74:
	s_andn2_saveexec_b64 s[6:7], s[6:7]
	s_cbranch_execz .LBB188_76
; %bb.75:
	flat_load_dwordx4 v[22:25], v[6:7]
	s_waitcnt vmcnt(0) lgkmcnt(0)
	ds_write2_b64 v16, v[22:23], v[24:25] offset1:1
.LBB188_76:
	s_or_b64 exec, exec, s[6:7]
	v_add_u32_e32 v10, 8, v14
	v_cmp_le_i32_e64 s[6:7], s8, v10
	s_and_saveexec_b64 s[10:11], s[6:7]
	s_xor_b64 s[6:7], exec, s[10:11]
	s_cbranch_execz .LBB188_78
; %bb.77:
	s_movk_i32 s9, 0x210
	v_mov_b32_e32 v22, 0
	v_mad_u32_u24 v5, v10, s9, v15
	v_mov_b32_e32 v23, v22
	v_mov_b32_e32 v24, v22
	;; [unrolled: 1-line block ×3, first 2 shown]
	ds_write_b128 v5, v[22:25]
.LBB188_78:
	s_andn2_saveexec_b64 s[6:7], s[6:7]
	s_cbranch_execz .LBB188_80
; %bb.79:
	s_lshl_b64 s[10:11], s[22:23], 7
	v_lshl_add_u64 v[18:19], v[6:7], 0, s[10:11]
	flat_load_dwordx4 v[22:25], v[18:19]
	s_movk_i32 s9, 0x210
	v_mad_u32_u24 v5, v10, s9, v15
	s_waitcnt vmcnt(0) lgkmcnt(0)
	ds_write2_b64 v5, v[22:23], v[24:25] offset1:1
.LBB188_80:
	s_or_b64 exec, exec, s[6:7]
	v_add_u32_e32 v11, 16, v14
	v_cmp_le_i32_e64 s[6:7], s8, v11
	s_and_saveexec_b64 s[10:11], s[6:7]
	s_xor_b64 s[6:7], exec, s[10:11]
	s_cbranch_execz .LBB188_82
; %bb.81:
	s_movk_i32 s9, 0x210
	v_mov_b32_e32 v22, 0
	v_mad_u32_u24 v5, v11, s9, v15
	v_mov_b32_e32 v23, v22
	v_mov_b32_e32 v24, v22
	;; [unrolled: 1-line block ×3, first 2 shown]
	ds_write_b128 v5, v[22:25]
.LBB188_82:
	s_andn2_saveexec_b64 s[6:7], s[6:7]
	s_cbranch_execz .LBB188_84
; %bb.83:
	s_lshl_b64 s[10:11], s[22:23], 8
	v_lshl_add_u64 v[18:19], v[6:7], 0, s[10:11]
	flat_load_dwordx4 v[22:25], v[18:19]
	s_movk_i32 s9, 0x210
	v_mad_u32_u24 v5, v11, s9, v15
	s_waitcnt vmcnt(0) lgkmcnt(0)
	ds_write2_b64 v5, v[22:23], v[24:25] offset1:1
.LBB188_84:
	s_or_b64 exec, exec, s[6:7]
	v_add_u32_e32 v17, 24, v14
	v_cmp_le_i32_e64 s[6:7], s8, v17
	s_and_saveexec_b64 s[8:9], s[6:7]
	s_xor_b64 s[6:7], exec, s[8:9]
	s_cbranch_execz .LBB188_86
; %bb.85:
	s_movk_i32 s8, 0x210
	v_mov_b32_e32 v22, 0
	v_mad_u32_u24 v5, v17, s8, v15
	v_mov_b32_e32 v23, v22
	v_mov_b32_e32 v24, v22
	;; [unrolled: 1-line block ×3, first 2 shown]
	ds_write_b128 v5, v[22:25]
.LBB188_86:
	s_andn2_saveexec_b64 s[6:7], s[6:7]
	s_cbranch_execz .LBB188_88
; %bb.87:
	v_mov_b32_e32 v5, 0x180
	v_mad_u64_u32 v[18:19], s[8:9], s22, v5, v[6:7]
	s_mul_i32 s8, s23, 0x180
	s_nop 0
	v_add_u32_e32 v19, s8, v19
	flat_load_dwordx4 v[22:25], v[18:19]
	s_movk_i32 s8, 0x210
	v_mad_u32_u24 v5, v17, s8, v15
	s_waitcnt vmcnt(0) lgkmcnt(0)
	ds_write2_b64 v5, v[22:23], v[24:25] offset1:1
.LBB188_88:
	s_or_b64 exec, exec, s[6:7]
	v_mov_b32_e32 v5, 0
	v_lshl_add_u64 v[4:5], v[6:7], 0, v[4:5]
	s_lshl_b64 s[6:7], s[18:19], 4
	v_mov_b32_e32 v6, s7
	v_subrev_co_u32_e64 v4, s[6:7], s6, v4
	s_nop 1
	v_subb_co_u32_e64 v5, s[6:7], v5, v6, s[6:7]
	v_lshl_add_u64 v[4:5], v[4:5], 0, 16
	v_cndmask_b32_e32 v41, v5, v9, vcc
	v_cndmask_b32_e32 v40, v4, v8, vcc
	s_branch .LBB188_91
.LBB188_89:
                                        ; implicit-def: $vgpr40_vgpr41
                                        ; implicit-def: $vgpr10
                                        ; implicit-def: $vgpr11
                                        ; implicit-def: $vgpr17
	s_cbranch_execz .LBB188_91
; %bb.90:
	flat_load_dwordx4 v[4:7], v[8:9]
	s_lshl_b64 s[6:7], s[22:23], 7
	v_lshl_add_u64 v[18:19], v[8:9], 0, s[6:7]
	v_add_u32_e32 v10, 8, v14
	s_movk_i32 s8, 0x210
	v_mad_u32_u24 v15, v10, s8, v15
	v_add_u32_e32 v11, 0x1080, v15
	v_mov_b64_e32 v[40:41], v[8:9]
	s_waitcnt vmcnt(0) lgkmcnt(0)
	ds_write2_b64 v16, v[4:5], v[6:7] offset1:1
	flat_load_dwordx4 v[4:7], v[18:19]
	v_lshl_add_u64 v[16:17], v[18:19], 0, s[6:7]
	s_waitcnt vmcnt(0) lgkmcnt(0)
	ds_write2_b64 v15, v[4:5], v[6:7] offset1:1
	flat_load_dwordx4 v[4:7], v[16:17]
	v_lshl_add_u64 v[16:17], v[16:17], 0, s[6:7]
	v_add_u32_e32 v15, 0x2100, v15
	s_waitcnt vmcnt(0) lgkmcnt(0)
	ds_write2_b64 v11, v[4:5], v[6:7] offset1:1
	flat_load_dwordx4 v[4:7], v[16:17]
	v_add_u32_e32 v11, 16, v14
	v_add_u32_e32 v17, 24, v14
	s_waitcnt vmcnt(0) lgkmcnt(0)
	ds_write2_b64 v15, v[4:5], v[6:7] offset1:1
.LBB188_91:
	v_lshlrev_b32_e32 v8, 4, v14
	v_add_u32_e32 v4, v43, v8
	s_waitcnt lgkmcnt(0)
	s_barrier
	ds_read_b128 v[4:7], v4
	ds_read_b128 v[22:25], v8 offset:18176
	v_lshlrev_b32_e32 v8, 4, v10
	v_add_u32_e32 v9, v43, v8
	ds_read_b128 v[46:49], v9
	ds_read_b128 v[26:29], v8 offset:18176
	s_waitcnt lgkmcnt(2)
	v_mul_f64 v[8:9], v[6:7], v[24:25]
	v_fma_f64 v[8:9], v[4:5], v[22:23], -v[8:9]
	v_mul_f64 v[14:15], v[4:5], v[24:25]
	v_add_f64 v[4:5], v[8:9], 0
	s_waitcnt lgkmcnt(0)
	v_mul_f64 v[8:9], v[48:49], v[28:29]
	v_fma_f64 v[8:9], v[46:47], v[26:27], -v[8:9]
	v_add_f64 v[4:5], v[4:5], v[8:9]
	v_lshlrev_b32_e32 v8, 4, v11
	v_add_u32_e32 v9, v43, v8
	ds_read_b128 v[50:53], v9
	ds_read_b128 v[54:57], v8 offset:18176
	v_lshlrev_b32_e32 v8, 4, v17
	v_add_u32_e32 v9, v43, v8
	ds_read_b128 v[58:61], v9
	ds_read_b128 v[62:65], v8 offset:18176
	v_mul_f64 v[66:67], v[46:47], v[28:29]
	s_waitcnt lgkmcnt(2)
	v_mul_f64 v[8:9], v[52:53], v[56:57]
	v_fma_f64 v[8:9], v[50:51], v[54:55], -v[8:9]
	v_add_f64 v[4:5], v[4:5], v[8:9]
	s_waitcnt lgkmcnt(0)
	v_mul_f64 v[8:9], v[60:61], v[64:65]
	v_fmac_f64_e32 v[14:15], v[6:7], v[22:23]
	v_fma_f64 v[8:9], v[58:59], v[62:63], -v[8:9]
	v_fmac_f64_e32 v[66:67], v[48:49], v[26:27]
	v_add_f64 v[14:15], v[14:15], 0
	v_add_f64 v[46:47], v[4:5], v[8:9]
	ds_read_b128 v[16:19], v13 offset:528
	ds_read_b128 v[8:11], v13 offset:544
	;; [unrolled: 1-line block ×3, first 2 shown]
	ds_read_b128 v[32:35], v20
	ds_read_b128 v[4:7], v13 offset:560
	ds_read_b128 v[24:27], v21
	v_add_f64 v[48:49], v[14:15], v[66:67]
	ds_read_b128 v[20:23], v12
	ds_read_b128 v[12:15], v45
	v_mul_f64 v[50:51], v[50:51], v[56:57]
	v_mul_f64 v[56:57], v[58:59], v[64:65]
	v_fmac_f64_e32 v[50:51], v[52:53], v[54:55]
	v_add_f64 v[48:49], v[48:49], v[50:51]
	v_fmac_f64_e32 v[56:57], v[60:61], v[62:63]
	v_add_f64 v[48:49], v[48:49], v[56:57]
	s_waitcnt lgkmcnt(0)
	s_barrier
	ds_write_b128 v44, v[46:49]
	s_waitcnt lgkmcnt(0)
	s_barrier
	s_and_saveexec_b64 s[6:7], s[4:5]
	s_cbranch_execz .LBB188_93
; %bb.92:
	ds_read_b128 v[46:49], v43
	ds_read_b128 v[50:53], v43 offset:16
	ds_read_b128 v[54:57], v43 offset:32
	;; [unrolled: 1-line block ×3, first 2 shown]
	s_waitcnt lgkmcnt(3)
	v_add_f64 v[0:1], v[0:1], v[46:47]
	v_add_f64 v[2:3], v[2:3], v[48:49]
	s_waitcnt lgkmcnt(2)
	v_add_f64 v[0:1], v[0:1], v[50:51]
	v_add_f64 v[46:47], v[2:3], v[52:53]
	s_waitcnt lgkmcnt(1)
	v_add_f64 v[48:49], v[0:1], v[54:55]
	ds_read_b128 v[0:3], v43 offset:64
	v_add_f64 v[46:47], v[46:47], v[56:57]
	s_waitcnt lgkmcnt(1)
	v_add_f64 v[50:51], v[48:49], v[58:59]
	v_add_f64 v[54:55], v[46:47], v[60:61]
	ds_read_b128 v[46:49], v43 offset:80
	s_waitcnt lgkmcnt(1)
	v_add_f64 v[56:57], v[50:51], v[0:1]
	ds_read_b128 v[50:53], v43 offset:96
	v_add_f64 v[54:55], v[54:55], v[2:3]
	ds_read_b128 v[0:3], v43 offset:112
	s_waitcnt lgkmcnt(2)
	v_add_f64 v[46:47], v[56:57], v[46:47]
	v_add_f64 v[48:49], v[54:55], v[48:49]
	s_waitcnt lgkmcnt(1)
	v_add_f64 v[46:47], v[46:47], v[50:51]
	v_add_f64 v[48:49], v[48:49], v[52:53]
	;; [unrolled: 3-line block ×3, first 2 shown]
.LBB188_93:
	s_or_b64 exec, exec, s[6:7]
	v_mul_f64 v[46:47], v[30:31], v[34:35]
	v_fma_f64 v[46:47], v[28:29], v[32:33], -v[46:47]
	v_mul_f64 v[28:29], v[28:29], v[34:35]
	v_fmac_f64_e32 v[28:29], v[30:31], v[32:33]
	v_mul_f64 v[32:33], v[18:19], v[26:27]
	v_fma_f64 v[32:33], v[16:17], v[24:25], -v[32:33]
	v_mul_f64 v[16:17], v[16:17], v[26:27]
	v_fmac_f64_e32 v[16:17], v[18:19], v[24:25]
	v_mul_f64 v[24:25], v[10:11], v[22:23]
	v_add_f64 v[28:29], v[28:29], 0
	v_fma_f64 v[24:25], v[8:9], v[20:21], -v[24:25]
	v_mul_f64 v[8:9], v[8:9], v[22:23]
	v_add_f64 v[30:31], v[46:47], 0
	v_add_f64 v[16:17], v[28:29], v[16:17]
	v_fmac_f64_e32 v[8:9], v[10:11], v[20:21]
	v_add_f64 v[18:19], v[30:31], v[32:33]
	v_add_f64 v[8:9], v[16:17], v[8:9]
	v_mul_f64 v[16:17], v[6:7], v[14:15]
	v_mul_f64 v[14:15], v[4:5], v[14:15]
	v_add_f64 v[10:11], v[18:19], v[24:25]
	v_fma_f64 v[16:17], v[4:5], v[12:13], -v[16:17]
	v_fmac_f64_e32 v[14:15], v[6:7], v[12:13]
	v_add_f64 v[4:5], v[10:11], v[16:17]
	v_add_f64 v[6:7], v[8:9], v[14:15]
	s_barrier
	ds_write_b128 v44, v[4:7]
	s_waitcnt lgkmcnt(0)
	s_barrier
	s_and_saveexec_b64 s[4:5], s[12:13]
	s_cbranch_execz .LBB188_95
; %bb.94:
	ds_read_b128 v[4:7], v43
	ds_read_b128 v[8:11], v43 offset:16
	ds_read_b128 v[12:15], v43 offset:32
	;; [unrolled: 1-line block ×3, first 2 shown]
	s_waitcnt lgkmcnt(3)
	v_add_f64 v[0:1], v[0:1], v[4:5]
	v_add_f64 v[2:3], v[2:3], v[6:7]
	s_waitcnt lgkmcnt(2)
	v_add_f64 v[0:1], v[0:1], v[8:9]
	v_add_f64 v[4:5], v[2:3], v[10:11]
	s_waitcnt lgkmcnt(1)
	v_add_f64 v[6:7], v[0:1], v[12:13]
	ds_read_b128 v[0:3], v43 offset:64
	v_add_f64 v[4:5], v[4:5], v[14:15]
	s_waitcnt lgkmcnt(1)
	v_add_f64 v[8:9], v[6:7], v[16:17]
	v_add_f64 v[12:13], v[4:5], v[18:19]
	ds_read_b128 v[4:7], v43 offset:80
	s_waitcnt lgkmcnt(1)
	v_add_f64 v[14:15], v[8:9], v[0:1]
	ds_read_b128 v[8:11], v43 offset:96
	v_add_f64 v[12:13], v[12:13], v[2:3]
	ds_read_b128 v[0:3], v43 offset:112
	s_waitcnt lgkmcnt(2)
	v_add_f64 v[4:5], v[14:15], v[4:5]
	v_add_f64 v[6:7], v[12:13], v[6:7]
	s_waitcnt lgkmcnt(1)
	v_add_f64 v[4:5], v[4:5], v[8:9]
	v_add_f64 v[6:7], v[6:7], v[10:11]
	;; [unrolled: 3-line block ×3, first 2 shown]
.LBB188_95:
	s_or_b64 exec, exec, s[4:5]
	s_mul_hi_u32 s4, s33, s26
	s_mul_i32 s34, s34, s26
	s_add_i32 s4, s4, s34
	s_mul_i32 s6, s33, s26
	s_mul_i32 s4, s4, s3
	s_mul_hi_u32 s5, s6, s3
	s_add_i32 s5, s5, s4
	s_mul_i32 s4, s6, s3
	s_lshl_b64 s[4:5], s[4:5], 4
	s_add_u32 s6, s28, s4
	s_addc_u32 s7, s29, s5
	s_mul_hi_i32 s5, s33, s2
	s_mul_i32 s4, s33, s2
	s_lshl_b64 s[4:5], s[4:5], 4
	s_add_u32 s8, s6, s4
	s_addc_u32 s9, s7, s5
	s_add_i32 s4, s2, 1
	s_cmp_ge_u32 s4, s3
	v_lshlrev_b32_e32 v166, 4, v202
	s_barrier
	s_cbranch_scc1 .LBB188_153
; %bb.96:
	s_mul_i32 s4, s16, s25
	s_mul_hi_u32 s5, s16, s24
	s_add_i32 s4, s5, s4
	s_mul_i32 s5, s17, s24
	s_add_i32 s5, s4, s5
	s_mul_i32 s4, s16, s24
	s_lshl_b64 s[4:5], s[4:5], 4
	v_mov_b32_e32 v4, s5
	v_subrev_co_u32_e32 v168, vcc, s4, v36
	s_movk_i32 s4, 0x10c0
	s_nop 0
	v_subb_co_u32_e32 v169, vcc, v37, v4, vcc
	v_lshrrev_b32_e32 v4, 4, v42
	v_lshlrev_b32_e32 v6, 6, v4
	v_mul_i32_i24_e32 v44, 0xffffffd0, v4
	v_and_b32_e32 v4, 48, v202
	v_and_b32_e32 v5, 15, v202
	v_lshlrev_b32_e32 v43, 6, v203
	v_mad_u32_u24 v208, v203, s4, v166
	s_movk_i32 s4, 0x430
	v_lshlrev_b32_e32 v4, 4, v4
	v_mad_u32_u24 v210, v5, s4, v4
	v_or_b32_e32 v4, 0xf0, v166
	v_add_u32_e32 v7, 0x220, v43
	v_mad_u32_u24 v209, v5, s4, v6
	v_mad_u32_u24 v211, v5, s4, v4
	v_mad_u64_u32 v[4:5], s[4:5], s22, v7, 0
	v_mov_b32_e32 v6, v5
	v_lshlrev_b64 v[8:9], 4, v[38:39]
	v_mad_u64_u32 v[6:7], s[4:5], s23, v7, v[6:7]
	v_sub_co_u32_e32 v4, vcc, v4, v8
	v_add_u32_e32 v11, 0x530, v43
	s_nop 0
	v_subb_co_u32_e32 v5, vcc, v6, v9, vcc
	v_mad_u64_u32 v[6:7], s[4:5], s22, v11, 0
	v_mov_b32_e32 v10, v7
	v_mad_u64_u32 v[10:11], s[4:5], s23, v11, v[10:11]
	v_sub_co_u32_e32 v6, vcc, v6, v8
	v_add_u32_e32 v13, 0x210, v43
	s_nop 0
	v_subb_co_u32_e32 v7, vcc, v10, v9, vcc
	v_mad_u64_u32 v[10:11], s[4:5], s22, v13, 0
	v_mov_b32_e32 v12, v11
	;; [unrolled: 7-line block ×15, first 2 shown]
	v_mad_u64_u32 v[38:39], s[4:5], s23, v39, v[38:39]
	v_lshl_add_u64 v[170:171], v[40:41], 0, v[4:5]
	v_sub_co_u32_e32 v4, vcc, v36, v8
	v_lshlrev_b32_e32 v204, 2, v203
	v_mov_b32_e32 v167, 0
	v_subb_co_u32_e32 v5, vcc, v38, v9, vcc
	s_add_i32 s19, s3, -2
	v_add_u32_e32 v205, 0x4300, v166
	v_add_u32_e32 v206, 0x4300, v43
	;; [unrolled: 1-line block ×3, first 2 shown]
	v_cmp_gt_u32_e64 s[6:7], 64, v42
	v_or_b32_e32 v212, 1, v204
	v_or_b32_e32 v213, 2, v204
	;; [unrolled: 1-line block ×3, first 2 shown]
	v_add_u32_e32 v215, 16, v204
	v_add_u32_e32 v216, 17, v204
	;; [unrolled: 1-line block ×12, first 2 shown]
	s_add_i32 s24, s24, 64
	s_lshl_b64 s[10:11], s[22:23], 10
	v_lshl_add_u64 v[172:173], v[40:41], 0, v[6:7]
	v_lshl_add_u64 v[174:175], v[40:41], 0, v[10:11]
	;; [unrolled: 1-line block ×15, first 2 shown]
	v_add_u32_e32 v227, v209, v44
	v_mov_b32_e32 v228, v167
	v_mov_b32_e32 v229, v167
	;; [unrolled: 1-line block ×4, first 2 shown]
	s_cmp_eq_u32 s19, s2
	s_cselect_b32 s25, s27, 0
	s_and_saveexec_b64 s[4:5], s[0:1]
	s_cbranch_execz .LBB188_102
	s_branch .LBB188_98
.LBB188_97:                             ;   in Loop: Header=BB188_102 Depth=1
	s_mov_b32 s2, s4
	s_cmp_eq_u32 s19, s2
	s_cselect_b32 s25, s27, 0
	s_and_saveexec_b64 s[4:5], s[0:1]
	s_cbranch_execz .LBB188_102
.LBB188_98:
	s_cmp_lg_u32 s25, 0
	s_cselect_b64 s[12:13], -1, 0
	v_cmp_le_i32_e32 vcc, s25, v202
	s_and_b64 s[12:13], s[12:13], vcc
	s_and_saveexec_b64 s[14:15], s[12:13]
	s_xor_b64 s[12:13], exec, s[14:15]
; %bb.99:
	ds_write_b128 v205, v[228:231]
; %bb.100:
	s_andn2_saveexec_b64 s[12:13], s[12:13]
	s_cbranch_execz .LBB188_102
; %bb.101:
	s_ashr_i32 s12, s24, 31
	s_mul_hi_u32 s13, s16, s24
	s_mul_i32 s12, s16, s12
	s_add_i32 s12, s13, s12
	s_mul_i32 s13, s17, s24
	s_add_i32 s13, s12, s13
	s_mul_i32 s12, s16, s24
	v_lshl_add_u64 v[4:5], s[12:13], 4, v[168:169]
	flat_load_dwordx4 v[4:7], v[4:5]
	s_waitcnt vmcnt(0) lgkmcnt(0)
	ds_write2_b64 v205, v[4:5], v[6:7] offset1:1
.LBB188_102:                            ; =>This Inner Loop Header: Depth=1
	s_or_b64 exec, exec, s[4:5]
	s_cmp_eq_u32 s25, 0
	s_cselect_b64 s[12:13], -1, 0
	s_cmp_lg_u32 s25, 0
	s_cselect_b64 s[14:15], -1, 0
	v_lshl_add_u64 v[16:17], v[178:179], 0, v[166:167]
	s_and_b64 vcc, exec, s[14:15]
	s_waitcnt lgkmcnt(0)
	s_barrier
	s_cbranch_vccz .LBB188_110
; %bb.103:                              ;   in Loop: Header=BB188_102 Depth=1
	v_cmp_gt_i32_e32 vcc, s25, v204
	v_mov_b64_e32 v[8:9], 0
	v_mov_b64_e32 v[4:5], 0
	;; [unrolled: 1-line block ×3, first 2 shown]
	s_and_saveexec_b64 s[4:5], vcc
	s_cbranch_execz .LBB188_105
; %bb.104:                              ;   in Loop: Header=BB188_102 Depth=1
	flat_load_dwordx4 v[4:7], v[16:17]
.LBB188_105:                            ;   in Loop: Header=BB188_102 Depth=1
	s_or_b64 exec, exec, s[4:5]
	v_cmp_gt_i32_e32 vcc, s25, v212
	v_mov_b64_e32 v[10:11], 0
	s_and_saveexec_b64 s[4:5], vcc
	s_cbranch_execz .LBB188_107
; %bb.106:                              ;   in Loop: Header=BB188_102 Depth=1
	v_lshl_add_u64 v[8:9], v[174:175], 0, v[166:167]
	flat_load_dwordx4 v[8:11], v[8:9]
.LBB188_107:                            ;   in Loop: Header=BB188_102 Depth=1
	s_or_b64 exec, exec, s[4:5]
	v_cmp_gt_i32_e32 vcc, s25, v213
	v_mov_b64_e32 v[12:13], 0
	v_mov_b64_e32 v[14:15], 0
	s_and_saveexec_b64 s[4:5], vcc
	s_cbranch_execz .LBB188_109
; %bb.108:                              ;   in Loop: Header=BB188_102 Depth=1
	v_lshl_add_u64 v[12:13], v[170:171], 0, v[166:167]
	flat_load_dwordx4 v[12:15], v[12:13]
.LBB188_109:                            ;   in Loop: Header=BB188_102 Depth=1
	s_or_b64 exec, exec, s[4:5]
	v_cmp_gt_i32_e64 s[4:5], s25, v214
	s_branch .LBB188_112
.LBB188_110:                            ;   in Loop: Header=BB188_102 Depth=1
	s_mov_b64 s[4:5], 0
                                        ; implicit-def: $vgpr14_vgpr15
                                        ; implicit-def: $vgpr10_vgpr11
                                        ; implicit-def: $vgpr6_vgpr7
	s_cbranch_execz .LBB188_112
; %bb.111:                              ;   in Loop: Header=BB188_102 Depth=1
	s_waitcnt vmcnt(0) lgkmcnt(0)
	v_lshl_add_u64 v[8:9], v[174:175], 0, v[166:167]
	v_lshl_add_u64 v[12:13], v[170:171], 0, v[166:167]
	flat_load_dwordx4 v[4:7], v[16:17]
	s_or_b64 s[4:5], s[4:5], exec
	flat_load_dwordx4 v[8:11], v[8:9]
	s_nop 0
	flat_load_dwordx4 v[12:15], v[12:13]
.LBB188_112:                            ;   in Loop: Header=BB188_102 Depth=1
	v_mov_b64_e32 v[16:17], 0
	v_mov_b64_e32 v[18:19], 0
	s_and_saveexec_b64 s[22:23], s[4:5]
	s_cbranch_execz .LBB188_114
; %bb.113:                              ;   in Loop: Header=BB188_102 Depth=1
	v_lshl_add_u64 v[16:17], v[182:183], 0, v[166:167]
	flat_load_dwordx4 v[16:19], v[16:17]
.LBB188_114:                            ;   in Loop: Header=BB188_102 Depth=1
	s_or_b64 exec, exec, s[22:23]
	ds_read_b128 v[36:39], v207
	ds_read_b128 v[32:35], v206
	ds_read_b128 v[28:31], v206 offset:16
	ds_read_b128 v[24:27], v206 offset:32
	ds_read_b128 v[20:23], v206 offset:48
	s_waitcnt vmcnt(0) lgkmcnt(0)
	v_mul_f64 v[40:41], v[6:7], v[38:39]
	v_mul_f64 v[42:43], v[4:5], v[38:39]
	v_fma_f64 v[40:41], v[4:5], v[36:37], -v[40:41]
	v_fmac_f64_e32 v[42:43], v[6:7], v[36:37]
	ds_write_b128 v208, v[40:43]
	v_mul_f64 v[40:41], v[10:11], v[38:39]
	v_mul_f64 v[42:43], v[8:9], v[38:39]
	v_fma_f64 v[40:41], v[8:9], v[36:37], -v[40:41]
	v_fmac_f64_e32 v[42:43], v[10:11], v[36:37]
	ds_write_b128 v208, v[40:43] offset:1072
	v_mul_f64 v[40:41], v[14:15], v[38:39]
	v_mul_f64 v[42:43], v[12:13], v[38:39]
	v_fma_f64 v[40:41], v[12:13], v[36:37], -v[40:41]
	v_fmac_f64_e32 v[42:43], v[14:15], v[36:37]
	ds_write_b128 v208, v[40:43] offset:2144
	;; [unrolled: 5-line block ×3, first 2 shown]
	s_waitcnt lgkmcnt(0)
	s_barrier
	ds_read_b128 v[92:95], v209
	ds_read_b128 v[88:91], v209 offset:16
	ds_read_b128 v[84:87], v209 offset:32
	;; [unrolled: 1-line block ×3, first 2 shown]
	v_cndmask_b32_e64 v36, 0, 1, s[14:15]
	v_cmp_ne_u32_e64 s[4:5], 1, v36
	s_andn2_b64 vcc, exec, s[14:15]
	v_lshl_add_u64 v[48:49], v[194:195], 0, v[166:167]
	s_waitcnt lgkmcnt(0)
	s_barrier
	s_cbranch_vccnz .LBB188_122
; %bb.115:                              ;   in Loop: Header=BB188_102 Depth=1
	v_cmp_gt_i32_e32 vcc, s25, v215
	v_mov_b64_e32 v[40:41], 0
	v_mov_b64_e32 v[36:37], 0
	;; [unrolled: 1-line block ×3, first 2 shown]
	s_and_saveexec_b64 s[14:15], vcc
	s_cbranch_execz .LBB188_117
; %bb.116:                              ;   in Loop: Header=BB188_102 Depth=1
	flat_load_dwordx4 v[36:39], v[48:49]
.LBB188_117:                            ;   in Loop: Header=BB188_102 Depth=1
	s_or_b64 exec, exec, s[14:15]
	v_cmp_gt_i32_e32 vcc, s25, v216
	v_mov_b64_e32 v[42:43], 0
	s_and_saveexec_b64 s[14:15], vcc
	s_cbranch_execz .LBB188_119
; %bb.118:                              ;   in Loop: Header=BB188_102 Depth=1
	v_lshl_add_u64 v[40:41], v[190:191], 0, v[166:167]
	flat_load_dwordx4 v[40:43], v[40:41]
.LBB188_119:                            ;   in Loop: Header=BB188_102 Depth=1
	s_or_b64 exec, exec, s[14:15]
	v_cmp_gt_i32_e32 vcc, s25, v217
	v_mov_b64_e32 v[44:45], 0
	v_mov_b64_e32 v[46:47], 0
	s_and_saveexec_b64 s[14:15], vcc
	s_cbranch_execz .LBB188_121
; %bb.120:                              ;   in Loop: Header=BB188_102 Depth=1
	v_lshl_add_u64 v[44:45], v[184:185], 0, v[166:167]
	flat_load_dwordx4 v[44:47], v[44:45]
.LBB188_121:                            ;   in Loop: Header=BB188_102 Depth=1
	s_or_b64 exec, exec, s[14:15]
	v_cmp_gt_i32_e64 s[14:15], s25, v218
	s_branch .LBB188_124
.LBB188_122:                            ;   in Loop: Header=BB188_102 Depth=1
	s_mov_b64 s[14:15], 0
                                        ; implicit-def: $vgpr46_vgpr47
                                        ; implicit-def: $vgpr42_vgpr43
                                        ; implicit-def: $vgpr38_vgpr39
	s_cbranch_execz .LBB188_124
; %bb.123:                              ;   in Loop: Header=BB188_102 Depth=1
	s_waitcnt vmcnt(0) lgkmcnt(0)
	v_lshl_add_u64 v[40:41], v[190:191], 0, v[166:167]
	v_lshl_add_u64 v[44:45], v[184:185], 0, v[166:167]
	flat_load_dwordx4 v[36:39], v[48:49]
	s_or_b64 s[14:15], s[14:15], exec
	flat_load_dwordx4 v[40:43], v[40:41]
	s_nop 0
	flat_load_dwordx4 v[44:47], v[44:45]
.LBB188_124:                            ;   in Loop: Header=BB188_102 Depth=1
	v_mov_b64_e32 v[48:49], 0
	v_mov_b64_e32 v[50:51], 0
	s_and_saveexec_b64 s[22:23], s[14:15]
	s_cbranch_execz .LBB188_126
; %bb.125:                              ;   in Loop: Header=BB188_102 Depth=1
	v_lshl_add_u64 v[48:49], v[198:199], 0, v[166:167]
	flat_load_dwordx4 v[48:51], v[48:49]
.LBB188_126:                            ;   in Loop: Header=BB188_102 Depth=1
	s_or_b64 exec, exec, s[22:23]
	ds_read_b128 v[68:71], v207
	ds_read_b128 v[64:67], v206 offset:256
	ds_read_b128 v[60:63], v206 offset:272
	;; [unrolled: 1-line block ×4, first 2 shown]
	s_waitcnt vmcnt(0) lgkmcnt(0)
	v_mul_f64 v[72:73], v[38:39], v[70:71]
	v_mul_f64 v[74:75], v[36:37], v[70:71]
	v_fma_f64 v[72:73], v[36:37], v[68:69], -v[72:73]
	v_fmac_f64_e32 v[74:75], v[38:39], v[68:69]
	ds_write_b128 v208, v[72:75]
	v_mul_f64 v[72:73], v[42:43], v[70:71]
	v_mul_f64 v[74:75], v[40:41], v[70:71]
	v_fma_f64 v[72:73], v[40:41], v[68:69], -v[72:73]
	v_fmac_f64_e32 v[74:75], v[42:43], v[68:69]
	ds_write_b128 v208, v[72:75] offset:1072
	v_mul_f64 v[72:73], v[46:47], v[70:71]
	v_mul_f64 v[74:75], v[44:45], v[70:71]
	v_fma_f64 v[72:73], v[44:45], v[68:69], -v[72:73]
	v_fmac_f64_e32 v[74:75], v[46:47], v[68:69]
	ds_write_b128 v208, v[72:75] offset:2144
	;; [unrolled: 5-line block ×3, first 2 shown]
	s_waitcnt lgkmcnt(0)
	s_barrier
	ds_read_b128 v[144:147], v209
	ds_read_b128 v[140:143], v209 offset:16
	ds_read_b128 v[136:139], v209 offset:32
	;; [unrolled: 1-line block ×3, first 2 shown]
	s_and_b64 vcc, exec, s[4:5]
	v_lshl_add_u64 v[96:97], v[192:193], 0, v[166:167]
	s_waitcnt lgkmcnt(0)
	s_barrier
	s_cbranch_vccnz .LBB188_134
; %bb.127:                              ;   in Loop: Header=BB188_102 Depth=1
	v_cmp_gt_i32_e32 vcc, s25, v219
	v_mov_b64_e32 v[72:73], 0
	v_mov_b64_e32 v[68:69], 0
	;; [unrolled: 1-line block ×3, first 2 shown]
	s_and_saveexec_b64 s[14:15], vcc
	s_cbranch_execz .LBB188_129
; %bb.128:                              ;   in Loop: Header=BB188_102 Depth=1
	flat_load_dwordx4 v[68:71], v[96:97]
.LBB188_129:                            ;   in Loop: Header=BB188_102 Depth=1
	s_or_b64 exec, exec, s[14:15]
	v_cmp_gt_i32_e32 vcc, s25, v220
	v_mov_b64_e32 v[74:75], 0
	s_and_saveexec_b64 s[14:15], vcc
	s_cbranch_execz .LBB188_131
; %bb.130:                              ;   in Loop: Header=BB188_102 Depth=1
	v_lshl_add_u64 v[72:73], v[196:197], 0, v[166:167]
	flat_load_dwordx4 v[72:75], v[72:73]
.LBB188_131:                            ;   in Loop: Header=BB188_102 Depth=1
	s_or_b64 exec, exec, s[14:15]
	v_cmp_gt_i32_e32 vcc, s25, v221
	v_mov_b64_e32 v[76:77], 0
	v_mov_b64_e32 v[78:79], 0
	s_and_saveexec_b64 s[14:15], vcc
	s_cbranch_execz .LBB188_133
; %bb.132:                              ;   in Loop: Header=BB188_102 Depth=1
	v_lshl_add_u64 v[76:77], v[200:201], 0, v[166:167]
	flat_load_dwordx4 v[76:79], v[76:77]
.LBB188_133:                            ;   in Loop: Header=BB188_102 Depth=1
	s_or_b64 exec, exec, s[14:15]
	v_cmp_gt_i32_e64 s[14:15], s25, v222
	s_branch .LBB188_136
.LBB188_134:                            ;   in Loop: Header=BB188_102 Depth=1
	s_mov_b64 s[14:15], 0
                                        ; implicit-def: $vgpr78_vgpr79
                                        ; implicit-def: $vgpr74_vgpr75
                                        ; implicit-def: $vgpr70_vgpr71
	s_cbranch_execz .LBB188_136
; %bb.135:                              ;   in Loop: Header=BB188_102 Depth=1
	s_waitcnt vmcnt(0) lgkmcnt(0)
	v_lshl_add_u64 v[72:73], v[196:197], 0, v[166:167]
	v_lshl_add_u64 v[76:77], v[200:201], 0, v[166:167]
	flat_load_dwordx4 v[68:71], v[96:97]
	s_or_b64 s[14:15], s[14:15], exec
	flat_load_dwordx4 v[72:75], v[72:73]
	s_nop 0
	flat_load_dwordx4 v[76:79], v[76:77]
.LBB188_136:                            ;   in Loop: Header=BB188_102 Depth=1
	v_mov_b64_e32 v[96:97], 0
	v_mov_b64_e32 v[98:99], 0
	s_and_saveexec_b64 s[22:23], s[14:15]
	s_cbranch_execz .LBB188_138
; %bb.137:                              ;   in Loop: Header=BB188_102 Depth=1
	v_lshl_add_u64 v[96:97], v[188:189], 0, v[166:167]
	flat_load_dwordx4 v[96:99], v[96:97]
.LBB188_138:                            ;   in Loop: Header=BB188_102 Depth=1
	s_or_b64 exec, exec, s[22:23]
	ds_read_b128 v[116:119], v207
	ds_read_b128 v[112:115], v206 offset:512
	ds_read_b128 v[108:111], v206 offset:528
	;; [unrolled: 1-line block ×4, first 2 shown]
	s_waitcnt vmcnt(0) lgkmcnt(0)
	v_mul_f64 v[120:121], v[70:71], v[118:119]
	v_mul_f64 v[122:123], v[68:69], v[118:119]
	v_fma_f64 v[120:121], v[68:69], v[116:117], -v[120:121]
	v_fmac_f64_e32 v[122:123], v[70:71], v[116:117]
	ds_write_b128 v208, v[120:123]
	v_mul_f64 v[120:121], v[74:75], v[118:119]
	v_mul_f64 v[122:123], v[72:73], v[118:119]
	v_fma_f64 v[120:121], v[72:73], v[116:117], -v[120:121]
	v_fmac_f64_e32 v[122:123], v[74:75], v[116:117]
	ds_write_b128 v208, v[120:123] offset:1072
	v_mul_f64 v[120:121], v[78:79], v[118:119]
	v_mul_f64 v[122:123], v[76:77], v[118:119]
	v_fma_f64 v[120:121], v[76:77], v[116:117], -v[120:121]
	v_fmac_f64_e32 v[122:123], v[78:79], v[116:117]
	ds_write_b128 v208, v[120:123] offset:2144
	;; [unrolled: 5-line block ×3, first 2 shown]
	s_waitcnt lgkmcnt(0)
	s_barrier
	ds_read_b128 v[160:163], v209
	ds_read_b128 v[156:159], v209 offset:16
	ds_read_b128 v[152:155], v209 offset:32
	;; [unrolled: 1-line block ×3, first 2 shown]
	s_and_b64 vcc, exec, s[4:5]
	v_lshl_add_u64 v[128:129], v[176:177], 0, v[166:167]
	s_waitcnt lgkmcnt(0)
	s_barrier
	s_cbranch_vccnz .LBB188_146
; %bb.139:                              ;   in Loop: Header=BB188_102 Depth=1
	v_cmp_gt_i32_e32 vcc, s25, v223
	v_mov_b64_e32 v[120:121], 0
	v_mov_b64_e32 v[116:117], 0
	;; [unrolled: 1-line block ×3, first 2 shown]
	s_and_saveexec_b64 s[4:5], vcc
	s_cbranch_execz .LBB188_141
; %bb.140:                              ;   in Loop: Header=BB188_102 Depth=1
	flat_load_dwordx4 v[116:119], v[128:129]
.LBB188_141:                            ;   in Loop: Header=BB188_102 Depth=1
	s_or_b64 exec, exec, s[4:5]
	v_cmp_gt_i32_e32 vcc, s25, v224
	v_mov_b64_e32 v[122:123], 0
	s_and_saveexec_b64 s[4:5], vcc
	s_cbranch_execz .LBB188_143
; %bb.142:                              ;   in Loop: Header=BB188_102 Depth=1
	v_lshl_add_u64 v[120:121], v[180:181], 0, v[166:167]
	flat_load_dwordx4 v[120:123], v[120:121]
.LBB188_143:                            ;   in Loop: Header=BB188_102 Depth=1
	s_or_b64 exec, exec, s[4:5]
	v_cmp_gt_i32_e32 vcc, s25, v225
	v_mov_b64_e32 v[124:125], 0
	v_mov_b64_e32 v[126:127], 0
	s_and_saveexec_b64 s[4:5], vcc
	s_cbranch_execz .LBB188_145
; %bb.144:                              ;   in Loop: Header=BB188_102 Depth=1
	v_lshl_add_u64 v[124:125], v[186:187], 0, v[166:167]
	flat_load_dwordx4 v[124:127], v[124:125]
.LBB188_145:                            ;   in Loop: Header=BB188_102 Depth=1
	s_or_b64 exec, exec, s[4:5]
	v_cmp_gt_i32_e64 s[4:5], s25, v226
	s_branch .LBB188_148
.LBB188_146:                            ;   in Loop: Header=BB188_102 Depth=1
	s_mov_b64 s[4:5], 0
                                        ; implicit-def: $vgpr126_vgpr127
                                        ; implicit-def: $vgpr122_vgpr123
                                        ; implicit-def: $vgpr118_vgpr119
	s_cbranch_execz .LBB188_148
; %bb.147:                              ;   in Loop: Header=BB188_102 Depth=1
	s_waitcnt vmcnt(0) lgkmcnt(0)
	v_lshl_add_u64 v[120:121], v[180:181], 0, v[166:167]
	v_lshl_add_u64 v[124:125], v[186:187], 0, v[166:167]
	flat_load_dwordx4 v[116:119], v[128:129]
	s_or_b64 s[4:5], s[4:5], exec
	flat_load_dwordx4 v[120:123], v[120:121]
	s_nop 0
	flat_load_dwordx4 v[124:127], v[124:125]
.LBB188_148:                            ;   in Loop: Header=BB188_102 Depth=1
	v_mov_b64_e32 v[128:129], 0
	v_mov_b64_e32 v[130:131], 0
	s_and_saveexec_b64 s[14:15], s[4:5]
	s_cbranch_execz .LBB188_150
; %bb.149:                              ;   in Loop: Header=BB188_102 Depth=1
	v_lshl_add_u64 v[128:129], v[172:173], 0, v[166:167]
	flat_load_dwordx4 v[128:131], v[128:129]
.LBB188_150:                            ;   in Loop: Header=BB188_102 Depth=1
	s_or_b64 exec, exec, s[14:15]
	v_add_f64 v[160:161], v[160:161], 0
	v_add_f64 v[144:145], v[144:145], 0
	;; [unrolled: 1-line block ×19, first 2 shown]
	ds_read_b128 v[140:143], v207
	ds_read_b128 v[132:135], v206 offset:768
	ds_read_b128 v[92:95], v206 offset:784
	;; [unrolled: 1-line block ×4, first 2 shown]
	s_waitcnt vmcnt(0) lgkmcnt(0)
	v_mul_f64 v[144:145], v[118:119], v[142:143]
	v_mul_f64 v[146:147], v[116:117], v[142:143]
	v_fma_f64 v[144:145], v[116:117], v[140:141], -v[144:145]
	v_fmac_f64_e32 v[146:147], v[118:119], v[140:141]
	ds_write_b128 v208, v[144:147]
	v_mul_f64 v[144:145], v[122:123], v[142:143]
	v_mul_f64 v[146:147], v[120:121], v[142:143]
	v_fma_f64 v[144:145], v[120:121], v[140:141], -v[144:145]
	v_fmac_f64_e32 v[146:147], v[122:123], v[140:141]
	ds_write_b128 v208, v[144:147] offset:1072
	v_mul_f64 v[144:145], v[126:127], v[142:143]
	v_mul_f64 v[146:147], v[124:125], v[142:143]
	v_fma_f64 v[144:145], v[124:125], v[140:141], -v[144:145]
	v_fmac_f64_e32 v[146:147], v[126:127], v[140:141]
	ds_write_b128 v208, v[144:147] offset:2144
	v_mul_f64 v[144:145], v[130:131], v[142:143]
	v_mul_f64 v[146:147], v[128:129], v[142:143]
	v_fma_f64 v[144:145], v[128:129], v[140:141], -v[144:145]
	v_fmac_f64_e32 v[146:147], v[130:131], v[140:141]
	v_add_f64 v[162:163], v[162:163], 0
	ds_write_b128 v208, v[144:147] offset:3216
	s_waitcnt lgkmcnt(0)
	s_barrier
	ds_read_b128 v[140:143], v209
	v_add_f64 v[158:159], v[162:163], v[158:159]
	v_add_f64 v[154:155], v[158:159], v[154:155]
	;; [unrolled: 1-line block ×4, first 2 shown]
	ds_read_b128 v[144:147], v209 offset:16
	ds_read_b128 v[152:155], v209 offset:32
	;; [unrolled: 1-line block ×3, first 2 shown]
	s_waitcnt lgkmcnt(3)
	v_add_f64 v[140:141], v[140:141], 0
	v_add_f64 v[142:143], v[142:143], 0
	v_cmp_gt_i32_e32 vcc, s25, v202
	s_waitcnt lgkmcnt(2)
	v_add_f64 v[140:141], v[140:141], v[144:145]
	v_add_f64 v[142:143], v[142:143], v[146:147]
	s_or_b64 s[4:5], s[12:13], vcc
	s_waitcnt lgkmcnt(1)
	v_add_f64 v[140:141], v[140:141], v[152:153]
	v_add_f64 v[142:143], v[142:143], v[154:155]
	s_and_b64 s[12:13], s[6:7], s[4:5]
	s_waitcnt lgkmcnt(0)
	v_add_f64 v[140:141], v[140:141], v[156:157]
	v_add_f64 v[142:143], v[142:143], v[158:159]
	s_barrier
	ds_write_b128 v227, v[80:83]
	ds_write_b128 v227, v[136:139] offset:256
	ds_write_b128 v227, v[148:151] offset:512
	;; [unrolled: 1-line block ×3, first 2 shown]
	s_waitcnt lgkmcnt(0)
	s_barrier
	s_and_saveexec_b64 s[4:5], s[12:13]
	s_cbranch_execz .LBB188_152
; %bb.151:                              ;   in Loop: Header=BB188_102 Depth=1
	ds_read_b128 v[80:83], v210
	ds_read_b128 v[136:139], v210 offset:16
	ds_read_b128 v[140:143], v210 offset:32
	;; [unrolled: 1-line block ×3, first 2 shown]
	s_waitcnt lgkmcnt(2)
	v_add_f64 v[80:81], v[136:137], v[80:81]
	v_add_f64 v[136:137], v[138:139], v[82:83]
	s_waitcnt lgkmcnt(1)
	v_add_f64 v[138:139], v[80:81], v[140:141]
	ds_read_b128 v[80:83], v210 offset:64
	v_add_f64 v[140:141], v[136:137], v[142:143]
	s_waitcnt lgkmcnt(1)
	v_add_f64 v[142:143], v[138:139], v[144:145]
	ds_read_b128 v[136:139], v210 offset:80
	;; [unrolled: 4-line block ×9, first 2 shown]
	v_add_f64 v[82:83], v[144:145], v[82:83]
	s_waitcnt lgkmcnt(1)
	v_add_f64 v[136:137], v[80:81], v[136:137]
	v_add_f64 v[144:145], v[82:83], v[138:139]
	ds_read_b128 v[80:83], v210 offset:208
	s_waitcnt lgkmcnt(1)
	v_add_f64 v[146:147], v[136:137], v[140:141]
	ds_read_b128 v[136:139], v210 offset:224
	v_add_f64 v[144:145], v[144:145], v[142:143]
	ds_read_b128 v[140:143], v211
	s_waitcnt lgkmcnt(2)
	v_add_f64 v[80:81], v[146:147], v[80:81]
	v_add_f64 v[82:83], v[144:145], v[82:83]
	s_waitcnt lgkmcnt(1)
	v_add_f64 v[80:81], v[80:81], v[136:137]
	v_add_u32_e32 v136, s24, v202
	v_add_f64 v[82:83], v[82:83], v[138:139]
	v_ashrrev_i32_e32 v137, 31, v136
	s_waitcnt lgkmcnt(0)
	v_add_f64 v[80:81], v[80:81], v[140:141]
	v_add_f64 v[82:83], v[82:83], v[142:143]
	v_lshl_add_u64 v[136:137], v[136:137], 4, s[8:9]
	global_store_dwordx4 v[136:137], v[80:83], off
.LBB188_152:                            ;   in Loop: Header=BB188_102 Depth=1
	s_or_b64 exec, exec, s[4:5]
	s_nop 0
	v_mul_f64 v[80:81], v[6:7], v[34:35]
	v_fma_f64 v[80:81], v[4:5], v[32:33], -v[80:81]
	v_mul_f64 v[4:5], v[4:5], v[34:35]
	v_mul_f64 v[34:35], v[10:11], v[30:31]
	v_add_f64 v[0:1], v[0:1], v[80:81]
	v_fma_f64 v[34:35], v[8:9], v[28:29], -v[34:35]
	v_mul_f64 v[8:9], v[8:9], v[30:31]
	v_mul_f64 v[30:31], v[14:15], v[26:27]
	v_add_f64 v[0:1], v[0:1], v[34:35]
	v_fma_f64 v[30:31], v[12:13], v[24:25], -v[30:31]
	v_mul_f64 v[12:13], v[12:13], v[26:27]
	v_mul_f64 v[26:27], v[18:19], v[22:23]
	v_fmac_f64_e32 v[4:5], v[6:7], v[32:33]
	v_add_f64 v[0:1], v[0:1], v[30:31]
	v_fma_f64 v[26:27], v[16:17], v[20:21], -v[26:27]
	v_add_f64 v[2:3], v[2:3], v[4:5]
	v_mul_f64 v[4:5], v[38:39], v[66:67]
	v_add_f64 v[0:1], v[0:1], v[26:27]
	v_fma_f64 v[4:5], v[36:37], v[64:65], -v[4:5]
	v_add_f64 v[0:1], v[0:1], v[4:5]
	v_mul_f64 v[4:5], v[42:43], v[62:63]
	v_fma_f64 v[4:5], v[40:41], v[60:61], -v[4:5]
	v_add_f64 v[0:1], v[0:1], v[4:5]
	v_mul_f64 v[4:5], v[46:47], v[58:59]
	;; [unrolled: 3-line block ×4, first 2 shown]
	v_fmac_f64_e32 v[8:9], v[10:11], v[28:29]
	v_fma_f64 v[4:5], v[68:69], v[112:113], -v[4:5]
	v_mul_f64 v[16:17], v[16:17], v[22:23]
	v_add_f64 v[2:3], v[2:3], v[8:9]
	v_fmac_f64_e32 v[12:13], v[14:15], v[24:25]
	v_add_f64 v[0:1], v[0:1], v[4:5]
	v_mul_f64 v[4:5], v[74:75], v[110:111]
	v_add_f64 v[2:3], v[2:3], v[12:13]
	v_fmac_f64_e32 v[16:17], v[18:19], v[20:21]
	v_mul_f64 v[6:7], v[36:37], v[66:67]
	v_fma_f64 v[4:5], v[72:73], v[108:109], -v[4:5]
	v_add_f64 v[2:3], v[2:3], v[16:17]
	v_mul_f64 v[8:9], v[40:41], v[62:63]
	v_fmac_f64_e32 v[6:7], v[38:39], v[64:65]
	v_add_f64 v[0:1], v[0:1], v[4:5]
	v_mul_f64 v[4:5], v[78:79], v[106:107]
	v_mul_f64 v[10:11], v[44:45], v[58:59]
	v_add_f64 v[2:3], v[2:3], v[6:7]
	v_fmac_f64_e32 v[8:9], v[42:43], v[60:61]
	v_fma_f64 v[4:5], v[76:77], v[104:105], -v[4:5]
	v_mul_f64 v[12:13], v[48:49], v[54:55]
	v_add_f64 v[2:3], v[2:3], v[8:9]
	v_fmac_f64_e32 v[10:11], v[46:47], v[56:57]
	v_add_f64 v[0:1], v[0:1], v[4:5]
	v_mul_f64 v[4:5], v[98:99], v[102:103]
	v_add_f64 v[2:3], v[2:3], v[10:11]
	v_fmac_f64_e32 v[12:13], v[50:51], v[52:53]
	v_mul_f64 v[6:7], v[68:69], v[114:115]
	v_fma_f64 v[4:5], v[96:97], v[100:101], -v[4:5]
	v_add_f64 v[2:3], v[2:3], v[12:13]
	v_mul_f64 v[8:9], v[72:73], v[110:111]
	v_add_f64 v[0:1], v[0:1], v[4:5]
	v_fmac_f64_e32 v[6:7], v[70:71], v[112:113]
	v_mul_f64 v[4:5], v[118:119], v[134:135]
	v_mul_f64 v[10:11], v[76:77], v[106:107]
	v_add_f64 v[2:3], v[2:3], v[6:7]
	v_fmac_f64_e32 v[8:9], v[74:75], v[108:109]
	v_fma_f64 v[4:5], v[116:117], v[132:133], -v[4:5]
	v_mul_f64 v[12:13], v[96:97], v[102:103]
	v_add_f64 v[2:3], v[2:3], v[8:9]
	v_fmac_f64_e32 v[10:11], v[78:79], v[104:105]
	v_add_f64 v[0:1], v[0:1], v[4:5]
	v_mul_f64 v[4:5], v[122:123], v[94:95]
	v_add_f64 v[2:3], v[2:3], v[10:11]
	v_fmac_f64_e32 v[12:13], v[98:99], v[100:101]
	v_mul_f64 v[6:7], v[116:117], v[134:135]
	v_fma_f64 v[4:5], v[120:121], v[92:93], -v[4:5]
	v_add_f64 v[2:3], v[2:3], v[12:13]
	v_mul_f64 v[8:9], v[120:121], v[94:95]
	v_add_f64 v[0:1], v[0:1], v[4:5]
	v_mul_f64 v[4:5], v[126:127], v[90:91]
	v_fmac_f64_e32 v[6:7], v[118:119], v[132:133]
	v_fma_f64 v[4:5], v[124:125], v[88:89], -v[4:5]
	v_mul_f64 v[10:11], v[124:125], v[90:91]
	v_fmac_f64_e32 v[8:9], v[122:123], v[92:93]
	v_add_f64 v[2:3], v[2:3], v[6:7]
	v_add_f64 v[0:1], v[0:1], v[4:5]
	v_mul_f64 v[4:5], v[130:131], v[86:87]
	v_mul_f64 v[12:13], v[128:129], v[86:87]
	v_fmac_f64_e32 v[10:11], v[126:127], v[88:89]
	v_add_f64 v[2:3], v[2:3], v[8:9]
	v_fma_f64 v[4:5], v[128:129], v[84:85], -v[4:5]
	v_fmac_f64_e32 v[12:13], v[130:131], v[84:85]
	v_add_f64 v[2:3], v[2:3], v[10:11]
	s_add_i32 s4, s2, 1
	s_add_i32 s24, s24, 64
	;; [unrolled: 1-line block ×3, first 2 shown]
	v_add_f64 v[0:1], v[0:1], v[4:5]
	v_add_f64 v[2:3], v[2:3], v[12:13]
	v_lshl_add_u64 v[170:171], v[170:171], 0, s[10:11]
	v_lshl_add_u64 v[172:173], v[172:173], 0, s[10:11]
	;; [unrolled: 1-line block ×15, first 2 shown]
	s_cmp_ge_u32 s2, s3
	v_lshl_add_u64 v[200:201], v[200:201], 0, s[10:11]
	s_barrier
	s_cbranch_scc0 .LBB188_97
.LBB188_153:
	s_movk_i32 s2, 0x430
	v_cmp_gt_i32_e32 vcc, s18, v202
	v_mad_u32_u24 v4, v203, s2, v166
	s_or_b64 s[2:3], s[20:21], vcc
	s_and_b64 s[0:1], s[0:1], s[2:3]
	ds_write_b128 v4, v[0:3]
	s_waitcnt lgkmcnt(0)
	s_barrier
	s_and_saveexec_b64 s[2:3], s[0:1]
	s_cbranch_execz .LBB188_155
; %bb.154:
	ds_read_b128 v[0:3], v166 offset:1072
	ds_read_b128 v[4:7], v166
	ds_read_b128 v[8:11], v166 offset:2144
	ds_read_b128 v[12:15], v166 offset:3216
	s_waitcnt lgkmcnt(2)
	v_add_f64 v[0:1], v[0:1], v[4:5]
	v_add_f64 v[2:3], v[2:3], v[6:7]
	s_waitcnt lgkmcnt(1)
	v_add_f64 v[0:1], v[0:1], v[8:9]
	v_add_f64 v[2:3], v[2:3], v[10:11]
	;; [unrolled: 3-line block ×3, first 2 shown]
	v_lshl_add_u64 v[4:5], v[164:165], 4, s[8:9]
	global_store_dwordx4 v[4:5], v[0:3], off
.LBB188_155:
	s_endpgm
	.section	.rodata,"a",@progbits
	.p2align	6, 0x0
	.amdhsa_kernel _ZL26rocblas_hemvn_kernel_upperILb0ELi64ELi4ELi33ELi32ELi16ElPK19rocblas_complex_numIdEPKS3_PS1_EviT6_lT7_lT5_lS8_lS9_lS7_lT8_i
		.amdhsa_group_segment_fixed_size 19200
		.amdhsa_private_segment_fixed_size 0
		.amdhsa_kernarg_size 376
		.amdhsa_user_sgpr_count 2
		.amdhsa_user_sgpr_dispatch_ptr 0
		.amdhsa_user_sgpr_queue_ptr 0
		.amdhsa_user_sgpr_kernarg_segment_ptr 1
		.amdhsa_user_sgpr_dispatch_id 0
		.amdhsa_user_sgpr_kernarg_preload_length 0
		.amdhsa_user_sgpr_kernarg_preload_offset 0
		.amdhsa_user_sgpr_private_segment_size 0
		.amdhsa_uses_dynamic_stack 0
		.amdhsa_enable_private_segment 0
		.amdhsa_system_sgpr_workgroup_id_x 1
		.amdhsa_system_sgpr_workgroup_id_y 0
		.amdhsa_system_sgpr_workgroup_id_z 1
		.amdhsa_system_sgpr_workgroup_info 0
		.amdhsa_system_vgpr_workitem_id 1
		.amdhsa_next_free_vgpr 232
		.amdhsa_next_free_sgpr 38
		.amdhsa_accum_offset 232
		.amdhsa_reserve_vcc 1
		.amdhsa_float_round_mode_32 0
		.amdhsa_float_round_mode_16_64 0
		.amdhsa_float_denorm_mode_32 3
		.amdhsa_float_denorm_mode_16_64 3
		.amdhsa_dx10_clamp 1
		.amdhsa_ieee_mode 1
		.amdhsa_fp16_overflow 0
		.amdhsa_tg_split 0
		.amdhsa_exception_fp_ieee_invalid_op 0
		.amdhsa_exception_fp_denorm_src 0
		.amdhsa_exception_fp_ieee_div_zero 0
		.amdhsa_exception_fp_ieee_overflow 0
		.amdhsa_exception_fp_ieee_underflow 0
		.amdhsa_exception_fp_ieee_inexact 0
		.amdhsa_exception_int_div_zero 0
	.end_amdhsa_kernel
	.section	.text._ZL26rocblas_hemvn_kernel_upperILb0ELi64ELi4ELi33ELi32ELi16ElPK19rocblas_complex_numIdEPKS3_PS1_EviT6_lT7_lT5_lS8_lS9_lS7_lT8_i,"axG",@progbits,_ZL26rocblas_hemvn_kernel_upperILb0ELi64ELi4ELi33ELi32ELi16ElPK19rocblas_complex_numIdEPKS3_PS1_EviT6_lT7_lT5_lS8_lS9_lS7_lT8_i,comdat
.Lfunc_end188:
	.size	_ZL26rocblas_hemvn_kernel_upperILb0ELi64ELi4ELi33ELi32ELi16ElPK19rocblas_complex_numIdEPKS3_PS1_EviT6_lT7_lT5_lS8_lS9_lS7_lT8_i, .Lfunc_end188-_ZL26rocblas_hemvn_kernel_upperILb0ELi64ELi4ELi33ELi32ELi16ElPK19rocblas_complex_numIdEPKS3_PS1_EviT6_lT7_lT5_lS8_lS9_lS7_lT8_i
                                        ; -- End function
	.set _ZL26rocblas_hemvn_kernel_upperILb0ELi64ELi4ELi33ELi32ELi16ElPK19rocblas_complex_numIdEPKS3_PS1_EviT6_lT7_lT5_lS8_lS9_lS7_lT8_i.num_vgpr, 232
	.set _ZL26rocblas_hemvn_kernel_upperILb0ELi64ELi4ELi33ELi32ELi16ElPK19rocblas_complex_numIdEPKS3_PS1_EviT6_lT7_lT5_lS8_lS9_lS7_lT8_i.num_agpr, 0
	.set _ZL26rocblas_hemvn_kernel_upperILb0ELi64ELi4ELi33ELi32ELi16ElPK19rocblas_complex_numIdEPKS3_PS1_EviT6_lT7_lT5_lS8_lS9_lS7_lT8_i.numbered_sgpr, 38
	.set _ZL26rocblas_hemvn_kernel_upperILb0ELi64ELi4ELi33ELi32ELi16ElPK19rocblas_complex_numIdEPKS3_PS1_EviT6_lT7_lT5_lS8_lS9_lS7_lT8_i.num_named_barrier, 0
	.set _ZL26rocblas_hemvn_kernel_upperILb0ELi64ELi4ELi33ELi32ELi16ElPK19rocblas_complex_numIdEPKS3_PS1_EviT6_lT7_lT5_lS8_lS9_lS7_lT8_i.private_seg_size, 0
	.set _ZL26rocblas_hemvn_kernel_upperILb0ELi64ELi4ELi33ELi32ELi16ElPK19rocblas_complex_numIdEPKS3_PS1_EviT6_lT7_lT5_lS8_lS9_lS7_lT8_i.uses_vcc, 1
	.set _ZL26rocblas_hemvn_kernel_upperILb0ELi64ELi4ELi33ELi32ELi16ElPK19rocblas_complex_numIdEPKS3_PS1_EviT6_lT7_lT5_lS8_lS9_lS7_lT8_i.uses_flat_scratch, 0
	.set _ZL26rocblas_hemvn_kernel_upperILb0ELi64ELi4ELi33ELi32ELi16ElPK19rocblas_complex_numIdEPKS3_PS1_EviT6_lT7_lT5_lS8_lS9_lS7_lT8_i.has_dyn_sized_stack, 0
	.set _ZL26rocblas_hemvn_kernel_upperILb0ELi64ELi4ELi33ELi32ELi16ElPK19rocblas_complex_numIdEPKS3_PS1_EviT6_lT7_lT5_lS8_lS9_lS7_lT8_i.has_recursion, 0
	.set _ZL26rocblas_hemvn_kernel_upperILb0ELi64ELi4ELi33ELi32ELi16ElPK19rocblas_complex_numIdEPKS3_PS1_EviT6_lT7_lT5_lS8_lS9_lS7_lT8_i.has_indirect_call, 0
	.section	.AMDGPU.csdata,"",@progbits
; Kernel info:
; codeLenInByte = 10452
; TotalNumSgprs: 44
; NumVgprs: 232
; NumAgprs: 0
; TotalNumVgprs: 232
; ScratchSize: 0
; MemoryBound: 1
; FloatMode: 240
; IeeeMode: 1
; LDSByteSize: 19200 bytes/workgroup (compile time only)
; SGPRBlocks: 5
; VGPRBlocks: 28
; NumSGPRsForWavesPerEU: 44
; NumVGPRsForWavesPerEU: 232
; AccumOffset: 232
; Occupancy: 2
; WaveLimiterHint : 1
; COMPUTE_PGM_RSRC2:SCRATCH_EN: 0
; COMPUTE_PGM_RSRC2:USER_SGPR: 2
; COMPUTE_PGM_RSRC2:TRAP_HANDLER: 0
; COMPUTE_PGM_RSRC2:TGID_X_EN: 1
; COMPUTE_PGM_RSRC2:TGID_Y_EN: 0
; COMPUTE_PGM_RSRC2:TGID_Z_EN: 1
; COMPUTE_PGM_RSRC2:TIDIG_COMP_CNT: 1
; COMPUTE_PGM_RSRC3_GFX90A:ACCUM_OFFSET: 57
; COMPUTE_PGM_RSRC3_GFX90A:TG_SPLIT: 0
	.section	.text._ZL26rocblas_hemvn_kernel_upperILb0ELi64ELi4ELi33ELi32ELi16EiPK19rocblas_complex_numIdEPKS3_PS1_EviT6_lT7_lT5_lS8_lS9_lS7_lT8_i,"axG",@progbits,_ZL26rocblas_hemvn_kernel_upperILb0ELi64ELi4ELi33ELi32ELi16EiPK19rocblas_complex_numIdEPKS3_PS1_EviT6_lT7_lT5_lS8_lS9_lS7_lT8_i,comdat
	.globl	_ZL26rocblas_hemvn_kernel_upperILb0ELi64ELi4ELi33ELi32ELi16EiPK19rocblas_complex_numIdEPKS3_PS1_EviT6_lT7_lT5_lS8_lS9_lS7_lT8_i ; -- Begin function _ZL26rocblas_hemvn_kernel_upperILb0ELi64ELi4ELi33ELi32ELi16EiPK19rocblas_complex_numIdEPKS3_PS1_EviT6_lT7_lT5_lS8_lS9_lS7_lT8_i
	.p2align	8
	.type	_ZL26rocblas_hemvn_kernel_upperILb0ELi64ELi4ELi33ELi32ELi16EiPK19rocblas_complex_numIdEPKS3_PS1_EviT6_lT7_lT5_lS8_lS9_lS7_lT8_i,@function
_ZL26rocblas_hemvn_kernel_upperILb0ELi64ELi4ELi33ELi32ELi16EiPK19rocblas_complex_numIdEPKS3_PS1_EviT6_lT7_lT5_lS8_lS9_lS7_lT8_i: ; @_ZL26rocblas_hemvn_kernel_upperILb0ELi64ELi4ELi33ELi32ELi16EiPK19rocblas_complex_numIdEPKS3_PS1_EviT6_lT7_lT5_lS8_lS9_lS7_lT8_i
; %bb.0:
	s_load_dwordx2 s[4:5], s[0:1], 0x84
	s_add_u32 s12, s0, 0x78
	s_mov_b32 s20, s3
	s_addc_u32 s13, s1, 0
	s_waitcnt lgkmcnt(0)
	s_and_b32 s3, s5, 0xffff
	s_lshr_b32 s5, s4, 16
	s_and_b32 s4, s4, 0xffff
	s_mul_i32 s4, s5, s4
	s_mul_i32 s4, s4, s3
	s_cmpk_lg_i32 s4, 0x100
	s_cbranch_scc1 .LBB189_155
; %bb.1:
	s_load_dwordx8 s[4:11], s[0:1], 0x8
	s_mov_b32 s21, 0
	s_waitcnt lgkmcnt(0)
	s_mul_i32 s3, s7, s20
	s_mul_hi_u32 s7, s6, s20
	s_mul_i32 s6, s6, s20
	s_add_i32 s7, s7, s3
	s_lshl_b64 s[6:7], s[6:7], 4
	s_add_u32 s14, s4, s6
	s_addc_u32 s15, s5, s7
	s_load_dwordx4 s[16:19], s[14:15], 0x0
	s_load_dwordx2 s[22:23], s[0:1], 0x68
	s_load_dwordx4 s[4:7], s[0:1], 0x58
	s_waitcnt lgkmcnt(0)
	v_cmp_neq_f64_e64 s[14:15], s[16:17], 0
	v_cmp_neq_f64_e64 s[16:17], s[18:19], 0
	s_or_b64 s[16:17], s[14:15], s[16:17]
	s_mov_b64 s[14:15], -1
	s_and_b64 vcc, exec, s[16:17]
	s_cbranch_vccnz .LBB189_3
; %bb.2:
	s_mul_i32 s3, s7, s20
	s_mul_hi_u32 s7, s6, s20
	s_add_i32 s7, s7, s3
	s_mul_i32 s6, s6, s20
	s_lshl_b64 s[6:7], s[6:7], 4
	s_add_u32 s14, s4, s6
	s_addc_u32 s15, s5, s7
	s_load_dwordx4 s[4:7], s[14:15], 0x0
	s_mov_b64 s[14:15], 0
	s_waitcnt lgkmcnt(0)
	v_cmp_eq_f64_e64 s[4:5], s[4:5], 1.0
	v_cmp_eq_f64_e64 s[6:7], s[6:7], 0
	s_and_b64 s[4:5], s[4:5], s[6:7]
	s_andn2_b64 vcc, exec, s[4:5]
.LBB189_3:
	s_andn2_b64 vcc, exec, s[14:15]
	s_cbranch_vccnz .LBB189_155
; %bb.4:
	s_load_dwordx4 s[4:7], s[0:1], 0x38
	s_load_dword s34, s[0:1], 0x48
	s_lshl_b64 s[14:15], s[20:21], 3
	s_add_u32 s8, s8, s14
	s_addc_u32 s9, s9, s15
	s_waitcnt lgkmcnt(0)
	s_add_u32 s14, s4, s14
	s_addc_u32 s15, s5, s15
	s_load_dwordx2 s[16:17], s[14:15], 0x0
	s_load_dword s21, s[0:1], 0x0
	s_load_dword s3, s[12:13], 0x0
	s_load_dwordx2 s[4:5], s[8:9], 0x0
	s_lshl_b64 s[6:7], s[6:7], 4
	s_waitcnt lgkmcnt(0)
	s_add_u32 s6, s16, s6
	s_addc_u32 s7, s17, s7
	s_ashr_i32 s35, s21, 31
	s_lshr_b32 s9, s35, 26
	v_and_b32_e32 v166, 0x3ff, v0
	s_lshl_b32 s26, s2, 6
	s_add_i32 s9, s21, s9
	s_andn2_b32 s9, s9, 63
	v_add_u32_e32 v164, s26, v166
	v_bfe_u32 v165, v0, 10, 10
	s_add_i32 s8, s3, -1
	s_sub_i32 s33, s21, s9
	v_mul_lo_u32 v0, s34, v164
	s_cmp_eq_u32 s2, s8
	v_ashrrev_i32_e32 v1, 31, v0
	s_cselect_b32 s16, s33, 0
	v_lshl_add_u64 v[38:39], v[0:1], 4, s[6:7]
	v_cmp_eq_u32_e64 s[12:13], 0, v165
	s_and_saveexec_b64 s[6:7], s[12:13]
	s_cbranch_execz .LBB189_9
; %bb.5:
	s_cmp_lg_u32 s16, 0
	s_cselect_b64 s[8:9], -1, 0
	v_cmp_le_i32_e32 vcc, s16, v166
	v_mov_b32_e32 v0, 0x4700
	s_and_b64 s[8:9], s[8:9], vcc
	v_lshl_add_u32 v0, v166, 4, v0
	s_and_saveexec_b64 s[14:15], s[8:9]
	s_xor_b64 s[8:9], exec, s[14:15]
; %bb.6:
	v_mov_b32_e32 v2, 0
	v_mov_b32_e32 v3, v2
	;; [unrolled: 1-line block ×4, first 2 shown]
	ds_write_b128 v0, v[2:5]
                                        ; implicit-def: $vgpr0
; %bb.7:
	s_andn2_saveexec_b64 s[8:9], s[8:9]
	s_cbranch_execz .LBB189_9
; %bb.8:
	flat_load_dwordx4 v[2:5], v[38:39]
	s_waitcnt vmcnt(0) lgkmcnt(0)
	ds_write2_b64 v0, v[2:3], v[4:5] offset1:1
.LBB189_9:
	s_or_b64 exec, exec, s[6:7]
	s_lshl_b64 s[6:7], s[10:11], 4
	s_load_dword s24, s[0:1], 0x28
	s_add_u32 s4, s4, s6
	s_addc_u32 s5, s5, s7
	s_ashr_i32 s27, s26, 31
	v_lshl_add_u32 v42, v165, 6, v166
	s_lshl_b64 s[0:1], s[26:27], 4
	v_and_b32_e32 v6, 31, v166
	v_lshrrev_b32_e32 v14, 5, v42
	s_add_u32 s0, s4, s0
	s_addc_u32 s1, s5, s1
	s_waitcnt lgkmcnt(0)
	v_mad_u64_u32 v[36:37], s[4:5], s24, v14, v[6:7]
	v_ashrrev_i32_e32 v37, 31, v36
	v_lshl_add_u64 v[0:1], v[36:37], 4, s[0:1]
	s_mul_i32 s0, s24, s26
	s_ashr_i32 s1, s0, 31
	s_cmp_eq_u32 s16, 0
	s_cselect_b64 s[18:19], -1, 0
	s_cmp_lg_u32 s16, 0
	s_cselect_b64 s[30:31], -1, 0
	v_lshl_add_u64 v[0:1], s[0:1], 4, v[0:1]
	s_and_b64 vcc, exec, s[30:31]
	v_cmp_gt_i32_e64 s[0:1], s16, v6
	v_lshlrev_b32_e32 v4, 4, v6
	s_cbranch_vccz .LBB189_27
; %bb.10:
	v_sub_co_u32_e32 v2, vcc, v0, v4
	s_ashr_i32 s17, s16, 31
	s_nop 0
	v_subbrev_co_u32_e32 v3, vcc, 0, v1, vcc
	v_lshl_add_u64 v[2:3], s[16:17], 4, v[2:3]
	v_lshl_add_u64 v[2:3], v[2:3], 0, -16
	s_movk_i32 s4, 0x210
	v_cndmask_b32_e64 v3, v3, v1, s[0:1]
	v_cndmask_b32_e64 v2, v2, v0, s[0:1]
	v_cmp_le_i32_e32 vcc, s16, v14
	v_mad_u32_u24 v7, v14, s4, v4
	s_and_saveexec_b64 s[4:5], vcc
	s_xor_b64 s[4:5], exec, s[4:5]
; %bb.11:
	v_mov_b32_e32 v8, 0
	v_mov_b32_e32 v9, v8
	;; [unrolled: 1-line block ×4, first 2 shown]
	ds_write_b128 v7, v[8:11]
                                        ; implicit-def: $vgpr7
; %bb.12:
	s_or_saveexec_b64 s[4:5], s[4:5]
	v_mul_u32_u24_e32 v5, 0x210, v14
	s_xor_b64 exec, exec, s[4:5]
	s_cbranch_execz .LBB189_14
; %bb.13:
	flat_load_dwordx4 v[8:11], v[2:3]
	s_waitcnt vmcnt(0) lgkmcnt(0)
	ds_write2_b64 v7, v[8:9], v[10:11] offset1:1
.LBB189_14:
	s_or_b64 exec, exec, s[4:5]
	v_add_u32_e32 v7, 8, v14
	v_cmp_le_i32_e32 vcc, s16, v7
	v_add_u32_e32 v7, v5, v4
	s_and_saveexec_b64 s[4:5], vcc
	s_xor_b64 s[4:5], exec, s[4:5]
; %bb.15:
	v_mov_b32_e32 v8, 0
	v_mov_b32_e32 v9, v8
	;; [unrolled: 1-line block ×4, first 2 shown]
	ds_write_b128 v7, v[8:11] offset:4224
; %bb.16:
	s_andn2_saveexec_b64 s[4:5], s[4:5]
	s_cbranch_execz .LBB189_18
; %bb.17:
	s_lshl_b32 s6, s24, 3
	s_ashr_i32 s7, s6, 31
	v_lshl_add_u64 v[8:9], s[6:7], 4, v[2:3]
	flat_load_dwordx4 v[8:11], v[8:9]
	s_movk_i32 s6, 0x1080
	v_add3_u32 v12, v5, v4, s6
	s_waitcnt vmcnt(0) lgkmcnt(0)
	ds_write2_b64 v12, v[8:9], v[10:11] offset1:1
.LBB189_18:
	s_or_b64 exec, exec, s[4:5]
	v_add_u32_e32 v8, 16, v14
	v_cmp_le_i32_e32 vcc, s16, v8
	s_and_saveexec_b64 s[4:5], vcc
	s_xor_b64 s[4:5], exec, s[4:5]
; %bb.19:
	v_mov_b32_e32 v8, 0
	v_mov_b32_e32 v9, v8
	v_mov_b32_e32 v10, v8
	v_mov_b32_e32 v11, v8
	ds_write_b128 v7, v[8:11] offset:8448
; %bb.20:
	s_andn2_saveexec_b64 s[4:5], s[4:5]
	s_cbranch_execz .LBB189_22
; %bb.21:
	s_lshl_b32 s6, s24, 4
	s_ashr_i32 s7, s6, 31
	v_lshl_add_u64 v[8:9], s[6:7], 4, v[2:3]
	flat_load_dwordx4 v[8:11], v[8:9]
	s_movk_i32 s6, 0x2100
	v_add3_u32 v12, v5, v4, s6
	s_waitcnt vmcnt(0) lgkmcnt(0)
	ds_write2_b64 v12, v[8:9], v[10:11] offset1:1
.LBB189_22:
	s_or_b64 exec, exec, s[4:5]
	v_add_u32_e32 v8, 24, v14
	v_cmp_le_i32_e32 vcc, s16, v8
	s_and_saveexec_b64 s[4:5], vcc
	s_xor_b64 s[4:5], exec, s[4:5]
; %bb.23:
	v_mov_b32_e32 v8, 0
	v_mov_b32_e32 v9, v8
	;; [unrolled: 1-line block ×4, first 2 shown]
	ds_write_b128 v7, v[8:11] offset:12672
                                        ; implicit-def: $vgpr5
; %bb.24:
	s_andn2_saveexec_b64 s[4:5], s[4:5]
	s_cbranch_execz .LBB189_26
; %bb.25:
	s_mul_i32 s6, s24, 24
	s_ashr_i32 s7, s6, 31
	v_lshl_add_u64 v[8:9], s[6:7], 4, v[2:3]
	flat_load_dwordx4 v[8:11], v[8:9]
	s_movk_i32 s6, 0x3180
	v_add3_u32 v5, v5, v4, s6
	s_waitcnt vmcnt(0) lgkmcnt(0)
	ds_write2_b64 v5, v[8:9], v[10:11] offset1:1
.LBB189_26:
	s_or_b64 exec, exec, s[4:5]
	v_mov_b32_e32 v5, 0
	v_lshl_add_u64 v[2:3], v[2:3], 0, v[4:5]
	s_lshl_b64 s[4:5], s[16:17], 4
	v_mov_b32_e32 v5, s5
	v_subrev_co_u32_e32 v2, vcc, s4, v2
	s_nop 1
	v_subb_co_u32_e32 v3, vcc, v3, v5, vcc
	v_lshl_add_u64 v[2:3], v[2:3], 0, 16
	v_cndmask_b32_e64 v9, v3, v1, s[0:1]
	v_cndmask_b32_e64 v8, v2, v0, s[0:1]
	s_branch .LBB189_29
.LBB189_27:
                                        ; implicit-def: $vgpr8_vgpr9
	s_cbranch_execz .LBB189_29
; %bb.28:
	flat_load_dwordx4 v[8:11], v[0:1]
	v_mul_u32_u24_e32 v2, 0x210, v14
	s_lshl_b32 s0, s24, 3
	v_lshl_add_u32 v5, v6, 4, v2
	s_ashr_i32 s1, s0, 31
	v_lshl_add_u64 v[2:3], s[0:1], 4, v[0:1]
	s_ashr_i32 s25, s24, 31
	s_lshl_b64 s[0:1], s[24:25], 7
	v_add_u32_e32 v7, 0x1080, v5
	s_waitcnt vmcnt(0) lgkmcnt(0)
	ds_write2_b64 v5, v[8:9], v[10:11] offset1:1
	flat_load_dwordx4 v[8:11], v[2:3]
	v_lshl_add_u64 v[2:3], v[2:3], 0, s[0:1]
	s_waitcnt vmcnt(0) lgkmcnt(0)
	ds_write2_b64 v7, v[8:9], v[10:11] offset1:1
	flat_load_dwordx4 v[8:11], v[2:3]
	v_add_u32_e32 v7, 0x2100, v5
	v_lshl_add_u64 v[2:3], v[2:3], 0, s[0:1]
	s_waitcnt vmcnt(0) lgkmcnt(0)
	ds_write2_b64 v7, v[8:9], v[10:11] offset1:1
	flat_load_dwordx4 v[8:11], v[2:3]
	v_add_u32_e32 v2, 0x3180, v5
	s_waitcnt vmcnt(0) lgkmcnt(0)
	ds_write2_b64 v2, v[8:9], v[10:11] offset1:1
	v_mov_b64_e32 v[8:9], v[0:1]
.LBB189_29:
	v_lshlrev_b32_e32 v7, 2, v14
	v_lshl_or_b32 v0, v6, 9, v4
	v_cmp_gt_u32_e64 s[4:5], v7, v6
	v_lshl_add_u32 v1, v7, 4, v0
	s_waitcnt lgkmcnt(0)
	s_barrier
	s_and_saveexec_b64 s[0:1], s[4:5]
	s_cbranch_execz .LBB189_31
; %bb.30:
	s_movk_i32 s6, 0x840
	v_mad_u32_u24 v0, v14, s6, v4
	ds_read_b128 v[10:13], v0
	s_waitcnt lgkmcnt(0)
	ds_write_b128 v1, v[10:13]
.LBB189_31:
	s_or_b64 exec, exec, s[0:1]
	v_or_b32_e32 v0, 1, v7
	v_cmp_ge_u32_e64 s[6:7], v7, v6
	s_and_saveexec_b64 s[0:1], s[6:7]
	s_cbranch_execz .LBB189_33
; %bb.32:
	s_movk_i32 s8, 0x210
	v_mad_u32_u24 v2, v0, s8, v4
	ds_read_b128 v[10:13], v2
	s_waitcnt lgkmcnt(0)
	ds_write_b128 v1, v[10:13] offset:16
.LBB189_33:
	s_or_b64 exec, exec, s[0:1]
	v_or_b32_e32 v2, 2, v7
	v_cmp_gt_u32_e64 s[8:9], v2, v6
	s_and_saveexec_b64 s[0:1], s[8:9]
	s_cbranch_execz .LBB189_35
; %bb.34:
	s_movk_i32 s10, 0x210
	v_mad_u32_u24 v2, v2, s10, v4
	ds_read_b128 v[10:13], v2
	s_waitcnt lgkmcnt(0)
	ds_write_b128 v1, v[10:13] offset:32
.LBB189_35:
	s_or_b64 exec, exec, s[0:1]
	v_or_b32_e32 v3, 3, v7
	v_cmp_gt_u32_e64 s[10:11], v3, v6
	v_cmp_le_u32_e32 vcc, v3, v6
                                        ; implicit-def: $vgpr2
	s_and_saveexec_b64 s[0:1], vcc
	s_xor_b64 s[0:1], exec, s[0:1]
; %bb.36:
	v_mul_u32_u24_e32 v2, 0x210, v3
                                        ; implicit-def: $vgpr3
                                        ; implicit-def: $vgpr1
; %bb.37:
	s_andn2_saveexec_b64 s[0:1], s[0:1]
	s_cbranch_execz .LBB189_39
; %bb.38:
	s_movk_i32 s14, 0x210
	v_mad_u32_u24 v2, v3, s14, v4
	ds_read_b128 v[10:13], v2
	v_mul_u32_u24_e32 v2, 0x210, v3
	s_waitcnt lgkmcnt(0)
	ds_write_b128 v1, v[10:13] offset:48
.LBB189_39:
	s_or_b64 exec, exec, s[0:1]
	s_movk_i32 s0, 0x840
	v_mad_u32_u24 v15, v14, s0, v4
	v_lshlrev_b32_e32 v16, 4, v7
	s_movk_i32 s0, 0x210
	s_waitcnt lgkmcnt(0)
	s_barrier
	ds_read_b128 v[10:13], v16 offset:18176
	ds_read_b128 v[22:25], v16 offset:18192
	ds_read_b128 v[26:29], v15
	ds_read_b128 v[30:33], v16 offset:18208
	ds_read_b128 v[46:49], v16 offset:18224
	v_mad_u32_u24 v20, v0, s0, v4
	ds_read_b128 v[50:53], v20
	s_waitcnt lgkmcnt(3)
	v_mul_f64 v[0:1], v[12:13], v[28:29]
	v_fma_f64 v[18:19], v[10:11], v[26:27], -v[0:1]
	v_mul_f64 v[10:11], v[10:11], v[28:29]
	v_fmac_f64_e32 v[10:11], v[12:13], v[26:27]
	v_add_f64 v[26:27], v[10:11], 0
	s_waitcnt lgkmcnt(0)
	v_mul_f64 v[10:11], v[24:25], v[52:53]
	v_fma_f64 v[28:29], v[22:23], v[50:51], -v[10:11]
	v_mul_f64 v[22:23], v[22:23], v[52:53]
	v_fmac_f64_e32 v[22:23], v[24:25], v[50:51]
	ds_read_b128 v[10:13], v20 offset:528
	v_add_u32_e32 v45, v4, v2
	v_add_f64 v[26:27], v[26:27], v[22:23]
	ds_read_b128 v[22:25], v45
	v_add_f64 v[18:19], v[18:19], 0
	s_waitcnt lgkmcnt(1)
	v_mul_f64 v[2:3], v[32:33], v[12:13]
	v_mul_f64 v[12:13], v[30:31], v[12:13]
	v_add_f64 v[18:19], v[18:19], v[28:29]
	v_fma_f64 v[2:3], v[30:31], v[10:11], -v[2:3]
	v_fmac_f64_e32 v[12:13], v[32:33], v[10:11]
	s_waitcnt lgkmcnt(0)
	v_mul_f64 v[10:11], v[48:49], v[24:25]
	v_add_f64 v[2:3], v[18:19], v[2:3]
	v_fma_f64 v[10:11], v[46:47], v[22:23], -v[10:11]
	v_mul_f64 v[18:19], v[46:47], v[24:25]
	v_add_f64 v[10:11], v[2:3], v[10:11]
	v_mul_u32_u24_e32 v2, 33, v6
	v_add_f64 v[12:13], v[26:27], v[12:13]
	v_fmac_f64_e32 v[18:19], v[48:49], v[22:23]
	v_lshlrev_b32_e32 v43, 4, v2
	v_mov_b64_e32 v[0:1], 0
	v_add_f64 v[12:13], v[12:13], v[18:19]
	v_lshl_add_u32 v44, v14, 4, v43
	v_cmp_gt_u32_e64 s[0:1], 32, v42
	v_mov_b64_e32 v[2:3], 0
	s_barrier
	ds_write_b128 v44, v[10:13]
	s_waitcnt lgkmcnt(0)
	s_barrier
	s_and_saveexec_b64 s[14:15], s[0:1]
	s_cbranch_execz .LBB189_41
; %bb.40:
	ds_read_b128 v[0:3], v43
	ds_read_b128 v[10:13], v43 offset:16
	ds_read_b128 v[22:25], v43 offset:32
	;; [unrolled: 1-line block ×3, first 2 shown]
	s_waitcnt lgkmcnt(2)
	v_add_f64 v[0:1], v[10:11], v[0:1]
	v_add_f64 v[10:11], v[12:13], v[2:3]
	s_waitcnt lgkmcnt(1)
	v_add_f64 v[12:13], v[0:1], v[22:23]
	ds_read_b128 v[0:3], v43 offset:64
	v_add_f64 v[10:11], v[10:11], v[24:25]
	s_waitcnt lgkmcnt(1)
	v_add_f64 v[18:19], v[12:13], v[26:27]
	v_add_f64 v[26:27], v[10:11], v[28:29]
	ds_read_b128 v[10:13], v43 offset:80
	ds_read_b128 v[22:25], v43 offset:96
	s_waitcnt lgkmcnt(2)
	v_add_f64 v[18:19], v[18:19], v[0:1]
	v_add_f64 v[26:27], v[26:27], v[2:3]
	ds_read_b128 v[0:3], v43 offset:112
	s_waitcnt lgkmcnt(2)
	v_add_f64 v[10:11], v[18:19], v[10:11]
	v_add_f64 v[12:13], v[26:27], v[12:13]
	s_waitcnt lgkmcnt(1)
	v_add_f64 v[10:11], v[10:11], v[22:23]
	v_add_f64 v[12:13], v[12:13], v[24:25]
	;; [unrolled: 3-line block ×3, first 2 shown]
.LBB189_41:
	s_or_b64 exec, exec, s[14:15]
	s_lshl_b32 s28, s24, 5
	s_ashr_i32 s29, s28, 31
	v_lshl_add_u64 v[12:13], s[28:29], 4, v[8:9]
	s_mov_b64 s[14:15], 0x200
	v_lshl_add_u64 v[10:11], v[12:13], 0, s[14:15]
	s_and_b64 vcc, exec, s[30:31]
	s_barrier
	s_cbranch_vccz .LBB189_59
; %bb.42:
	v_sub_co_u32_e32 v8, vcc, v12, v4
	s_ashr_i32 s17, s16, 31
	s_nop 0
	v_subbrev_co_u32_e32 v9, vcc, 0, v13, vcc
	v_or_b32_e32 v5, 32, v6
	v_lshl_add_u64 v[8:9], s[16:17], 4, v[8:9]
	v_lshl_add_u64 v[8:9], v[8:9], 0, -16
	v_cmp_gt_i32_e32 vcc, s16, v5
	s_sub_i32 s25, s16, 32
	s_movk_i32 s27, 0x210
	v_cndmask_b32_e32 v9, v9, v11, vcc
	v_cndmask_b32_e32 v8, v8, v10, vcc
	v_cmp_le_i32_e64 s[14:15], s25, v14
	v_mad_u32_u24 v17, v14, s27, v4
	s_and_saveexec_b64 s[36:37], s[14:15]
	s_xor_b64 s[14:15], exec, s[36:37]
; %bb.43:
	v_mov_b32_e32 v22, 0
	v_mov_b32_e32 v23, v22
	;; [unrolled: 1-line block ×4, first 2 shown]
	ds_write_b128 v17, v[22:25]
                                        ; implicit-def: $vgpr17
; %bb.44:
	s_or_saveexec_b64 s[14:15], s[14:15]
	v_mul_u32_u24_e32 v5, 0x210, v14
	s_xor_b64 exec, exec, s[14:15]
	s_cbranch_execz .LBB189_46
; %bb.45:
	flat_load_dwordx4 v[22:25], v[8:9]
	s_waitcnt vmcnt(0) lgkmcnt(0)
	ds_write2_b64 v17, v[22:23], v[24:25] offset1:1
.LBB189_46:
	s_or_b64 exec, exec, s[14:15]
	v_add_u32_e32 v17, 8, v14
	v_cmp_le_i32_e64 s[14:15], s25, v17
	v_add_u32_e32 v17, v5, v4
	s_and_saveexec_b64 s[36:37], s[14:15]
	s_xor_b64 s[14:15], exec, s[36:37]
; %bb.47:
	v_mov_b32_e32 v22, 0
	v_mov_b32_e32 v23, v22
	;; [unrolled: 1-line block ×4, first 2 shown]
	ds_write_b128 v17, v[22:25] offset:4224
; %bb.48:
	s_andn2_saveexec_b64 s[14:15], s[14:15]
	s_cbranch_execz .LBB189_50
; %bb.49:
	s_lshl_b32 s36, s24, 3
	s_ashr_i32 s37, s36, 31
	v_lshl_add_u64 v[18:19], s[36:37], 4, v[8:9]
	flat_load_dwordx4 v[22:25], v[18:19]
	s_movk_i32 s27, 0x1080
	v_add3_u32 v18, v5, v4, s27
	s_waitcnt vmcnt(0) lgkmcnt(0)
	ds_write2_b64 v18, v[22:23], v[24:25] offset1:1
.LBB189_50:
	s_or_b64 exec, exec, s[14:15]
	v_add_u32_e32 v18, 16, v14
	v_cmp_le_i32_e64 s[14:15], s25, v18
	s_and_saveexec_b64 s[36:37], s[14:15]
	s_xor_b64 s[14:15], exec, s[36:37]
; %bb.51:
	v_mov_b32_e32 v22, 0
	v_mov_b32_e32 v23, v22
	;; [unrolled: 1-line block ×4, first 2 shown]
	ds_write_b128 v17, v[22:25] offset:8448
; %bb.52:
	s_andn2_saveexec_b64 s[14:15], s[14:15]
	s_cbranch_execz .LBB189_54
; %bb.53:
	s_lshl_b32 s36, s24, 4
	s_ashr_i32 s37, s36, 31
	v_lshl_add_u64 v[18:19], s[36:37], 4, v[8:9]
	flat_load_dwordx4 v[22:25], v[18:19]
	s_movk_i32 s27, 0x2100
	v_add3_u32 v18, v5, v4, s27
	s_waitcnt vmcnt(0) lgkmcnt(0)
	ds_write2_b64 v18, v[22:23], v[24:25] offset1:1
.LBB189_54:
	s_or_b64 exec, exec, s[14:15]
	v_add_u32_e32 v18, 24, v14
	v_cmp_le_i32_e64 s[14:15], s25, v18
	s_and_saveexec_b64 s[36:37], s[14:15]
	s_xor_b64 s[14:15], exec, s[36:37]
; %bb.55:
	v_mov_b32_e32 v22, 0
	v_mov_b32_e32 v23, v22
	;; [unrolled: 1-line block ×4, first 2 shown]
	ds_write_b128 v17, v[22:25] offset:12672
                                        ; implicit-def: $vgpr5
; %bb.56:
	s_andn2_saveexec_b64 s[14:15], s[14:15]
	s_cbranch_execz .LBB189_58
; %bb.57:
	s_mul_i32 s36, s24, 24
	s_ashr_i32 s37, s36, 31
	v_lshl_add_u64 v[18:19], s[36:37], 4, v[8:9]
	flat_load_dwordx4 v[22:25], v[18:19]
	s_movk_i32 s25, 0x3180
	v_add3_u32 v5, v5, v4, s25
	s_waitcnt vmcnt(0) lgkmcnt(0)
	ds_write2_b64 v5, v[22:23], v[24:25] offset1:1
.LBB189_58:
	s_or_b64 exec, exec, s[14:15]
	v_mov_b32_e32 v5, 0
	v_lshl_add_u64 v[8:9], v[8:9], 0, v[4:5]
	s_lshl_b64 s[14:15], s[16:17], 4
	v_mov_b32_e32 v5, s15
	v_subrev_co_u32_e64 v8, s[14:15], s14, v8
	s_nop 1
	v_subb_co_u32_e64 v9, s[14:15], v9, v5, s[14:15]
	s_mov_b64 s[14:15], 0x210
	s_nop 0
	v_lshl_add_u64 v[8:9], v[8:9], 0, s[14:15]
	v_cndmask_b32_e32 v9, v9, v11, vcc
	v_cndmask_b32_e32 v8, v8, v10, vcc
	s_branch .LBB189_61
.LBB189_59:
                                        ; implicit-def: $vgpr8_vgpr9
	s_cbranch_execz .LBB189_61
; %bb.60:
	flat_load_dwordx4 v[22:25], v[10:11]
	s_movk_i32 s15, 0x210
	s_lshl_b32 s14, s24, 3
	v_mad_u32_u24 v5, v14, s15, v4
	s_ashr_i32 s15, s14, 31
	v_lshl_add_u64 v[8:9], s[14:15], 4, v[12:13]
	s_ashr_i32 s25, s24, 31
	s_lshl_b64 s[14:15], s[24:25], 7
	v_add_u32_e32 v12, 0x1080, v5
	s_waitcnt vmcnt(0) lgkmcnt(0)
	ds_write2_b64 v5, v[22:23], v[24:25] offset1:1
	flat_load_dwordx4 v[22:25], v[8:9] offset:512
	v_lshl_add_u64 v[8:9], v[8:9], 0, s[14:15]
	s_waitcnt vmcnt(0) lgkmcnt(0)
	ds_write2_b64 v12, v[22:23], v[24:25] offset1:1
	flat_load_dwordx4 v[22:25], v[8:9] offset:512
	v_add_u32_e32 v12, 0x2100, v5
	v_lshl_add_u64 v[8:9], v[8:9], 0, s[14:15]
	v_add_u32_e32 v5, 0x3180, v5
	s_waitcnt vmcnt(0) lgkmcnt(0)
	ds_write2_b64 v12, v[22:23], v[24:25] offset1:1
	flat_load_dwordx4 v[22:25], v[8:9] offset:512
	v_mov_b64_e32 v[8:9], v[10:11]
	s_waitcnt vmcnt(0) lgkmcnt(0)
	ds_write2_b64 v5, v[22:23], v[24:25] offset1:1
.LBB189_61:
	v_lshl_add_u32 v5, v7, 4, v43
	s_waitcnt lgkmcnt(0)
	s_barrier
	s_and_saveexec_b64 s[14:15], s[4:5]
	s_cbranch_execz .LBB189_65
; %bb.62:
	ds_read_b128 v[10:13], v15
	s_waitcnt lgkmcnt(0)
	ds_write_b128 v5, v[10:13]
	s_or_b64 exec, exec, s[14:15]
	s_and_saveexec_b64 s[4:5], s[6:7]
	s_cbranch_execnz .LBB189_66
.LBB189_63:
	s_or_b64 exec, exec, s[4:5]
	v_add_u32_e32 v12, 0x210, v20
	s_and_saveexec_b64 s[4:5], s[8:9]
	s_cbranch_execz .LBB189_67
.LBB189_64:
	ds_read_b128 v[22:25], v12
	s_waitcnt lgkmcnt(0)
	ds_write_b128 v5, v[22:25] offset:32
	s_or_b64 exec, exec, s[4:5]
	v_add_u32_e32 v13, 0x4700, v16
	s_and_saveexec_b64 s[4:5], s[10:11]
	s_cbranch_execnz .LBB189_68
	s_branch .LBB189_69
.LBB189_65:
	s_or_b64 exec, exec, s[14:15]
	s_and_saveexec_b64 s[4:5], s[6:7]
	s_cbranch_execz .LBB189_63
.LBB189_66:
	ds_read_b128 v[10:13], v20
	s_waitcnt lgkmcnt(0)
	ds_write_b128 v5, v[10:13] offset:16
	s_or_b64 exec, exec, s[4:5]
	v_add_u32_e32 v12, 0x210, v20
	s_and_saveexec_b64 s[4:5], s[8:9]
	s_cbranch_execnz .LBB189_64
.LBB189_67:
	s_or_b64 exec, exec, s[4:5]
	v_add_u32_e32 v13, 0x4700, v16
	s_and_saveexec_b64 s[4:5], s[10:11]
	s_cbranch_execz .LBB189_69
.LBB189_68:
	ds_read_b128 v[16:19], v45
	s_waitcnt lgkmcnt(0)
	ds_write_b128 v5, v[16:19] offset:48
.LBB189_69:
	s_or_b64 exec, exec, s[4:5]
	s_waitcnt lgkmcnt(0)
	s_barrier
	ds_read_b128 v[16:19], v13 offset:512
	ds_read_b128 v[22:25], v15
	ds_read_b128 v[26:29], v13 offset:528
	ds_read_b128 v[30:33], v13 offset:544
	;; [unrolled: 1-line block ×3, first 2 shown]
	ds_read_b128 v[50:53], v20
	v_cmp_eq_u32_e64 s[4:5], 1, v14
	s_waitcnt lgkmcnt(4)
	v_mul_f64 v[10:11], v[18:19], v[24:25]
	v_fma_f64 v[10:11], v[16:17], v[22:23], -v[10:11]
	v_mul_f64 v[16:17], v[16:17], v[24:25]
	v_fmac_f64_e32 v[16:17], v[18:19], v[22:23]
	v_add_f64 v[22:23], v[16:17], 0
	s_waitcnt lgkmcnt(0)
	v_mul_f64 v[16:17], v[28:29], v[52:53]
	v_fma_f64 v[24:25], v[26:27], v[50:51], -v[16:17]
	v_mul_f64 v[26:27], v[26:27], v[52:53]
	v_add_f64 v[10:11], v[10:11], 0
	ds_read_b128 v[16:19], v12
	v_fmac_f64_e32 v[26:27], v[28:29], v[50:51]
	v_add_f64 v[10:11], v[10:11], v[24:25]
	v_add_f64 v[26:27], v[22:23], v[26:27]
	ds_read_b128 v[22:25], v45
	s_waitcnt lgkmcnt(1)
	v_mul_f64 v[28:29], v[32:33], v[18:19]
	v_mul_f64 v[18:19], v[30:31], v[18:19]
	v_fma_f64 v[28:29], v[30:31], v[16:17], -v[28:29]
	v_fmac_f64_e32 v[18:19], v[32:33], v[16:17]
	s_waitcnt lgkmcnt(0)
	v_mul_f64 v[16:17], v[48:49], v[24:25]
	v_mul_f64 v[24:25], v[46:47], v[24:25]
	v_add_f64 v[10:11], v[10:11], v[28:29]
	v_add_f64 v[18:19], v[26:27], v[18:19]
	v_fma_f64 v[16:17], v[46:47], v[22:23], -v[16:17]
	v_fmac_f64_e32 v[24:25], v[48:49], v[22:23]
	v_add_f64 v[16:17], v[10:11], v[16:17]
	v_add_f64 v[18:19], v[18:19], v[24:25]
	s_barrier
	ds_write_b128 v44, v[16:19]
	s_waitcnt lgkmcnt(0)
	s_barrier
	s_and_saveexec_b64 s[6:7], s[4:5]
	s_cbranch_execz .LBB189_71
; %bb.70:
	ds_read_b128 v[0:3], v43
	ds_read_b128 v[16:19], v43 offset:16
	ds_read_b128 v[22:25], v43 offset:32
	;; [unrolled: 1-line block ×3, first 2 shown]
	s_waitcnt lgkmcnt(2)
	v_add_f64 v[0:1], v[16:17], v[0:1]
	v_add_f64 v[10:11], v[18:19], v[2:3]
	s_waitcnt lgkmcnt(1)
	v_add_f64 v[16:17], v[0:1], v[22:23]
	ds_read_b128 v[0:3], v43 offset:64
	v_add_f64 v[10:11], v[10:11], v[24:25]
	s_waitcnt lgkmcnt(1)
	v_add_f64 v[22:23], v[16:17], v[26:27]
	ds_read_b128 v[16:19], v43 offset:80
	;; [unrolled: 4-line block ×3, first 2 shown]
	v_add_f64 v[10:11], v[10:11], v[2:3]
	ds_read_b128 v[0:3], v43 offset:112
	s_waitcnt lgkmcnt(2)
	v_add_f64 v[16:17], v[26:27], v[16:17]
	v_add_f64 v[10:11], v[10:11], v[18:19]
	s_waitcnt lgkmcnt(1)
	v_add_f64 v[16:17], v[16:17], v[22:23]
	v_add_f64 v[10:11], v[10:11], v[24:25]
	;; [unrolled: 3-line block ×3, first 2 shown]
.LBB189_71:
	s_or_b64 exec, exec, s[6:7]
	s_movk_i32 s6, 0xfe00
	s_mov_b32 s7, -1
	v_lshl_add_u64 v[8:9], v[8:9], 0, s[6:7]
	s_and_b64 vcc, exec, s[30:31]
	s_barrier
	s_cbranch_vccz .LBB189_89
; %bb.72:
	v_sub_co_u32_e32 v10, vcc, v8, v4
	s_ashr_i32 s17, s16, 31
	s_nop 0
	v_subbrev_co_u32_e32 v11, vcc, 0, v9, vcc
	v_lshl_add_u64 v[10:11], s[16:17], 4, v[10:11]
	v_lshl_add_u64 v[10:11], v[10:11], 0, -16
	v_cmp_gt_i32_e32 vcc, s16, v6
	s_sub_i32 s8, s16, 32
	s_movk_i32 s9, 0x210
	v_cndmask_b32_e32 v7, v11, v9, vcc
	v_cndmask_b32_e32 v6, v10, v8, vcc
	v_cmp_le_i32_e64 s[6:7], s8, v14
	v_mad_u32_u24 v10, v14, s9, v4
	s_and_saveexec_b64 s[10:11], s[6:7]
	s_xor_b64 s[6:7], exec, s[10:11]
; %bb.73:
	v_mov_b32_e32 v16, 0
	v_mov_b32_e32 v17, v16
	;; [unrolled: 1-line block ×4, first 2 shown]
	ds_write_b128 v10, v[16:19]
                                        ; implicit-def: $vgpr10
; %bb.74:
	s_or_saveexec_b64 s[6:7], s[6:7]
	v_mul_u32_u24_e32 v5, 0x210, v14
	s_xor_b64 exec, exec, s[6:7]
	s_cbranch_execz .LBB189_76
; %bb.75:
	flat_load_dwordx4 v[16:19], v[6:7]
	s_waitcnt vmcnt(0) lgkmcnt(0)
	ds_write2_b64 v10, v[16:17], v[18:19] offset1:1
.LBB189_76:
	s_or_b64 exec, exec, s[6:7]
	v_add_u32_e32 v10, 8, v14
	v_cmp_le_i32_e64 s[6:7], s8, v10
	v_add_u32_e32 v17, v5, v4
	s_and_saveexec_b64 s[10:11], s[6:7]
	s_xor_b64 s[6:7], exec, s[10:11]
; %bb.77:
	v_mov_b32_e32 v22, 0
	v_mov_b32_e32 v23, v22
	;; [unrolled: 1-line block ×4, first 2 shown]
	ds_write_b128 v17, v[22:25] offset:4224
; %bb.78:
	s_andn2_saveexec_b64 s[6:7], s[6:7]
	s_cbranch_execz .LBB189_80
; %bb.79:
	s_lshl_b32 s10, s24, 3
	s_ashr_i32 s11, s10, 31
	v_lshl_add_u64 v[18:19], s[10:11], 4, v[6:7]
	flat_load_dwordx4 v[22:25], v[18:19]
	s_movk_i32 s9, 0x1080
	v_add3_u32 v11, v5, v4, s9
	s_waitcnt vmcnt(0) lgkmcnt(0)
	ds_write2_b64 v11, v[22:23], v[24:25] offset1:1
.LBB189_80:
	s_or_b64 exec, exec, s[6:7]
	v_add_u32_e32 v11, 16, v14
	v_cmp_le_i32_e64 s[6:7], s8, v11
	s_and_saveexec_b64 s[10:11], s[6:7]
	s_xor_b64 s[6:7], exec, s[10:11]
; %bb.81:
	v_mov_b32_e32 v22, 0
	v_mov_b32_e32 v23, v22
	;; [unrolled: 1-line block ×4, first 2 shown]
	ds_write_b128 v17, v[22:25] offset:8448
; %bb.82:
	s_andn2_saveexec_b64 s[6:7], s[6:7]
	s_cbranch_execz .LBB189_84
; %bb.83:
	s_lshl_b32 s10, s24, 4
	s_ashr_i32 s11, s10, 31
	v_lshl_add_u64 v[18:19], s[10:11], 4, v[6:7]
	flat_load_dwordx4 v[22:25], v[18:19]
	s_movk_i32 s9, 0x2100
	v_add3_u32 v16, v5, v4, s9
	s_waitcnt vmcnt(0) lgkmcnt(0)
	ds_write2_b64 v16, v[22:23], v[24:25] offset1:1
.LBB189_84:
	s_or_b64 exec, exec, s[6:7]
	v_add_u32_e32 v16, 24, v14
	v_cmp_le_i32_e64 s[6:7], s8, v16
	s_and_saveexec_b64 s[8:9], s[6:7]
	s_xor_b64 s[6:7], exec, s[8:9]
; %bb.85:
	v_mov_b32_e32 v22, 0
	v_mov_b32_e32 v23, v22
	;; [unrolled: 1-line block ×4, first 2 shown]
	ds_write_b128 v17, v[22:25] offset:12672
                                        ; implicit-def: $vgpr5
; %bb.86:
	s_andn2_saveexec_b64 s[6:7], s[6:7]
	s_cbranch_execz .LBB189_88
; %bb.87:
	s_mul_i32 s8, s24, 24
	s_ashr_i32 s9, s8, 31
	v_lshl_add_u64 v[18:19], s[8:9], 4, v[6:7]
	flat_load_dwordx4 v[22:25], v[18:19]
	s_movk_i32 s8, 0x3180
	v_add3_u32 v5, v5, v4, s8
	s_waitcnt vmcnt(0) lgkmcnt(0)
	ds_write2_b64 v5, v[22:23], v[24:25] offset1:1
.LBB189_88:
	s_or_b64 exec, exec, s[6:7]
	v_mov_b32_e32 v5, 0
	v_lshl_add_u64 v[6:7], v[6:7], 0, v[4:5]
	s_lshl_b64 s[6:7], s[16:17], 4
	v_mov_b32_e32 v5, s7
	v_subrev_co_u32_e64 v6, s[6:7], s6, v6
	s_nop 1
	v_subb_co_u32_e64 v7, s[6:7], v7, v5, s[6:7]
	v_lshl_add_u64 v[6:7], v[6:7], 0, 16
	v_cndmask_b32_e32 v41, v7, v9, vcc
	v_cndmask_b32_e32 v40, v6, v8, vcc
	s_branch .LBB189_91
.LBB189_89:
                                        ; implicit-def: $vgpr40_vgpr41
                                        ; implicit-def: $vgpr10
                                        ; implicit-def: $vgpr11
                                        ; implicit-def: $vgpr16
	s_cbranch_execz .LBB189_91
; %bb.90:
	flat_load_dwordx4 v[16:19], v[8:9]
	s_movk_i32 s7, 0x210
	s_lshl_b32 s6, s24, 3
	v_mad_u32_u24 v21, v14, s7, v4
	s_ashr_i32 s7, s6, 31
	v_lshl_add_u64 v[10:11], s[6:7], 4, v[8:9]
	s_ashr_i32 s25, s24, 31
	s_lshl_b64 s[6:7], s[24:25], 7
	v_mov_b64_e32 v[40:41], v[8:9]
	s_waitcnt vmcnt(0) lgkmcnt(0)
	ds_write2_b64 v21, v[16:17], v[18:19] offset1:1
	flat_load_dwordx4 v[4:7], v[10:11]
	v_add_u32_e32 v16, 0x1080, v21
	v_lshl_add_u64 v[10:11], v[10:11], 0, s[6:7]
	v_add_u32_e32 v17, 0x3180, v21
	s_waitcnt vmcnt(0) lgkmcnt(0)
	ds_write2_b64 v16, v[4:5], v[6:7] offset1:1
	flat_load_dwordx4 v[4:7], v[10:11]
	v_add_u32_e32 v16, 0x2100, v21
	v_lshl_add_u64 v[10:11], v[10:11], 0, s[6:7]
	s_waitcnt vmcnt(0) lgkmcnt(0)
	ds_write2_b64 v16, v[4:5], v[6:7] offset1:1
	flat_load_dwordx4 v[4:7], v[10:11]
	v_add_u32_e32 v10, 8, v14
	v_add_u32_e32 v11, 16, v14
	;; [unrolled: 1-line block ×3, first 2 shown]
	s_waitcnt vmcnt(0) lgkmcnt(0)
	ds_write2_b64 v17, v[4:5], v[6:7] offset1:1
.LBB189_91:
	v_lshlrev_b32_e32 v8, 4, v14
	v_add_u32_e32 v4, v43, v8
	s_waitcnt lgkmcnt(0)
	s_barrier
	ds_read_b128 v[4:7], v4
	ds_read_b128 v[22:25], v8 offset:18176
	v_lshlrev_b32_e32 v8, 4, v10
	v_add_u32_e32 v9, v43, v8
	ds_read_b128 v[46:49], v9
	ds_read_b128 v[26:29], v8 offset:18176
	s_waitcnt lgkmcnt(2)
	v_mul_f64 v[8:9], v[6:7], v[24:25]
	v_fma_f64 v[8:9], v[4:5], v[22:23], -v[8:9]
	v_mul_f64 v[66:67], v[4:5], v[24:25]
	v_add_f64 v[4:5], v[8:9], 0
	s_waitcnt lgkmcnt(0)
	v_mul_f64 v[8:9], v[48:49], v[28:29]
	v_fma_f64 v[8:9], v[46:47], v[26:27], -v[8:9]
	v_add_f64 v[4:5], v[4:5], v[8:9]
	v_lshlrev_b32_e32 v8, 4, v11
	v_add_u32_e32 v9, v43, v8
	ds_read_b128 v[50:53], v9
	ds_read_b128 v[54:57], v8 offset:18176
	v_lshlrev_b32_e32 v8, 4, v16
	v_add_u32_e32 v9, v43, v8
	ds_read_b128 v[58:61], v9
	ds_read_b128 v[62:65], v8 offset:18176
	v_mul_f64 v[68:69], v[46:47], v[28:29]
	s_waitcnt lgkmcnt(2)
	v_mul_f64 v[8:9], v[52:53], v[56:57]
	v_fma_f64 v[8:9], v[50:51], v[54:55], -v[8:9]
	v_add_f64 v[4:5], v[4:5], v[8:9]
	s_waitcnt lgkmcnt(0)
	v_mul_f64 v[8:9], v[60:61], v[64:65]
	v_fma_f64 v[8:9], v[58:59], v[62:63], -v[8:9]
	v_fmac_f64_e32 v[66:67], v[6:7], v[22:23]
	v_add_f64 v[46:47], v[4:5], v[8:9]
	ds_read_b128 v[16:19], v13 offset:528
	ds_read_b128 v[8:11], v13 offset:544
	;; [unrolled: 1-line block ×3, first 2 shown]
	ds_read_b128 v[32:35], v15
	v_fmac_f64_e32 v[68:69], v[48:49], v[26:27]
	v_add_f64 v[14:15], v[66:67], 0
	ds_read_b128 v[4:7], v13 offset:560
	ds_read_b128 v[24:27], v20
	v_add_f64 v[48:49], v[14:15], v[68:69]
	ds_read_b128 v[20:23], v12
	ds_read_b128 v[12:15], v45
	v_mul_f64 v[50:51], v[50:51], v[56:57]
	v_mul_f64 v[56:57], v[58:59], v[64:65]
	v_fmac_f64_e32 v[50:51], v[52:53], v[54:55]
	v_add_f64 v[48:49], v[48:49], v[50:51]
	v_fmac_f64_e32 v[56:57], v[60:61], v[62:63]
	v_add_f64 v[48:49], v[48:49], v[56:57]
	s_waitcnt lgkmcnt(0)
	s_barrier
	ds_write_b128 v44, v[46:49]
	s_waitcnt lgkmcnt(0)
	s_barrier
	s_and_saveexec_b64 s[6:7], s[4:5]
	s_cbranch_execz .LBB189_93
; %bb.92:
	ds_read_b128 v[46:49], v43
	ds_read_b128 v[50:53], v43 offset:16
	ds_read_b128 v[54:57], v43 offset:32
	;; [unrolled: 1-line block ×3, first 2 shown]
	s_waitcnt lgkmcnt(3)
	v_add_f64 v[0:1], v[0:1], v[46:47]
	v_add_f64 v[2:3], v[2:3], v[48:49]
	s_waitcnt lgkmcnt(2)
	v_add_f64 v[0:1], v[0:1], v[50:51]
	v_add_f64 v[46:47], v[2:3], v[52:53]
	s_waitcnt lgkmcnt(1)
	v_add_f64 v[48:49], v[0:1], v[54:55]
	ds_read_b128 v[0:3], v43 offset:64
	v_add_f64 v[46:47], v[46:47], v[56:57]
	s_waitcnt lgkmcnt(1)
	v_add_f64 v[50:51], v[48:49], v[58:59]
	v_add_f64 v[54:55], v[46:47], v[60:61]
	ds_read_b128 v[46:49], v43 offset:80
	s_waitcnt lgkmcnt(1)
	v_add_f64 v[56:57], v[50:51], v[0:1]
	ds_read_b128 v[50:53], v43 offset:96
	v_add_f64 v[54:55], v[54:55], v[2:3]
	ds_read_b128 v[0:3], v43 offset:112
	s_waitcnt lgkmcnt(2)
	v_add_f64 v[46:47], v[56:57], v[46:47]
	v_add_f64 v[48:49], v[54:55], v[48:49]
	s_waitcnt lgkmcnt(1)
	v_add_f64 v[46:47], v[46:47], v[50:51]
	v_add_f64 v[48:49], v[48:49], v[52:53]
	;; [unrolled: 3-line block ×3, first 2 shown]
.LBB189_93:
	s_or_b64 exec, exec, s[6:7]
	v_mul_f64 v[46:47], v[30:31], v[34:35]
	v_fma_f64 v[46:47], v[28:29], v[32:33], -v[46:47]
	v_mul_f64 v[28:29], v[28:29], v[34:35]
	v_fmac_f64_e32 v[28:29], v[30:31], v[32:33]
	v_mul_f64 v[32:33], v[18:19], v[26:27]
	v_fma_f64 v[32:33], v[16:17], v[24:25], -v[32:33]
	v_mul_f64 v[16:17], v[16:17], v[26:27]
	v_fmac_f64_e32 v[16:17], v[18:19], v[24:25]
	v_mul_f64 v[24:25], v[10:11], v[22:23]
	v_add_f64 v[28:29], v[28:29], 0
	v_fma_f64 v[24:25], v[8:9], v[20:21], -v[24:25]
	v_mul_f64 v[8:9], v[8:9], v[22:23]
	v_add_f64 v[30:31], v[46:47], 0
	v_add_f64 v[16:17], v[28:29], v[16:17]
	v_fmac_f64_e32 v[8:9], v[10:11], v[20:21]
	v_add_f64 v[18:19], v[30:31], v[32:33]
	v_add_f64 v[8:9], v[16:17], v[8:9]
	v_mul_f64 v[16:17], v[6:7], v[14:15]
	v_mul_f64 v[14:15], v[4:5], v[14:15]
	v_add_f64 v[10:11], v[18:19], v[24:25]
	v_fma_f64 v[16:17], v[4:5], v[12:13], -v[16:17]
	v_fmac_f64_e32 v[14:15], v[6:7], v[12:13]
	v_add_f64 v[4:5], v[10:11], v[16:17]
	v_add_f64 v[6:7], v[8:9], v[14:15]
	s_barrier
	ds_write_b128 v44, v[4:7]
	s_waitcnt lgkmcnt(0)
	s_barrier
	s_and_saveexec_b64 s[4:5], s[0:1]
	s_cbranch_execz .LBB189_95
; %bb.94:
	ds_read_b128 v[4:7], v43
	ds_read_b128 v[8:11], v43 offset:16
	ds_read_b128 v[12:15], v43 offset:32
	;; [unrolled: 1-line block ×3, first 2 shown]
	s_waitcnt lgkmcnt(3)
	v_add_f64 v[0:1], v[0:1], v[4:5]
	v_add_f64 v[2:3], v[2:3], v[6:7]
	s_waitcnt lgkmcnt(2)
	v_add_f64 v[0:1], v[0:1], v[8:9]
	v_add_f64 v[4:5], v[2:3], v[10:11]
	s_waitcnt lgkmcnt(1)
	v_add_f64 v[6:7], v[0:1], v[12:13]
	ds_read_b128 v[0:3], v43 offset:64
	v_add_f64 v[4:5], v[4:5], v[14:15]
	s_waitcnt lgkmcnt(1)
	v_add_f64 v[8:9], v[6:7], v[16:17]
	v_add_f64 v[12:13], v[4:5], v[18:19]
	ds_read_b128 v[4:7], v43 offset:80
	s_waitcnt lgkmcnt(1)
	v_add_f64 v[14:15], v[8:9], v[0:1]
	ds_read_b128 v[8:11], v43 offset:96
	v_add_f64 v[12:13], v[12:13], v[2:3]
	ds_read_b128 v[0:3], v43 offset:112
	s_waitcnt lgkmcnt(2)
	v_add_f64 v[4:5], v[14:15], v[4:5]
	v_add_f64 v[6:7], v[12:13], v[6:7]
	s_waitcnt lgkmcnt(1)
	v_add_f64 v[4:5], v[4:5], v[8:9]
	v_add_f64 v[6:7], v[6:7], v[10:11]
	;; [unrolled: 3-line block ×3, first 2 shown]
.LBB189_95:
	s_or_b64 exec, exec, s[4:5]
	s_mul_hi_u32 s0, s21, s20
	s_mul_i32 s35, s35, s20
	s_add_i32 s0, s0, s35
	s_mul_i32 s4, s21, s20
	s_mul_i32 s0, s0, s3
	s_mul_hi_u32 s1, s4, s3
	s_add_i32 s1, s1, s0
	s_mul_i32 s0, s4, s3
	s_lshl_b64 s[0:1], s[0:1], 4
	s_add_u32 s4, s22, s0
	s_addc_u32 s5, s23, s1
	s_mul_hi_i32 s1, s21, s2
	s_mul_i32 s0, s21, s2
	s_lshl_b64 s[0:1], s[0:1], 4
	s_add_u32 s6, s4, s0
	s_addc_u32 s7, s5, s1
	s_add_i32 s4, s2, 1
	s_cmp_ge_u32 s4, s3
	v_lshlrev_b32_e32 v167, 4, v166
	s_barrier
	s_cbranch_scc1 .LBB189_153
; %bb.96:
	s_mul_i32 s0, s34, s26
	v_lshrrev_b32_e32 v6, 4, v42
	v_mov_b32_e32 v8, 0x4300
	s_ashr_i32 s1, s0, 31
	v_lshl_add_u32 v216, v165, 6, v8
	v_lshlrev_b32_e32 v8, 6, v6
	v_mul_i32_i24_e32 v12, 0xffffffd0, v6
	v_and_b32_e32 v6, 48, v166
	s_lshl_b64 s[0:1], s[0:1], 4
	v_and_b32_e32 v7, 15, v166
	s_movk_i32 s5, 0x430
	v_lshlrev_b32_e32 v6, 4, v6
	v_lshlrev_b32_e32 v214, 2, v165
	v_mov_b32_e32 v4, s1
	v_subrev_co_u32_e32 v168, vcc, s0, v38
	s_lshl_b32 s26, s34, 6
	s_lshl_b32 s20, s24, 4
	v_mad_u32_u24 v220, v7, s5, v6
	v_or_b32_e32 v6, 0xf0, v167
	s_ashr_i32 s25, s24, 31
	s_lshl_b32 s22, s24, 1
	s_mul_i32 s30, s24, 3
	s_mul_i32 s34, s34, s4
	v_subb_co_u32_e32 v169, vcc, v39, v4, vcc
	v_mad_u64_u32 v[4:5], s[0:1], s24, v214, v[166:167]
	s_add_i32 s17, s3, -2
	v_mad_u32_u24 v219, v7, s5, v8
	s_ashr_i32 s21, s20, 31
	v_mad_u32_u24 v221, v7, s5, v6
	s_ashr_i32 s23, s22, 31
	s_ashr_i32 s31, s30, 31
	s_lshl_b64 s[14:15], s[24:25], 4
	s_lshl_b32 s8, s34, 6
	v_lshlrev_b64 v[6:7], 4, v[36:37]
	s_lshl_b64 s[34:35], s[24:25], 5
	s_lshl_b64 s[36:37], s[28:29], 4
	v_ashrrev_i32_e32 v5, 31, v4
	v_sub_co_u32_e32 v170, vcc, 0, v6
	s_add_u32 s4, s34, s36
	s_nop 0
	v_subb_co_u32_e32 v171, vcc, 0, v7, vcc
	s_addc_u32 s5, s35, s37
	v_lshlrev_b64 v[6:7], 4, v[4:5]
	v_lshl_add_u64 v[4:5], s[28:29], 0, v[4:5]
	v_lshl_add_u64 v[8:9], s[4:5], 0, v[6:7]
	v_lshlrev_b64 v[4:5], 4, v[4:5]
	v_lshl_add_u64 v[172:173], v[40:41], 0, v[8:9]
	s_mul_i32 s9, s24, 0x300
	v_mad_i64_i32 v[8:9], s[24:25], s20, 48, v[4:5]
	s_lshl_b64 s[10:11], s[20:21], 6
	s_lshl_b64 s[24:25], s[30:31], 4
	s_add_u32 s28, s14, s36
	v_lshl_add_u64 v[10:11], v[8:9], 0, s[24:25]
	s_addc_u32 s29, s15, s37
	v_lshl_add_u64 v[174:175], v[40:41], 0, v[10:11]
	v_lshl_add_u64 v[10:11], s[28:29], 0, v[6:7]
	s_lshl_b64 s[22:23], s[22:23], 4
	v_lshl_add_u64 v[176:177], v[40:41], 0, v[10:11]
	v_lshl_add_u64 v[10:11], v[8:9], 0, s[22:23]
	s_add_u32 s30, s36, s22
	v_lshl_add_u64 v[178:179], v[40:41], 0, v[10:11]
	v_lshl_add_u64 v[10:11], s[36:37], 0, v[6:7]
	s_addc_u32 s31, s37, s23
	v_lshl_add_u64 v[180:181], v[40:41], 0, v[10:11]
	v_lshl_add_u64 v[10:11], s[30:31], 0, v[6:7]
	s_add_u32 s30, s36, s24
	v_lshl_add_u64 v[182:183], v[40:41], 0, v[8:9]
	v_lshl_add_u64 v[8:9], v[8:9], 0, s[14:15]
	s_addc_u32 s31, s37, s25
	v_lshl_add_u64 v[186:187], v[40:41], 0, v[8:9]
	v_lshl_add_u64 v[8:9], s[30:31], 0, v[6:7]
	s_lshl_b64 s[30:31], s[20:21], 4
	s_add_u32 s38, s4, s30
	s_addc_u32 s39, s5, s31
	s_mul_hi_i32 s27, s20, 48
	s_add_u32 s34, s9, s34
	s_addc_u32 s35, s27, s35
	s_lshl_b64 s[20:21], s[20:21], 5
	v_lshl_add_u64 v[4:5], s[34:35], 0, v[4:5]
	s_add_u32 s34, s20, s36
	s_addc_u32 s35, s21, s37
	v_lshl_add_u64 v[188:189], v[40:41], 0, v[8:9]
	v_lshl_add_u64 v[8:9], s[38:39], 0, v[6:7]
	s_add_u32 s38, s34, s24
	s_addc_u32 s39, s35, s25
	s_add_u32 s28, s28, s30
	v_lshl_add_u64 v[192:193], v[40:41], 0, v[4:5]
	v_lshl_add_u64 v[4:5], s[38:39], 0, v[6:7]
	s_addc_u32 s29, s29, s31
	v_lshl_add_u64 v[194:195], v[40:41], 0, v[4:5]
	v_lshl_add_u64 v[4:5], s[28:29], 0, v[6:7]
	s_add_u32 s28, s34, s22
	s_addc_u32 s29, s35, s23
	v_lshl_add_u64 v[196:197], v[40:41], 0, v[4:5]
	v_lshl_add_u64 v[4:5], s[28:29], 0, v[6:7]
	s_add_u32 s28, s36, s30
	s_addc_u32 s29, s37, s31
	s_add_u32 s22, s28, s22
	v_lshl_add_u64 v[198:199], v[40:41], 0, v[4:5]
	v_lshl_add_u64 v[4:5], s[28:29], 0, v[6:7]
	s_addc_u32 s23, s29, s23
	v_lshl_add_u64 v[200:201], v[40:41], 0, v[4:5]
	v_lshl_add_u64 v[4:5], s[34:35], 0, v[6:7]
	s_add_u32 s14, s34, s14
	v_lshl_add_u64 v[202:203], v[40:41], 0, v[4:5]
	v_lshl_add_u64 v[4:5], s[22:23], 0, v[6:7]
	s_addc_u32 s15, s35, s15
	v_lshl_add_u64 v[204:205], v[40:41], 0, v[4:5]
	v_lshl_add_u64 v[4:5], s[14:15], 0, v[6:7]
	s_add_u32 s14, s28, s24
	s_addc_u32 s15, s29, s25
	s_add_u32 s4, s4, s20
	v_lshl_add_u64 v[206:207], v[40:41], 0, v[4:5]
	v_lshl_add_u64 v[4:5], s[14:15], 0, v[6:7]
	s_addc_u32 s5, s5, s21
	s_movk_i32 s0, 0x10c0
	v_lshl_add_u64 v[208:209], v[40:41], 0, v[4:5]
	v_lshl_add_u64 v[4:5], s[4:5], 0, v[6:7]
	v_mov_b32_e32 v238, 0
	v_add_u32_e32 v215, 0x4300, v167
	v_add_u32_e32 v217, 0x4700, v167
	v_mad_u32_u24 v218, v165, s0, v167
	v_cmp_gt_u32_e64 s[0:1], 64, v42
	v_or_b32_e32 v222, 1, v214
	v_or_b32_e32 v223, 2, v214
	;; [unrolled: 1-line block ×3, first 2 shown]
	v_add_u32_e32 v225, 16, v214
	v_add_u32_e32 v226, 17, v214
	;; [unrolled: 1-line block ×4, first 2 shown]
	v_lshl_add_u64 v[184:185], v[40:41], 0, v[10:11]
	v_lshl_add_u64 v[190:191], v[40:41], 0, v[8:9]
	;; [unrolled: 1-line block ×3, first 2 shown]
	v_add_u32_e32 v229, 32, v214
	v_add_u32_e32 v230, 33, v214
	;; [unrolled: 1-line block ×3, first 2 shown]
	v_mov_b32_e32 v239, v238
	v_mov_b32_e32 v240, v238
	;; [unrolled: 1-line block ×3, first 2 shown]
	v_add_u32_e32 v232, 34, v214
	v_add_u32_e32 v233, 35, v214
	;; [unrolled: 1-line block ×7, first 2 shown]
	s_cmp_eq_u32 s17, s2
	s_cselect_b32 s24, s33, 0
	s_and_saveexec_b64 s[4:5], s[12:13]
	s_cbranch_execz .LBB189_102
	s_branch .LBB189_98
.LBB189_97:                             ;   in Loop: Header=BB189_102 Depth=1
	s_mov_b32 s2, s4
	s_cmp_eq_u32 s17, s2
	s_cselect_b32 s24, s33, 0
	s_and_saveexec_b64 s[4:5], s[12:13]
	s_cbranch_execz .LBB189_102
.LBB189_98:
	s_cmp_lg_u32 s24, 0
	s_cselect_b64 s[14:15], -1, 0
	v_cmp_le_i32_e32 vcc, s24, v166
	s_and_b64 s[14:15], s[14:15], vcc
	s_and_saveexec_b64 s[20:21], s[14:15]
	s_xor_b64 s[14:15], exec, s[20:21]
; %bb.99:
	ds_write_b128 v215, v[238:241]
; %bb.100:
	s_andn2_saveexec_b64 s[14:15], s[14:15]
	s_cbranch_execz .LBB189_102
; %bb.101:
	s_ashr_i32 s9, s8, 31
	v_lshl_add_u64 v[4:5], s[8:9], 4, v[168:169]
	flat_load_dwordx4 v[4:7], v[4:5]
	s_waitcnt vmcnt(0) lgkmcnt(0)
	ds_write2_b64 v215, v[4:5], v[6:7] offset1:1
.LBB189_102:                            ; =>This Inner Loop Header: Depth=1
	s_or_b64 exec, exec, s[4:5]
	s_cmp_eq_u32 s24, 0
	s_cselect_b64 s[14:15], -1, 0
	s_cmp_lg_u32 s24, 0
	s_cselect_b64 s[20:21], -1, 0
	v_lshl_add_u64 v[16:17], v[180:181], 0, v[170:171]
	s_and_b64 vcc, exec, s[20:21]
	s_waitcnt lgkmcnt(0)
	s_barrier
	s_cbranch_vccz .LBB189_110
; %bb.103:                              ;   in Loop: Header=BB189_102 Depth=1
	v_cmp_gt_i32_e32 vcc, s24, v214
	v_mov_b64_e32 v[8:9], 0
	v_mov_b64_e32 v[4:5], 0
	;; [unrolled: 1-line block ×3, first 2 shown]
	s_and_saveexec_b64 s[4:5], vcc
	s_cbranch_execz .LBB189_105
; %bb.104:                              ;   in Loop: Header=BB189_102 Depth=1
	flat_load_dwordx4 v[4:7], v[16:17]
.LBB189_105:                            ;   in Loop: Header=BB189_102 Depth=1
	s_or_b64 exec, exec, s[4:5]
	v_cmp_gt_i32_e32 vcc, s24, v222
	v_mov_b64_e32 v[10:11], 0
	s_and_saveexec_b64 s[4:5], vcc
	s_cbranch_execz .LBB189_107
; %bb.106:                              ;   in Loop: Header=BB189_102 Depth=1
	v_lshl_add_u64 v[8:9], v[176:177], 0, v[170:171]
	flat_load_dwordx4 v[8:11], v[8:9]
.LBB189_107:                            ;   in Loop: Header=BB189_102 Depth=1
	s_or_b64 exec, exec, s[4:5]
	v_cmp_gt_i32_e32 vcc, s24, v223
	v_mov_b64_e32 v[12:13], 0
	v_mov_b64_e32 v[14:15], 0
	s_and_saveexec_b64 s[4:5], vcc
	s_cbranch_execz .LBB189_109
; %bb.108:                              ;   in Loop: Header=BB189_102 Depth=1
	v_lshl_add_u64 v[12:13], v[184:185], 0, v[170:171]
	flat_load_dwordx4 v[12:15], v[12:13]
.LBB189_109:                            ;   in Loop: Header=BB189_102 Depth=1
	s_or_b64 exec, exec, s[4:5]
	v_cmp_gt_i32_e64 s[4:5], s24, v224
	s_branch .LBB189_112
.LBB189_110:                            ;   in Loop: Header=BB189_102 Depth=1
	s_mov_b64 s[4:5], 0
                                        ; implicit-def: $vgpr14_vgpr15
                                        ; implicit-def: $vgpr10_vgpr11
                                        ; implicit-def: $vgpr6_vgpr7
	s_cbranch_execz .LBB189_112
; %bb.111:                              ;   in Loop: Header=BB189_102 Depth=1
	s_waitcnt vmcnt(0) lgkmcnt(0)
	v_lshl_add_u64 v[8:9], v[176:177], 0, v[170:171]
	v_lshl_add_u64 v[12:13], v[172:173], 0, v[170:171]
	flat_load_dwordx4 v[4:7], v[16:17]
	s_or_b64 s[4:5], s[4:5], exec
	flat_load_dwordx4 v[8:11], v[8:9]
	s_nop 0
	flat_load_dwordx4 v[12:15], v[12:13]
.LBB189_112:                            ;   in Loop: Header=BB189_102 Depth=1
	v_mov_b64_e32 v[16:17], 0
	v_mov_b64_e32 v[18:19], 0
	s_and_saveexec_b64 s[22:23], s[4:5]
	s_cbranch_execz .LBB189_114
; %bb.113:                              ;   in Loop: Header=BB189_102 Depth=1
	v_lshl_add_u64 v[16:17], v[188:189], 0, v[170:171]
	flat_load_dwordx4 v[16:19], v[16:17]
.LBB189_114:                            ;   in Loop: Header=BB189_102 Depth=1
	s_or_b64 exec, exec, s[22:23]
	ds_read_b128 v[36:39], v217
	ds_read_b128 v[32:35], v216
	ds_read_b128 v[28:31], v216 offset:16
	ds_read_b128 v[24:27], v216 offset:32
	;; [unrolled: 1-line block ×3, first 2 shown]
	s_waitcnt vmcnt(0) lgkmcnt(0)
	v_mul_f64 v[40:41], v[6:7], v[38:39]
	v_mul_f64 v[42:43], v[4:5], v[38:39]
	v_fma_f64 v[40:41], v[4:5], v[36:37], -v[40:41]
	v_fmac_f64_e32 v[42:43], v[6:7], v[36:37]
	ds_write_b128 v218, v[40:43]
	v_mul_f64 v[40:41], v[10:11], v[38:39]
	v_mul_f64 v[42:43], v[8:9], v[38:39]
	v_fma_f64 v[40:41], v[8:9], v[36:37], -v[40:41]
	v_fmac_f64_e32 v[42:43], v[10:11], v[36:37]
	ds_write_b128 v218, v[40:43] offset:1072
	v_mul_f64 v[40:41], v[14:15], v[38:39]
	v_mul_f64 v[42:43], v[12:13], v[38:39]
	v_fma_f64 v[40:41], v[12:13], v[36:37], -v[40:41]
	v_fmac_f64_e32 v[42:43], v[14:15], v[36:37]
	ds_write_b128 v218, v[40:43] offset:2144
	;; [unrolled: 5-line block ×3, first 2 shown]
	s_waitcnt lgkmcnt(0)
	s_barrier
	ds_read_b128 v[92:95], v219
	ds_read_b128 v[88:91], v219 offset:16
	ds_read_b128 v[84:87], v219 offset:32
	;; [unrolled: 1-line block ×3, first 2 shown]
	v_cndmask_b32_e64 v36, 0, 1, s[20:21]
	v_cmp_ne_u32_e64 s[4:5], 1, v36
	s_andn2_b64 vcc, exec, s[20:21]
	v_lshl_add_u64 v[48:49], v[200:201], 0, v[170:171]
	s_waitcnt lgkmcnt(0)
	s_barrier
	s_cbranch_vccnz .LBB189_122
; %bb.115:                              ;   in Loop: Header=BB189_102 Depth=1
	v_cmp_gt_i32_e32 vcc, s24, v225
	v_mov_b64_e32 v[40:41], 0
	v_mov_b64_e32 v[36:37], 0
	;; [unrolled: 1-line block ×3, first 2 shown]
	s_and_saveexec_b64 s[20:21], vcc
	s_cbranch_execz .LBB189_117
; %bb.116:                              ;   in Loop: Header=BB189_102 Depth=1
	flat_load_dwordx4 v[36:39], v[48:49]
.LBB189_117:                            ;   in Loop: Header=BB189_102 Depth=1
	s_or_b64 exec, exec, s[20:21]
	v_cmp_gt_i32_e32 vcc, s24, v226
	v_mov_b64_e32 v[42:43], 0
	s_and_saveexec_b64 s[20:21], vcc
	s_cbranch_execz .LBB189_119
; %bb.118:                              ;   in Loop: Header=BB189_102 Depth=1
	v_lshl_add_u64 v[40:41], v[196:197], 0, v[170:171]
	flat_load_dwordx4 v[40:43], v[40:41]
.LBB189_119:                            ;   in Loop: Header=BB189_102 Depth=1
	s_or_b64 exec, exec, s[20:21]
	v_cmp_gt_i32_e32 vcc, s24, v227
	v_mov_b64_e32 v[44:45], 0
	v_mov_b64_e32 v[46:47], 0
	s_and_saveexec_b64 s[20:21], vcc
	s_cbranch_execz .LBB189_121
; %bb.120:                              ;   in Loop: Header=BB189_102 Depth=1
	v_lshl_add_u64 v[44:45], v[204:205], 0, v[170:171]
	flat_load_dwordx4 v[44:47], v[44:45]
.LBB189_121:                            ;   in Loop: Header=BB189_102 Depth=1
	s_or_b64 exec, exec, s[20:21]
	v_cmp_gt_i32_e64 s[20:21], s24, v228
	s_branch .LBB189_124
.LBB189_122:                            ;   in Loop: Header=BB189_102 Depth=1
	s_mov_b64 s[20:21], 0
                                        ; implicit-def: $vgpr46_vgpr47
                                        ; implicit-def: $vgpr42_vgpr43
                                        ; implicit-def: $vgpr38_vgpr39
	s_cbranch_execz .LBB189_124
; %bb.123:                              ;   in Loop: Header=BB189_102 Depth=1
	s_waitcnt vmcnt(0) lgkmcnt(0)
	v_lshl_add_u64 v[40:41], v[196:197], 0, v[170:171]
	v_lshl_add_u64 v[44:45], v[190:191], 0, v[170:171]
	flat_load_dwordx4 v[36:39], v[48:49]
	s_or_b64 s[20:21], s[20:21], exec
	flat_load_dwordx4 v[40:43], v[40:41]
	s_nop 0
	flat_load_dwordx4 v[44:47], v[44:45]
.LBB189_124:                            ;   in Loop: Header=BB189_102 Depth=1
	v_mov_b64_e32 v[48:49], 0
	v_mov_b64_e32 v[50:51], 0
	s_and_saveexec_b64 s[22:23], s[20:21]
	s_cbranch_execz .LBB189_126
; %bb.125:                              ;   in Loop: Header=BB189_102 Depth=1
	v_lshl_add_u64 v[48:49], v[208:209], 0, v[170:171]
	flat_load_dwordx4 v[48:51], v[48:49]
.LBB189_126:                            ;   in Loop: Header=BB189_102 Depth=1
	s_or_b64 exec, exec, s[22:23]
	ds_read_b128 v[68:71], v217
	ds_read_b128 v[64:67], v216 offset:256
	ds_read_b128 v[60:63], v216 offset:272
	;; [unrolled: 1-line block ×4, first 2 shown]
	s_waitcnt vmcnt(0) lgkmcnt(0)
	v_mul_f64 v[72:73], v[38:39], v[70:71]
	v_mul_f64 v[74:75], v[36:37], v[70:71]
	v_fma_f64 v[72:73], v[36:37], v[68:69], -v[72:73]
	v_fmac_f64_e32 v[74:75], v[38:39], v[68:69]
	ds_write_b128 v218, v[72:75]
	v_mul_f64 v[72:73], v[42:43], v[70:71]
	v_mul_f64 v[74:75], v[40:41], v[70:71]
	v_fma_f64 v[72:73], v[40:41], v[68:69], -v[72:73]
	v_fmac_f64_e32 v[74:75], v[42:43], v[68:69]
	ds_write_b128 v218, v[72:75] offset:1072
	v_mul_f64 v[72:73], v[46:47], v[70:71]
	v_mul_f64 v[74:75], v[44:45], v[70:71]
	v_fma_f64 v[72:73], v[44:45], v[68:69], -v[72:73]
	v_fmac_f64_e32 v[74:75], v[46:47], v[68:69]
	ds_write_b128 v218, v[72:75] offset:2144
	;; [unrolled: 5-line block ×3, first 2 shown]
	s_waitcnt lgkmcnt(0)
	s_barrier
	ds_read_b128 v[144:147], v219
	ds_read_b128 v[140:143], v219 offset:16
	ds_read_b128 v[136:139], v219 offset:32
	;; [unrolled: 1-line block ×3, first 2 shown]
	s_and_b64 vcc, exec, s[4:5]
	v_lshl_add_u64 v[96:97], v[202:203], 0, v[170:171]
	s_waitcnt lgkmcnt(0)
	s_barrier
	s_cbranch_vccnz .LBB189_134
; %bb.127:                              ;   in Loop: Header=BB189_102 Depth=1
	v_cmp_gt_i32_e32 vcc, s24, v229
	v_mov_b64_e32 v[72:73], 0
	v_mov_b64_e32 v[68:69], 0
	v_mov_b64_e32 v[70:71], 0
	s_and_saveexec_b64 s[20:21], vcc
	s_cbranch_execz .LBB189_129
; %bb.128:                              ;   in Loop: Header=BB189_102 Depth=1
	flat_load_dwordx4 v[68:71], v[96:97]
.LBB189_129:                            ;   in Loop: Header=BB189_102 Depth=1
	s_or_b64 exec, exec, s[20:21]
	v_cmp_gt_i32_e32 vcc, s24, v230
	v_mov_b64_e32 v[74:75], 0
	s_and_saveexec_b64 s[20:21], vcc
	s_cbranch_execz .LBB189_131
; %bb.130:                              ;   in Loop: Header=BB189_102 Depth=1
	v_lshl_add_u64 v[72:73], v[206:207], 0, v[170:171]
	flat_load_dwordx4 v[72:75], v[72:73]
.LBB189_131:                            ;   in Loop: Header=BB189_102 Depth=1
	s_or_b64 exec, exec, s[20:21]
	v_cmp_gt_i32_e32 vcc, s24, v232
	v_mov_b64_e32 v[76:77], 0
	v_mov_b64_e32 v[78:79], 0
	s_and_saveexec_b64 s[20:21], vcc
	s_cbranch_execz .LBB189_133
; %bb.132:                              ;   in Loop: Header=BB189_102 Depth=1
	v_lshl_add_u64 v[76:77], v[198:199], 0, v[170:171]
	flat_load_dwordx4 v[76:79], v[76:77]
.LBB189_133:                            ;   in Loop: Header=BB189_102 Depth=1
	s_or_b64 exec, exec, s[20:21]
	v_cmp_gt_i32_e64 s[20:21], s24, v233
	s_branch .LBB189_136
.LBB189_134:                            ;   in Loop: Header=BB189_102 Depth=1
	s_mov_b64 s[20:21], 0
                                        ; implicit-def: $vgpr78_vgpr79
                                        ; implicit-def: $vgpr74_vgpr75
                                        ; implicit-def: $vgpr70_vgpr71
	s_cbranch_execz .LBB189_136
; %bb.135:                              ;   in Loop: Header=BB189_102 Depth=1
	s_waitcnt vmcnt(0) lgkmcnt(0)
	v_lshl_add_u64 v[72:73], v[206:207], 0, v[170:171]
	v_lshl_add_u64 v[76:77], v[210:211], 0, v[170:171]
	flat_load_dwordx4 v[68:71], v[96:97]
	s_or_b64 s[20:21], s[20:21], exec
	flat_load_dwordx4 v[72:75], v[72:73]
	s_nop 0
	flat_load_dwordx4 v[76:79], v[76:77]
.LBB189_136:                            ;   in Loop: Header=BB189_102 Depth=1
	v_mov_b64_e32 v[96:97], 0
	v_mov_b64_e32 v[98:99], 0
	s_and_saveexec_b64 s[22:23], s[20:21]
	s_cbranch_execz .LBB189_138
; %bb.137:                              ;   in Loop: Header=BB189_102 Depth=1
	v_lshl_add_u64 v[96:97], v[194:195], 0, v[170:171]
	flat_load_dwordx4 v[96:99], v[96:97]
.LBB189_138:                            ;   in Loop: Header=BB189_102 Depth=1
	s_or_b64 exec, exec, s[22:23]
	ds_read_b128 v[116:119], v217
	ds_read_b128 v[112:115], v216 offset:512
	ds_read_b128 v[108:111], v216 offset:528
	;; [unrolled: 1-line block ×4, first 2 shown]
	s_waitcnt vmcnt(0) lgkmcnt(0)
	v_mul_f64 v[120:121], v[70:71], v[118:119]
	v_mul_f64 v[122:123], v[68:69], v[118:119]
	v_fma_f64 v[120:121], v[68:69], v[116:117], -v[120:121]
	v_fmac_f64_e32 v[122:123], v[70:71], v[116:117]
	ds_write_b128 v218, v[120:123]
	v_mul_f64 v[120:121], v[74:75], v[118:119]
	v_mul_f64 v[122:123], v[72:73], v[118:119]
	v_fma_f64 v[120:121], v[72:73], v[116:117], -v[120:121]
	v_fmac_f64_e32 v[122:123], v[74:75], v[116:117]
	ds_write_b128 v218, v[120:123] offset:1072
	v_mul_f64 v[120:121], v[78:79], v[118:119]
	v_mul_f64 v[122:123], v[76:77], v[118:119]
	v_fma_f64 v[120:121], v[76:77], v[116:117], -v[120:121]
	v_fmac_f64_e32 v[122:123], v[78:79], v[116:117]
	ds_write_b128 v218, v[120:123] offset:2144
	;; [unrolled: 5-line block ×3, first 2 shown]
	s_waitcnt lgkmcnt(0)
	s_barrier
	ds_read_b128 v[160:163], v219
	ds_read_b128 v[156:159], v219 offset:16
	ds_read_b128 v[152:155], v219 offset:32
	;; [unrolled: 1-line block ×3, first 2 shown]
	s_and_b64 vcc, exec, s[4:5]
	v_lshl_add_u64 v[128:129], v[182:183], 0, v[170:171]
	s_waitcnt lgkmcnt(0)
	s_barrier
	s_cbranch_vccnz .LBB189_146
; %bb.139:                              ;   in Loop: Header=BB189_102 Depth=1
	v_cmp_gt_i32_e32 vcc, s24, v234
	v_mov_b64_e32 v[120:121], 0
	v_mov_b64_e32 v[116:117], 0
	v_mov_b64_e32 v[118:119], 0
	s_and_saveexec_b64 s[4:5], vcc
	s_cbranch_execz .LBB189_141
; %bb.140:                              ;   in Loop: Header=BB189_102 Depth=1
	flat_load_dwordx4 v[116:119], v[128:129]
.LBB189_141:                            ;   in Loop: Header=BB189_102 Depth=1
	s_or_b64 exec, exec, s[4:5]
	v_cmp_gt_i32_e32 vcc, s24, v235
	v_mov_b64_e32 v[122:123], 0
	s_and_saveexec_b64 s[4:5], vcc
	s_cbranch_execz .LBB189_143
; %bb.142:                              ;   in Loop: Header=BB189_102 Depth=1
	v_lshl_add_u64 v[120:121], v[186:187], 0, v[170:171]
	flat_load_dwordx4 v[120:123], v[120:121]
.LBB189_143:                            ;   in Loop: Header=BB189_102 Depth=1
	s_or_b64 exec, exec, s[4:5]
	v_cmp_gt_i32_e32 vcc, s24, v236
	v_mov_b64_e32 v[124:125], 0
	v_mov_b64_e32 v[126:127], 0
	s_and_saveexec_b64 s[4:5], vcc
	s_cbranch_execz .LBB189_145
; %bb.144:                              ;   in Loop: Header=BB189_102 Depth=1
	v_lshl_add_u64 v[124:125], v[178:179], 0, v[170:171]
	flat_load_dwordx4 v[124:127], v[124:125]
.LBB189_145:                            ;   in Loop: Header=BB189_102 Depth=1
	s_or_b64 exec, exec, s[4:5]
	v_cmp_gt_i32_e64 s[4:5], s24, v237
	s_branch .LBB189_148
.LBB189_146:                            ;   in Loop: Header=BB189_102 Depth=1
	s_mov_b64 s[4:5], 0
                                        ; implicit-def: $vgpr126_vgpr127
                                        ; implicit-def: $vgpr122_vgpr123
                                        ; implicit-def: $vgpr118_vgpr119
	s_cbranch_execz .LBB189_148
; %bb.147:                              ;   in Loop: Header=BB189_102 Depth=1
	s_waitcnt vmcnt(0) lgkmcnt(0)
	v_lshl_add_u64 v[120:121], v[186:187], 0, v[170:171]
	v_lshl_add_u64 v[124:125], v[192:193], 0, v[170:171]
	flat_load_dwordx4 v[116:119], v[128:129]
	s_or_b64 s[4:5], s[4:5], exec
	flat_load_dwordx4 v[120:123], v[120:121]
	s_nop 0
	flat_load_dwordx4 v[124:127], v[124:125]
.LBB189_148:                            ;   in Loop: Header=BB189_102 Depth=1
	v_mov_b64_e32 v[128:129], 0
	v_mov_b64_e32 v[130:131], 0
	s_and_saveexec_b64 s[20:21], s[4:5]
	s_cbranch_execz .LBB189_150
; %bb.149:                              ;   in Loop: Header=BB189_102 Depth=1
	v_lshl_add_u64 v[128:129], v[174:175], 0, v[170:171]
	flat_load_dwordx4 v[128:131], v[128:129]
.LBB189_150:                            ;   in Loop: Header=BB189_102 Depth=1
	s_or_b64 exec, exec, s[20:21]
	v_add_f64 v[160:161], v[160:161], 0
	v_add_f64 v[144:145], v[144:145], 0
	;; [unrolled: 1-line block ×19, first 2 shown]
	ds_read_b128 v[140:143], v217
	ds_read_b128 v[132:135], v216 offset:768
	ds_read_b128 v[92:95], v216 offset:784
	ds_read_b128 v[88:91], v216 offset:800
	ds_read_b128 v[84:87], v216 offset:816
	s_waitcnt vmcnt(0) lgkmcnt(0)
	v_mul_f64 v[144:145], v[118:119], v[142:143]
	v_mul_f64 v[146:147], v[116:117], v[142:143]
	v_fma_f64 v[144:145], v[116:117], v[140:141], -v[144:145]
	v_fmac_f64_e32 v[146:147], v[118:119], v[140:141]
	ds_write_b128 v218, v[144:147]
	v_mul_f64 v[144:145], v[122:123], v[142:143]
	v_mul_f64 v[146:147], v[120:121], v[142:143]
	v_fma_f64 v[144:145], v[120:121], v[140:141], -v[144:145]
	v_fmac_f64_e32 v[146:147], v[122:123], v[140:141]
	ds_write_b128 v218, v[144:147] offset:1072
	v_mul_f64 v[144:145], v[126:127], v[142:143]
	v_mul_f64 v[146:147], v[124:125], v[142:143]
	v_fma_f64 v[144:145], v[124:125], v[140:141], -v[144:145]
	v_fmac_f64_e32 v[146:147], v[126:127], v[140:141]
	ds_write_b128 v218, v[144:147] offset:2144
	v_mul_f64 v[144:145], v[130:131], v[142:143]
	v_mul_f64 v[146:147], v[128:129], v[142:143]
	v_fma_f64 v[144:145], v[128:129], v[140:141], -v[144:145]
	v_fmac_f64_e32 v[146:147], v[130:131], v[140:141]
	v_add_f64 v[162:163], v[162:163], 0
	ds_write_b128 v218, v[144:147] offset:3216
	s_waitcnt lgkmcnt(0)
	s_barrier
	ds_read_b128 v[140:143], v219
	v_add_f64 v[158:159], v[162:163], v[158:159]
	v_add_f64 v[154:155], v[158:159], v[154:155]
	;; [unrolled: 1-line block ×4, first 2 shown]
	ds_read_b128 v[144:147], v219 offset:16
	ds_read_b128 v[152:155], v219 offset:32
	;; [unrolled: 1-line block ×3, first 2 shown]
	s_waitcnt lgkmcnt(3)
	v_add_f64 v[140:141], v[140:141], 0
	v_add_f64 v[142:143], v[142:143], 0
	v_cmp_gt_i32_e32 vcc, s24, v166
	s_waitcnt lgkmcnt(2)
	v_add_f64 v[140:141], v[140:141], v[144:145]
	v_add_f64 v[142:143], v[142:143], v[146:147]
	s_or_b64 s[4:5], s[14:15], vcc
	s_waitcnt lgkmcnt(1)
	v_add_f64 v[140:141], v[140:141], v[152:153]
	v_add_f64 v[142:143], v[142:143], v[154:155]
	s_and_b64 s[14:15], s[0:1], s[4:5]
	s_waitcnt lgkmcnt(0)
	v_add_f64 v[140:141], v[140:141], v[156:157]
	v_add_f64 v[142:143], v[142:143], v[158:159]
	s_barrier
	ds_write_b128 v231, v[80:83]
	ds_write_b128 v231, v[136:139] offset:256
	ds_write_b128 v231, v[148:151] offset:512
	;; [unrolled: 1-line block ×3, first 2 shown]
	s_waitcnt lgkmcnt(0)
	s_barrier
	s_and_saveexec_b64 s[4:5], s[14:15]
	s_cbranch_execz .LBB189_152
; %bb.151:                              ;   in Loop: Header=BB189_102 Depth=1
	ds_read_b128 v[80:83], v220
	ds_read_b128 v[136:139], v220 offset:16
	ds_read_b128 v[140:143], v220 offset:32
	;; [unrolled: 1-line block ×3, first 2 shown]
	v_ashrrev_i32_e32 v213, 31, v212
	s_waitcnt lgkmcnt(2)
	v_add_f64 v[80:81], v[136:137], v[80:81]
	v_add_f64 v[136:137], v[138:139], v[82:83]
	s_waitcnt lgkmcnt(1)
	v_add_f64 v[138:139], v[80:81], v[140:141]
	ds_read_b128 v[80:83], v220 offset:64
	v_add_f64 v[140:141], v[136:137], v[142:143]
	s_waitcnt lgkmcnt(1)
	v_add_f64 v[142:143], v[138:139], v[144:145]
	ds_read_b128 v[136:139], v220 offset:80
	;; [unrolled: 4-line block ×9, first 2 shown]
	v_add_f64 v[82:83], v[144:145], v[82:83]
	s_waitcnt lgkmcnt(1)
	v_add_f64 v[136:137], v[80:81], v[136:137]
	v_add_f64 v[144:145], v[82:83], v[138:139]
	ds_read_b128 v[80:83], v220 offset:208
	s_waitcnt lgkmcnt(1)
	v_add_f64 v[146:147], v[136:137], v[140:141]
	ds_read_b128 v[136:139], v220 offset:224
	v_add_f64 v[144:145], v[144:145], v[142:143]
	ds_read_b128 v[140:143], v221
	s_waitcnt lgkmcnt(2)
	v_add_f64 v[80:81], v[146:147], v[80:81]
	v_add_f64 v[82:83], v[144:145], v[82:83]
	s_waitcnt lgkmcnt(1)
	v_add_f64 v[80:81], v[80:81], v[136:137]
	v_add_f64 v[82:83], v[82:83], v[138:139]
	;; [unrolled: 3-line block ×3, first 2 shown]
	v_lshl_add_u64 v[136:137], v[212:213], 4, s[6:7]
	global_store_dwordx4 v[136:137], v[80:83], off
.LBB189_152:                            ;   in Loop: Header=BB189_102 Depth=1
	s_or_b64 exec, exec, s[4:5]
	s_nop 0
	v_mul_f64 v[80:81], v[6:7], v[34:35]
	v_fma_f64 v[80:81], v[4:5], v[32:33], -v[80:81]
	v_mul_f64 v[4:5], v[4:5], v[34:35]
	v_mul_f64 v[34:35], v[10:11], v[30:31]
	v_add_f64 v[0:1], v[0:1], v[80:81]
	v_fma_f64 v[34:35], v[8:9], v[28:29], -v[34:35]
	v_mul_f64 v[8:9], v[8:9], v[30:31]
	v_mul_f64 v[30:31], v[14:15], v[26:27]
	v_add_f64 v[0:1], v[0:1], v[34:35]
	v_fma_f64 v[30:31], v[12:13], v[24:25], -v[30:31]
	v_mul_f64 v[12:13], v[12:13], v[26:27]
	v_mul_f64 v[26:27], v[18:19], v[22:23]
	v_fmac_f64_e32 v[4:5], v[6:7], v[32:33]
	v_add_f64 v[0:1], v[0:1], v[30:31]
	v_fma_f64 v[26:27], v[16:17], v[20:21], -v[26:27]
	v_add_f64 v[2:3], v[2:3], v[4:5]
	v_mul_f64 v[4:5], v[38:39], v[66:67]
	v_add_f64 v[0:1], v[0:1], v[26:27]
	v_fma_f64 v[4:5], v[36:37], v[64:65], -v[4:5]
	v_add_f64 v[0:1], v[0:1], v[4:5]
	v_mul_f64 v[4:5], v[42:43], v[62:63]
	v_fma_f64 v[4:5], v[40:41], v[60:61], -v[4:5]
	v_add_f64 v[0:1], v[0:1], v[4:5]
	v_mul_f64 v[4:5], v[46:47], v[58:59]
	;; [unrolled: 3-line block ×4, first 2 shown]
	v_fmac_f64_e32 v[8:9], v[10:11], v[28:29]
	v_fma_f64 v[4:5], v[68:69], v[112:113], -v[4:5]
	v_mul_f64 v[16:17], v[16:17], v[22:23]
	v_add_f64 v[2:3], v[2:3], v[8:9]
	v_fmac_f64_e32 v[12:13], v[14:15], v[24:25]
	v_add_f64 v[0:1], v[0:1], v[4:5]
	v_mul_f64 v[4:5], v[74:75], v[110:111]
	v_add_f64 v[2:3], v[2:3], v[12:13]
	v_fmac_f64_e32 v[16:17], v[18:19], v[20:21]
	v_mul_f64 v[6:7], v[36:37], v[66:67]
	v_fma_f64 v[4:5], v[72:73], v[108:109], -v[4:5]
	v_add_f64 v[2:3], v[2:3], v[16:17]
	v_mul_f64 v[8:9], v[40:41], v[62:63]
	v_fmac_f64_e32 v[6:7], v[38:39], v[64:65]
	v_add_f64 v[0:1], v[0:1], v[4:5]
	v_mul_f64 v[4:5], v[78:79], v[106:107]
	v_mul_f64 v[10:11], v[44:45], v[58:59]
	v_add_f64 v[2:3], v[2:3], v[6:7]
	v_fmac_f64_e32 v[8:9], v[42:43], v[60:61]
	v_fma_f64 v[4:5], v[76:77], v[104:105], -v[4:5]
	v_mul_f64 v[12:13], v[48:49], v[54:55]
	v_add_f64 v[2:3], v[2:3], v[8:9]
	v_fmac_f64_e32 v[10:11], v[46:47], v[56:57]
	v_add_f64 v[0:1], v[0:1], v[4:5]
	v_mul_f64 v[4:5], v[98:99], v[102:103]
	v_add_f64 v[2:3], v[2:3], v[10:11]
	v_fmac_f64_e32 v[12:13], v[50:51], v[52:53]
	v_mul_f64 v[6:7], v[68:69], v[114:115]
	v_fma_f64 v[4:5], v[96:97], v[100:101], -v[4:5]
	v_add_f64 v[2:3], v[2:3], v[12:13]
	v_mul_f64 v[8:9], v[72:73], v[110:111]
	v_add_f64 v[0:1], v[0:1], v[4:5]
	v_fmac_f64_e32 v[6:7], v[70:71], v[112:113]
	v_mul_f64 v[4:5], v[118:119], v[134:135]
	v_mul_f64 v[10:11], v[76:77], v[106:107]
	v_add_f64 v[2:3], v[2:3], v[6:7]
	v_fmac_f64_e32 v[8:9], v[74:75], v[108:109]
	v_fma_f64 v[4:5], v[116:117], v[132:133], -v[4:5]
	v_mul_f64 v[12:13], v[96:97], v[102:103]
	v_add_f64 v[2:3], v[2:3], v[8:9]
	v_fmac_f64_e32 v[10:11], v[78:79], v[104:105]
	v_add_f64 v[0:1], v[0:1], v[4:5]
	v_mul_f64 v[4:5], v[122:123], v[94:95]
	v_add_f64 v[2:3], v[2:3], v[10:11]
	v_fmac_f64_e32 v[12:13], v[98:99], v[100:101]
	v_mul_f64 v[6:7], v[116:117], v[134:135]
	v_fma_f64 v[4:5], v[120:121], v[92:93], -v[4:5]
	v_add_f64 v[2:3], v[2:3], v[12:13]
	v_mul_f64 v[8:9], v[120:121], v[94:95]
	v_add_f64 v[0:1], v[0:1], v[4:5]
	v_mul_f64 v[4:5], v[126:127], v[90:91]
	v_fmac_f64_e32 v[6:7], v[118:119], v[132:133]
	v_fma_f64 v[4:5], v[124:125], v[88:89], -v[4:5]
	v_mul_f64 v[10:11], v[124:125], v[90:91]
	v_fmac_f64_e32 v[8:9], v[122:123], v[92:93]
	v_add_f64 v[2:3], v[2:3], v[6:7]
	v_add_f64 v[0:1], v[0:1], v[4:5]
	v_mul_f64 v[4:5], v[130:131], v[86:87]
	v_mul_f64 v[12:13], v[128:129], v[86:87]
	v_fmac_f64_e32 v[10:11], v[126:127], v[88:89]
	v_add_f64 v[2:3], v[2:3], v[8:9]
	v_fma_f64 v[4:5], v[128:129], v[84:85], -v[4:5]
	v_fmac_f64_e32 v[12:13], v[130:131], v[84:85]
	v_add_f64 v[2:3], v[2:3], v[10:11]
	s_add_i32 s4, s2, 1
	s_add_i32 s8, s8, s26
	;; [unrolled: 1-line block ×3, first 2 shown]
	v_add_f64 v[0:1], v[0:1], v[4:5]
	v_add_f64 v[2:3], v[2:3], v[12:13]
	v_add_u32_e32 v212, 64, v212
	v_lshl_add_u64 v[172:173], v[172:173], 0, s[10:11]
	v_lshl_add_u64 v[174:175], v[174:175], 0, s[10:11]
	;; [unrolled: 1-line block ×19, first 2 shown]
	s_cmp_ge_u32 s2, s3
	v_lshl_add_u64 v[210:211], v[210:211], 0, s[10:11]
	s_barrier
	s_cbranch_scc0 .LBB189_97
.LBB189_153:
	s_movk_i32 s0, 0x430
	v_cmp_gt_i32_e32 vcc, s16, v166
	v_mad_u32_u24 v4, v165, s0, v167
	s_or_b64 s[0:1], s[18:19], vcc
	s_and_b64 s[0:1], s[12:13], s[0:1]
	ds_write_b128 v4, v[0:3]
	s_waitcnt lgkmcnt(0)
	s_barrier
	s_and_saveexec_b64 s[2:3], s[0:1]
	s_cbranch_execz .LBB189_155
; %bb.154:
	ds_read_b128 v[0:3], v167 offset:1072
	ds_read_b128 v[4:7], v167
	ds_read_b128 v[8:11], v167 offset:2144
	ds_read_b128 v[12:15], v167 offset:3216
	v_ashrrev_i32_e32 v165, 31, v164
	s_waitcnt lgkmcnt(2)
	v_add_f64 v[0:1], v[0:1], v[4:5]
	v_add_f64 v[2:3], v[2:3], v[6:7]
	s_waitcnt lgkmcnt(1)
	v_add_f64 v[0:1], v[0:1], v[8:9]
	v_add_f64 v[2:3], v[2:3], v[10:11]
	;; [unrolled: 3-line block ×3, first 2 shown]
	v_lshl_add_u64 v[4:5], v[164:165], 4, s[6:7]
	global_store_dwordx4 v[4:5], v[0:3], off
.LBB189_155:
	s_endpgm
	.section	.rodata,"a",@progbits
	.p2align	6, 0x0
	.amdhsa_kernel _ZL26rocblas_hemvn_kernel_upperILb0ELi64ELi4ELi33ELi32ELi16EiPK19rocblas_complex_numIdEPKS3_PS1_EviT6_lT7_lT5_lS8_lS9_lS7_lT8_i
		.amdhsa_group_segment_fixed_size 19200
		.amdhsa_private_segment_fixed_size 0
		.amdhsa_kernarg_size 376
		.amdhsa_user_sgpr_count 2
		.amdhsa_user_sgpr_dispatch_ptr 0
		.amdhsa_user_sgpr_queue_ptr 0
		.amdhsa_user_sgpr_kernarg_segment_ptr 1
		.amdhsa_user_sgpr_dispatch_id 0
		.amdhsa_user_sgpr_kernarg_preload_length 0
		.amdhsa_user_sgpr_kernarg_preload_offset 0
		.amdhsa_user_sgpr_private_segment_size 0
		.amdhsa_uses_dynamic_stack 0
		.amdhsa_enable_private_segment 0
		.amdhsa_system_sgpr_workgroup_id_x 1
		.amdhsa_system_sgpr_workgroup_id_y 0
		.amdhsa_system_sgpr_workgroup_id_z 1
		.amdhsa_system_sgpr_workgroup_info 0
		.amdhsa_system_vgpr_workitem_id 1
		.amdhsa_next_free_vgpr 242
		.amdhsa_next_free_sgpr 40
		.amdhsa_accum_offset 244
		.amdhsa_reserve_vcc 1
		.amdhsa_float_round_mode_32 0
		.amdhsa_float_round_mode_16_64 0
		.amdhsa_float_denorm_mode_32 3
		.amdhsa_float_denorm_mode_16_64 3
		.amdhsa_dx10_clamp 1
		.amdhsa_ieee_mode 1
		.amdhsa_fp16_overflow 0
		.amdhsa_tg_split 0
		.amdhsa_exception_fp_ieee_invalid_op 0
		.amdhsa_exception_fp_denorm_src 0
		.amdhsa_exception_fp_ieee_div_zero 0
		.amdhsa_exception_fp_ieee_overflow 0
		.amdhsa_exception_fp_ieee_underflow 0
		.amdhsa_exception_fp_ieee_inexact 0
		.amdhsa_exception_int_div_zero 0
	.end_amdhsa_kernel
	.section	.text._ZL26rocblas_hemvn_kernel_upperILb0ELi64ELi4ELi33ELi32ELi16EiPK19rocblas_complex_numIdEPKS3_PS1_EviT6_lT7_lT5_lS8_lS9_lS7_lT8_i,"axG",@progbits,_ZL26rocblas_hemvn_kernel_upperILb0ELi64ELi4ELi33ELi32ELi16EiPK19rocblas_complex_numIdEPKS3_PS1_EviT6_lT7_lT5_lS8_lS9_lS7_lT8_i,comdat
.Lfunc_end189:
	.size	_ZL26rocblas_hemvn_kernel_upperILb0ELi64ELi4ELi33ELi32ELi16EiPK19rocblas_complex_numIdEPKS3_PS1_EviT6_lT7_lT5_lS8_lS9_lS7_lT8_i, .Lfunc_end189-_ZL26rocblas_hemvn_kernel_upperILb0ELi64ELi4ELi33ELi32ELi16EiPK19rocblas_complex_numIdEPKS3_PS1_EviT6_lT7_lT5_lS8_lS9_lS7_lT8_i
                                        ; -- End function
	.set _ZL26rocblas_hemvn_kernel_upperILb0ELi64ELi4ELi33ELi32ELi16EiPK19rocblas_complex_numIdEPKS3_PS1_EviT6_lT7_lT5_lS8_lS9_lS7_lT8_i.num_vgpr, 242
	.set _ZL26rocblas_hemvn_kernel_upperILb0ELi64ELi4ELi33ELi32ELi16EiPK19rocblas_complex_numIdEPKS3_PS1_EviT6_lT7_lT5_lS8_lS9_lS7_lT8_i.num_agpr, 0
	.set _ZL26rocblas_hemvn_kernel_upperILb0ELi64ELi4ELi33ELi32ELi16EiPK19rocblas_complex_numIdEPKS3_PS1_EviT6_lT7_lT5_lS8_lS9_lS7_lT8_i.numbered_sgpr, 40
	.set _ZL26rocblas_hemvn_kernel_upperILb0ELi64ELi4ELi33ELi32ELi16EiPK19rocblas_complex_numIdEPKS3_PS1_EviT6_lT7_lT5_lS8_lS9_lS7_lT8_i.num_named_barrier, 0
	.set _ZL26rocblas_hemvn_kernel_upperILb0ELi64ELi4ELi33ELi32ELi16EiPK19rocblas_complex_numIdEPKS3_PS1_EviT6_lT7_lT5_lS8_lS9_lS7_lT8_i.private_seg_size, 0
	.set _ZL26rocblas_hemvn_kernel_upperILb0ELi64ELi4ELi33ELi32ELi16EiPK19rocblas_complex_numIdEPKS3_PS1_EviT6_lT7_lT5_lS8_lS9_lS7_lT8_i.uses_vcc, 1
	.set _ZL26rocblas_hemvn_kernel_upperILb0ELi64ELi4ELi33ELi32ELi16EiPK19rocblas_complex_numIdEPKS3_PS1_EviT6_lT7_lT5_lS8_lS9_lS7_lT8_i.uses_flat_scratch, 0
	.set _ZL26rocblas_hemvn_kernel_upperILb0ELi64ELi4ELi33ELi32ELi16EiPK19rocblas_complex_numIdEPKS3_PS1_EviT6_lT7_lT5_lS8_lS9_lS7_lT8_i.has_dyn_sized_stack, 0
	.set _ZL26rocblas_hemvn_kernel_upperILb0ELi64ELi4ELi33ELi32ELi16EiPK19rocblas_complex_numIdEPKS3_PS1_EviT6_lT7_lT5_lS8_lS9_lS7_lT8_i.has_recursion, 0
	.set _ZL26rocblas_hemvn_kernel_upperILb0ELi64ELi4ELi33ELi32ELi16EiPK19rocblas_complex_numIdEPKS3_PS1_EviT6_lT7_lT5_lS8_lS9_lS7_lT8_i.has_indirect_call, 0
	.section	.AMDGPU.csdata,"",@progbits
; Kernel info:
; codeLenInByte = 10184
; TotalNumSgprs: 46
; NumVgprs: 242
; NumAgprs: 0
; TotalNumVgprs: 242
; ScratchSize: 0
; MemoryBound: 1
; FloatMode: 240
; IeeeMode: 1
; LDSByteSize: 19200 bytes/workgroup (compile time only)
; SGPRBlocks: 5
; VGPRBlocks: 30
; NumSGPRsForWavesPerEU: 46
; NumVGPRsForWavesPerEU: 242
; AccumOffset: 244
; Occupancy: 2
; WaveLimiterHint : 1
; COMPUTE_PGM_RSRC2:SCRATCH_EN: 0
; COMPUTE_PGM_RSRC2:USER_SGPR: 2
; COMPUTE_PGM_RSRC2:TRAP_HANDLER: 0
; COMPUTE_PGM_RSRC2:TGID_X_EN: 1
; COMPUTE_PGM_RSRC2:TGID_Y_EN: 0
; COMPUTE_PGM_RSRC2:TGID_Z_EN: 1
; COMPUTE_PGM_RSRC2:TIDIG_COMP_CNT: 1
; COMPUTE_PGM_RSRC3_GFX90A:ACCUM_OFFSET: 60
; COMPUTE_PGM_RSRC3_GFX90A:TG_SPLIT: 0
	.section	.text._ZL26rocblas_hemvn_kernel_upperILb0ELi64ELi4ELi33ELi32ELi16El19rocblas_complex_numIdEPKPKS1_PS1_EviT6_lT7_lT5_lS8_lS9_lS7_lT8_i,"axG",@progbits,_ZL26rocblas_hemvn_kernel_upperILb0ELi64ELi4ELi33ELi32ELi16El19rocblas_complex_numIdEPKPKS1_PS1_EviT6_lT7_lT5_lS8_lS9_lS7_lT8_i,comdat
	.globl	_ZL26rocblas_hemvn_kernel_upperILb0ELi64ELi4ELi33ELi32ELi16El19rocblas_complex_numIdEPKPKS1_PS1_EviT6_lT7_lT5_lS8_lS9_lS7_lT8_i ; -- Begin function _ZL26rocblas_hemvn_kernel_upperILb0ELi64ELi4ELi33ELi32ELi16El19rocblas_complex_numIdEPKPKS1_PS1_EviT6_lT7_lT5_lS8_lS9_lS7_lT8_i
	.p2align	8
	.type	_ZL26rocblas_hemvn_kernel_upperILb0ELi64ELi4ELi33ELi32ELi16El19rocblas_complex_numIdEPKPKS1_PS1_EviT6_lT7_lT5_lS8_lS9_lS7_lT8_i,@function
_ZL26rocblas_hemvn_kernel_upperILb0ELi64ELi4ELi33ELi32ELi16El19rocblas_complex_numIdEPKPKS1_PS1_EviT6_lT7_lT5_lS8_lS9_lS7_lT8_i: ; @_ZL26rocblas_hemvn_kernel_upperILb0ELi64ELi4ELi33ELi32ELi16El19rocblas_complex_numIdEPKPKS1_PS1_EviT6_lT7_lT5_lS8_lS9_lS7_lT8_i
; %bb.0:
	s_load_dwordx2 s[4:5], s[0:1], 0x94
	s_add_u32 s8, s0, 0x88
	s_mov_b32 s28, s3
	s_addc_u32 s9, s1, 0
	s_waitcnt lgkmcnt(0)
	s_and_b32 s3, s5, 0xffff
	s_lshr_b32 s5, s4, 16
	s_and_b32 s4, s4, 0xffff
	s_mul_i32 s4, s5, s4
	s_mul_i32 s4, s4, s3
	s_cmpk_lg_i32 s4, 0x100
	s_cbranch_scc1 .LBB190_155
; %bb.1:
	s_load_dwordx4 s[4:7], s[0:1], 0x8
	s_waitcnt lgkmcnt(0)
	v_cmp_neq_f64_e64 s[4:5], s[4:5], 0
	v_cmp_neq_f64_e64 s[6:7], s[6:7], 0
	s_or_b64 s[6:7], s[4:5], s[6:7]
	s_mov_b64 s[4:5], -1
	s_and_b64 vcc, exec, s[6:7]
	s_cbranch_vccnz .LBB190_3
; %bb.2:
	s_load_dwordx4 s[4:7], s[0:1], 0x60
	s_waitcnt lgkmcnt(0)
	v_cmp_eq_f64_e64 s[4:5], s[4:5], 1.0
	v_cmp_eq_f64_e64 s[6:7], s[6:7], 0
	s_and_b64 s[4:5], s[4:5], s[6:7]
	s_andn2_b64 vcc, exec, s[4:5]
	s_mov_b64 s[4:5], 0
.LBB190_3:
	s_andn2_b64 vcc, exec, s[4:5]
	s_cbranch_vccnz .LBB190_155
; %bb.4:
	s_load_dword s33, s[0:1], 0x0
	s_load_dwordx4 s[4:7], s[0:1], 0x20
	s_load_dwordx2 s[24:25], s[0:1], 0x30
	s_load_dwordx4 s[12:15], s[0:1], 0x40
	s_mov_b32 s29, 0
	s_lshl_b64 s[10:11], s[28:29], 3
	s_waitcnt lgkmcnt(0)
	s_add_u32 s4, s4, s10
	s_addc_u32 s5, s5, s11
	s_add_u32 s12, s12, s10
	s_addc_u32 s13, s13, s11
	s_load_dwordx2 s[16:17], s[12:13], 0x0
	s_load_dword s3, s[8:9], 0x0
	s_load_dwordx2 s[20:21], s[0:1], 0x50
	s_load_dwordx2 s[10:11], s[4:5], 0x0
	s_lshl_b64 s[4:5], s[14:15], 4
	s_waitcnt lgkmcnt(0)
	s_add_u32 s4, s16, s4
	s_addc_u32 s5, s17, s5
	s_ashr_i32 s34, s33, 31
	s_lshr_b32 s9, s34, 26
	v_and_b32_e32 v202, 0x3ff, v0
	s_lshl_b32 s26, s2, 6
	s_add_i32 s9, s33, s9
	s_andn2_b32 s9, s9, 63
	v_add_u32_e32 v164, s26, v202
	s_add_i32 s8, s3, -1
	s_sub_i32 s29, s33, s9
	v_ashrrev_i32_e32 v165, 31, v164
	v_bfe_u32 v203, v0, 10, 10
	s_cmp_eq_u32 s2, s8
	v_mul_lo_u32 v2, s20, v165
	v_mul_lo_u32 v3, s21, v164
	v_mad_u64_u32 v[0:1], s[8:9], s20, v164, 0
	v_add3_u32 v1, v1, v2, v3
	s_cselect_b32 s18, s29, 0
	v_lshl_add_u64 v[36:37], v[0:1], 4, s[4:5]
	v_cmp_eq_u32_e64 s[4:5], 0, v203
	s_and_saveexec_b64 s[8:9], s[4:5]
	s_cbranch_execz .LBB190_9
; %bb.5:
	s_cmp_lg_u32 s18, 0
	s_cselect_b64 s[12:13], -1, 0
	v_cmp_le_i32_e32 vcc, s18, v202
	v_mov_b32_e32 v0, 0x4700
	s_and_b64 s[12:13], s[12:13], vcc
	v_lshl_add_u32 v0, v202, 4, v0
	s_and_saveexec_b64 s[14:15], s[12:13]
	s_xor_b64 s[12:13], exec, s[14:15]
; %bb.6:
	v_mov_b32_e32 v2, 0
	v_mov_b32_e32 v3, v2
	;; [unrolled: 1-line block ×4, first 2 shown]
	ds_write_b128 v0, v[2:5]
                                        ; implicit-def: $vgpr0
; %bb.7:
	s_andn2_saveexec_b64 s[12:13], s[12:13]
	s_cbranch_execz .LBB190_9
; %bb.8:
	flat_load_dwordx4 v[2:5], v[36:37]
	s_waitcnt vmcnt(0) lgkmcnt(0)
	ds_write2_b64 v0, v[2:3], v[4:5] offset1:1
.LBB190_9:
	s_or_b64 exec, exec, s[8:9]
	s_lshl_b64 s[6:7], s[6:7], 4
	s_add_u32 s8, s10, s6
	s_addc_u32 s9, s11, s7
	s_ashr_i32 s27, s26, 31
	v_lshl_add_u32 v42, v203, 6, v202
	s_lshl_b64 s[6:7], s[26:27], 4
	v_and_b32_e32 v6, 31, v202
	v_lshrrev_b32_e32 v14, 5, v42
	s_add_u32 s6, s8, s6
	v_mov_b32_e32 v7, 0
	s_addc_u32 s7, s9, s7
	v_mad_u64_u32 v[38:39], s[8:9], s24, v14, v[6:7]
	v_mov_b32_e32 v0, v39
	v_mad_u64_u32 v[0:1], s[8:9], s25, v14, v[0:1]
	v_mov_b32_e32 v39, v0
	v_lshl_add_u64 v[0:1], v[38:39], 4, s[6:7]
	s_mul_hi_u32 s6, s24, s26
	s_mul_i32 s7, s24, s27
	s_add_i32 s6, s6, s7
	s_mul_i32 s7, s25, s26
	s_add_i32 s7, s6, s7
	s_cmp_eq_u32 s18, 0
	s_cselect_b64 s[22:23], -1, 0
	s_cmp_lg_u32 s18, 0
	s_mul_i32 s6, s24, s26
	s_cselect_b64 s[30:31], -1, 0
	v_lshl_add_u64 v[0:1], s[6:7], 4, v[0:1]
	s_and_b64 vcc, exec, s[30:31]
	v_cmp_gt_i32_e64 s[6:7], s18, v6
	v_lshlrev_b32_e32 v4, 4, v6
	v_lshlrev_b32_e32 v15, 4, v6
	s_cbranch_vccz .LBB190_27
; %bb.10:
	v_sub_co_u32_e32 v2, vcc, v0, v4
	s_ashr_i32 s19, s18, 31
	s_nop 0
	v_subbrev_co_u32_e32 v3, vcc, 0, v1, vcc
	v_lshl_add_u64 v[2:3], s[18:19], 4, v[2:3]
	v_lshl_add_u64 v[2:3], v[2:3], 0, -16
	s_movk_i32 s8, 0x210
	v_cndmask_b32_e64 v3, v3, v1, s[6:7]
	v_cndmask_b32_e64 v2, v2, v0, s[6:7]
	v_cmp_le_i32_e32 vcc, s18, v14
	v_mad_u32_u24 v7, v14, s8, v15
	s_and_saveexec_b64 s[8:9], vcc
	s_xor_b64 s[8:9], exec, s[8:9]
; %bb.11:
	v_mov_b32_e32 v8, 0
	v_mov_b32_e32 v9, v8
	;; [unrolled: 1-line block ×4, first 2 shown]
	ds_write_b128 v7, v[8:11]
                                        ; implicit-def: $vgpr7
; %bb.12:
	s_or_saveexec_b64 s[8:9], s[8:9]
	v_mul_u32_u24_e32 v5, 0x210, v14
	s_xor_b64 exec, exec, s[8:9]
	s_cbranch_execz .LBB190_14
; %bb.13:
	flat_load_dwordx4 v[8:11], v[2:3]
	s_waitcnt vmcnt(0) lgkmcnt(0)
	ds_write2_b64 v7, v[8:9], v[10:11] offset1:1
.LBB190_14:
	s_or_b64 exec, exec, s[8:9]
	v_add_u32_e32 v7, 8, v14
	v_cmp_le_i32_e32 vcc, s18, v7
	v_add_u32_e32 v7, v5, v15
	s_and_saveexec_b64 s[8:9], vcc
	s_xor_b64 s[8:9], exec, s[8:9]
; %bb.15:
	v_mov_b32_e32 v8, 0
	v_mov_b32_e32 v9, v8
	;; [unrolled: 1-line block ×4, first 2 shown]
	ds_write_b128 v7, v[8:11] offset:4224
; %bb.16:
	s_andn2_saveexec_b64 s[8:9], s[8:9]
	s_cbranch_execz .LBB190_18
; %bb.17:
	s_lshl_b64 s[10:11], s[24:25], 7
	v_lshl_add_u64 v[8:9], v[2:3], 0, s[10:11]
	flat_load_dwordx4 v[8:11], v[8:9]
	s_movk_i32 s10, 0x1080
	v_add3_u32 v12, v5, v15, s10
	s_waitcnt vmcnt(0) lgkmcnt(0)
	ds_write2_b64 v12, v[8:9], v[10:11] offset1:1
.LBB190_18:
	s_or_b64 exec, exec, s[8:9]
	v_add_u32_e32 v8, 16, v14
	v_cmp_le_i32_e32 vcc, s18, v8
	s_and_saveexec_b64 s[8:9], vcc
	s_xor_b64 s[8:9], exec, s[8:9]
; %bb.19:
	v_mov_b32_e32 v8, 0
	v_mov_b32_e32 v9, v8
	;; [unrolled: 1-line block ×4, first 2 shown]
	ds_write_b128 v7, v[8:11] offset:8448
; %bb.20:
	s_andn2_saveexec_b64 s[8:9], s[8:9]
	s_cbranch_execz .LBB190_22
; %bb.21:
	s_lshl_b64 s[10:11], s[24:25], 8
	v_lshl_add_u64 v[8:9], v[2:3], 0, s[10:11]
	flat_load_dwordx4 v[8:11], v[8:9]
	s_movk_i32 s10, 0x2100
	v_add3_u32 v12, v5, v15, s10
	s_waitcnt vmcnt(0) lgkmcnt(0)
	ds_write2_b64 v12, v[8:9], v[10:11] offset1:1
.LBB190_22:
	s_or_b64 exec, exec, s[8:9]
	v_add_u32_e32 v8, 24, v14
	v_cmp_le_i32_e32 vcc, s18, v8
	s_and_saveexec_b64 s[8:9], vcc
	s_xor_b64 s[8:9], exec, s[8:9]
; %bb.23:
	v_mov_b32_e32 v8, 0
	v_mov_b32_e32 v9, v8
	;; [unrolled: 1-line block ×4, first 2 shown]
	ds_write_b128 v7, v[8:11] offset:12672
                                        ; implicit-def: $vgpr5
; %bb.24:
	s_andn2_saveexec_b64 s[8:9], s[8:9]
	s_cbranch_execz .LBB190_26
; %bb.25:
	v_mov_b32_e32 v7, 0x180
	v_mad_u64_u32 v[8:9], s[10:11], s24, v7, v[2:3]
	s_mul_i32 s10, s25, 0x180
	s_nop 0
	v_add_u32_e32 v9, s10, v9
	flat_load_dwordx4 v[8:11], v[8:9]
	s_movk_i32 s10, 0x3180
	v_add3_u32 v5, v5, v15, s10
	s_waitcnt vmcnt(0) lgkmcnt(0)
	ds_write2_b64 v5, v[8:9], v[10:11] offset1:1
.LBB190_26:
	s_or_b64 exec, exec, s[8:9]
	v_mov_b32_e32 v5, 0
	v_lshl_add_u64 v[2:3], v[2:3], 0, v[4:5]
	s_lshl_b64 s[8:9], s[18:19], 4
	v_mov_b32_e32 v5, s9
	v_subrev_co_u32_e32 v2, vcc, s8, v2
	s_nop 1
	v_subb_co_u32_e32 v3, vcc, v3, v5, vcc
	v_lshl_add_u64 v[2:3], v[2:3], 0, 16
	v_cndmask_b32_e64 v9, v3, v1, s[6:7]
	v_cndmask_b32_e64 v8, v2, v0, s[6:7]
	s_branch .LBB190_29
.LBB190_27:
                                        ; implicit-def: $vgpr8_vgpr9
	s_cbranch_execz .LBB190_29
; %bb.28:
	flat_load_dwordx4 v[8:11], v[0:1]
	v_mul_u32_u24_e32 v2, 0x210, v14
	s_lshl_b64 s[6:7], s[24:25], 7
	v_lshl_add_u32 v5, v6, 4, v2
	v_lshl_add_u64 v[2:3], v[0:1], 0, s[6:7]
	v_add_u32_e32 v7, 0x1080, v5
	s_waitcnt vmcnt(0) lgkmcnt(0)
	ds_write2_b64 v5, v[8:9], v[10:11] offset1:1
	flat_load_dwordx4 v[8:11], v[2:3]
	v_lshl_add_u64 v[2:3], v[2:3], 0, s[6:7]
	s_waitcnt vmcnt(0) lgkmcnt(0)
	ds_write2_b64 v7, v[8:9], v[10:11] offset1:1
	flat_load_dwordx4 v[8:11], v[2:3]
	v_add_u32_e32 v7, 0x2100, v5
	v_lshl_add_u64 v[2:3], v[2:3], 0, s[6:7]
	s_waitcnt vmcnt(0) lgkmcnt(0)
	ds_write2_b64 v7, v[8:9], v[10:11] offset1:1
	flat_load_dwordx4 v[8:11], v[2:3]
	v_add_u32_e32 v2, 0x3180, v5
	s_waitcnt vmcnt(0) lgkmcnt(0)
	ds_write2_b64 v2, v[8:9], v[10:11] offset1:1
	v_mov_b64_e32 v[8:9], v[0:1]
.LBB190_29:
	v_lshlrev_b32_e32 v7, 2, v14
	v_lshl_or_b32 v0, v6, 9, v15
	v_cmp_gt_u32_e64 s[6:7], v7, v6
	v_lshl_add_u32 v1, v7, 4, v0
	s_waitcnt lgkmcnt(0)
	s_barrier
	s_and_saveexec_b64 s[8:9], s[6:7]
	s_cbranch_execz .LBB190_31
; %bb.30:
	s_movk_i32 s10, 0x840
	v_mad_u32_u24 v0, v14, s10, v15
	ds_read_b128 v[10:13], v0
	s_waitcnt lgkmcnt(0)
	ds_write_b128 v1, v[10:13]
.LBB190_31:
	s_or_b64 exec, exec, s[8:9]
	v_or_b32_e32 v0, 1, v7
	v_cmp_ge_u32_e64 s[8:9], v7, v6
	s_and_saveexec_b64 s[10:11], s[8:9]
	s_cbranch_execz .LBB190_33
; %bb.32:
	s_movk_i32 s12, 0x210
	v_mad_u32_u24 v2, v0, s12, v15
	ds_read_b128 v[10:13], v2
	s_waitcnt lgkmcnt(0)
	ds_write_b128 v1, v[10:13] offset:16
.LBB190_33:
	s_or_b64 exec, exec, s[10:11]
	v_or_b32_e32 v2, 2, v7
	v_cmp_gt_u32_e64 s[10:11], v2, v6
	s_and_saveexec_b64 s[12:13], s[10:11]
	s_cbranch_execz .LBB190_35
; %bb.34:
	s_movk_i32 s14, 0x210
	v_mad_u32_u24 v2, v2, s14, v15
	ds_read_b128 v[10:13], v2
	s_waitcnt lgkmcnt(0)
	ds_write_b128 v1, v[10:13] offset:32
.LBB190_35:
	s_or_b64 exec, exec, s[12:13]
	v_or_b32_e32 v3, 3, v7
	v_cmp_gt_u32_e64 s[12:13], v3, v6
	v_cmp_le_u32_e32 vcc, v3, v6
                                        ; implicit-def: $vgpr2
	s_and_saveexec_b64 s[14:15], vcc
	s_xor_b64 s[14:15], exec, s[14:15]
; %bb.36:
	v_mul_u32_u24_e32 v2, 0x210, v3
                                        ; implicit-def: $vgpr3
                                        ; implicit-def: $vgpr1
; %bb.37:
	s_andn2_saveexec_b64 s[14:15], s[14:15]
	s_cbranch_execz .LBB190_39
; %bb.38:
	s_movk_i32 s16, 0x210
	v_mad_u32_u24 v2, v3, s16, v15
	ds_read_b128 v[10:13], v2
	v_mul_u32_u24_e32 v2, 0x210, v3
	s_waitcnt lgkmcnt(0)
	ds_write_b128 v1, v[10:13] offset:48
.LBB190_39:
	s_or_b64 exec, exec, s[14:15]
	s_movk_i32 s14, 0x840
	v_lshlrev_b32_e32 v17, 4, v7
	s_movk_i32 s19, 0x210
	s_waitcnt lgkmcnt(0)
	s_barrier
	v_mad_u32_u24 v20, v14, s14, v15
	ds_read_b128 v[10:13], v17 offset:18176
	ds_read_b128 v[22:25], v17 offset:18192
	ds_read_b128 v[26:29], v20
	ds_read_b128 v[30:33], v17 offset:18208
	ds_read_b128 v[46:49], v17 offset:18224
	v_mad_u32_u24 v21, v0, s19, v15
	ds_read_b128 v[50:53], v21
	s_waitcnt lgkmcnt(3)
	v_mul_f64 v[0:1], v[12:13], v[28:29]
	v_fma_f64 v[18:19], v[10:11], v[26:27], -v[0:1]
	v_mul_f64 v[10:11], v[10:11], v[28:29]
	v_fmac_f64_e32 v[10:11], v[12:13], v[26:27]
	v_add_f64 v[26:27], v[10:11], 0
	s_waitcnt lgkmcnt(0)
	v_mul_f64 v[10:11], v[24:25], v[52:53]
	v_fma_f64 v[28:29], v[22:23], v[50:51], -v[10:11]
	v_mul_f64 v[22:23], v[22:23], v[52:53]
	v_fmac_f64_e32 v[22:23], v[24:25], v[50:51]
	ds_read_b128 v[10:13], v21 offset:528
	v_add_u32_e32 v45, v15, v2
	v_add_f64 v[26:27], v[26:27], v[22:23]
	ds_read_b128 v[22:25], v45
	v_add_f64 v[18:19], v[18:19], 0
	s_waitcnt lgkmcnt(1)
	v_mul_f64 v[2:3], v[32:33], v[12:13]
	v_mul_f64 v[12:13], v[30:31], v[12:13]
	v_add_f64 v[18:19], v[18:19], v[28:29]
	v_fma_f64 v[2:3], v[30:31], v[10:11], -v[2:3]
	v_fmac_f64_e32 v[12:13], v[32:33], v[10:11]
	s_waitcnt lgkmcnt(0)
	v_mul_f64 v[10:11], v[48:49], v[24:25]
	v_add_f64 v[2:3], v[18:19], v[2:3]
	v_fma_f64 v[10:11], v[46:47], v[22:23], -v[10:11]
	v_mul_f64 v[18:19], v[46:47], v[24:25]
	v_add_f64 v[10:11], v[2:3], v[10:11]
	v_mul_u32_u24_e32 v2, 33, v6
	v_add_f64 v[12:13], v[26:27], v[12:13]
	v_fmac_f64_e32 v[18:19], v[48:49], v[22:23]
	v_lshlrev_b32_e32 v43, 4, v2
	v_mov_b64_e32 v[0:1], 0
	v_add_f64 v[12:13], v[12:13], v[18:19]
	v_lshl_add_u32 v44, v14, 4, v43
	v_cmp_gt_u32_e64 s[14:15], 32, v42
	v_mov_b64_e32 v[2:3], 0
	s_barrier
	ds_write_b128 v44, v[10:13]
	s_waitcnt lgkmcnt(0)
	s_barrier
	s_and_saveexec_b64 s[16:17], s[14:15]
	s_cbranch_execz .LBB190_41
; %bb.40:
	ds_read_b128 v[0:3], v43
	ds_read_b128 v[10:13], v43 offset:16
	ds_read_b128 v[22:25], v43 offset:32
	;; [unrolled: 1-line block ×3, first 2 shown]
	s_waitcnt lgkmcnt(2)
	v_add_f64 v[0:1], v[10:11], v[0:1]
	v_add_f64 v[10:11], v[12:13], v[2:3]
	s_waitcnt lgkmcnt(1)
	v_add_f64 v[12:13], v[0:1], v[22:23]
	ds_read_b128 v[0:3], v43 offset:64
	v_add_f64 v[10:11], v[10:11], v[24:25]
	s_waitcnt lgkmcnt(1)
	v_add_f64 v[18:19], v[12:13], v[26:27]
	v_add_f64 v[26:27], v[10:11], v[28:29]
	ds_read_b128 v[10:13], v43 offset:80
	ds_read_b128 v[22:25], v43 offset:96
	s_waitcnt lgkmcnt(2)
	v_add_f64 v[18:19], v[18:19], v[0:1]
	v_add_f64 v[26:27], v[26:27], v[2:3]
	ds_read_b128 v[0:3], v43 offset:112
	s_waitcnt lgkmcnt(2)
	v_add_f64 v[10:11], v[18:19], v[10:11]
	v_add_f64 v[12:13], v[26:27], v[12:13]
	s_waitcnt lgkmcnt(1)
	v_add_f64 v[10:11], v[10:11], v[22:23]
	v_add_f64 v[12:13], v[12:13], v[24:25]
	s_waitcnt lgkmcnt(0)
	v_add_f64 v[0:1], v[10:11], v[0:1]
	v_add_f64 v[2:3], v[12:13], v[2:3]
.LBB190_41:
	s_or_b64 exec, exec, s[16:17]
	s_lshl_b64 s[16:17], s[24:25], 9
	v_lshl_add_u64 v[12:13], v[8:9], 0, s[16:17]
	s_mov_b64 s[16:17], 0x200
	v_lshl_add_u64 v[10:11], v[12:13], 0, s[16:17]
	v_mad_u32_u24 v16, v14, s19, v15
	s_and_b64 vcc, exec, s[30:31]
	s_barrier
	s_cbranch_vccz .LBB190_59
; %bb.42:
	v_sub_co_u32_e32 v8, vcc, v12, v4
	s_ashr_i32 s19, s18, 31
	s_nop 0
	v_subbrev_co_u32_e32 v9, vcc, 0, v13, vcc
	v_or_b32_e32 v5, 32, v6
	v_lshl_add_u64 v[8:9], s[18:19], 4, v[8:9]
	v_lshl_add_u64 v[8:9], v[8:9], 0, -16
	v_cmp_gt_i32_e32 vcc, s18, v5
	s_sub_i32 s35, s18, 32
	v_cmp_le_i32_e64 s[16:17], s35, v14
	v_cndmask_b32_e32 v9, v9, v11, vcc
	v_cndmask_b32_e32 v8, v8, v10, vcc
	s_and_saveexec_b64 s[36:37], s[16:17]
	s_xor_b64 s[16:17], exec, s[36:37]
; %bb.43:
	v_mov_b32_e32 v22, 0
	v_mov_b32_e32 v23, v22
	;; [unrolled: 1-line block ×4, first 2 shown]
	ds_write_b128 v16, v[22:25]
; %bb.44:
	s_andn2_saveexec_b64 s[16:17], s[16:17]
	s_cbranch_execz .LBB190_46
; %bb.45:
	flat_load_dwordx4 v[22:25], v[8:9]
	s_waitcnt vmcnt(0) lgkmcnt(0)
	ds_write2_b64 v16, v[22:23], v[24:25] offset1:1
.LBB190_46:
	s_or_b64 exec, exec, s[16:17]
	v_add_u32_e32 v5, 8, v14
	v_cmp_le_i32_e64 s[16:17], s35, v5
	s_and_saveexec_b64 s[36:37], s[16:17]
	s_xor_b64 s[16:17], exec, s[36:37]
	s_cbranch_execz .LBB190_48
; %bb.47:
	s_movk_i32 s36, 0x210
	v_mov_b32_e32 v22, 0
	v_mad_u32_u24 v5, v5, s36, v15
	v_mov_b32_e32 v23, v22
	v_mov_b32_e32 v24, v22
	;; [unrolled: 1-line block ×3, first 2 shown]
	ds_write_b128 v5, v[22:25]
                                        ; implicit-def: $vgpr5
.LBB190_48:
	s_andn2_saveexec_b64 s[16:17], s[16:17]
	s_cbranch_execz .LBB190_50
; %bb.49:
	s_lshl_b64 s[36:37], s[24:25], 7
	v_lshl_add_u64 v[18:19], v[8:9], 0, s[36:37]
	flat_load_dwordx4 v[22:25], v[18:19]
	s_movk_i32 s36, 0x210
	v_mad_u32_u24 v5, v5, s36, v15
	s_waitcnt vmcnt(0) lgkmcnt(0)
	ds_write2_b64 v5, v[22:23], v[24:25] offset1:1
.LBB190_50:
	s_or_b64 exec, exec, s[16:17]
	v_add_u32_e32 v5, 16, v14
	v_cmp_le_i32_e64 s[16:17], s35, v5
	s_and_saveexec_b64 s[36:37], s[16:17]
	s_xor_b64 s[16:17], exec, s[36:37]
	s_cbranch_execz .LBB190_52
; %bb.51:
	s_movk_i32 s36, 0x210
	v_mov_b32_e32 v22, 0
	v_mad_u32_u24 v5, v5, s36, v15
	v_mov_b32_e32 v23, v22
	v_mov_b32_e32 v24, v22
	;; [unrolled: 1-line block ×3, first 2 shown]
	ds_write_b128 v5, v[22:25]
                                        ; implicit-def: $vgpr5
.LBB190_52:
	s_andn2_saveexec_b64 s[16:17], s[16:17]
	s_cbranch_execz .LBB190_54
; %bb.53:
	s_lshl_b64 s[36:37], s[24:25], 8
	v_lshl_add_u64 v[18:19], v[8:9], 0, s[36:37]
	flat_load_dwordx4 v[22:25], v[18:19]
	s_movk_i32 s36, 0x210
	v_mad_u32_u24 v5, v5, s36, v15
	s_waitcnt vmcnt(0) lgkmcnt(0)
	ds_write2_b64 v5, v[22:23], v[24:25] offset1:1
.LBB190_54:
	s_or_b64 exec, exec, s[16:17]
	v_add_u32_e32 v5, 24, v14
	v_cmp_le_i32_e64 s[16:17], s35, v5
	s_and_saveexec_b64 s[36:37], s[16:17]
	s_xor_b64 s[16:17], exec, s[36:37]
	s_cbranch_execz .LBB190_56
; %bb.55:
	s_movk_i32 s35, 0x210
	v_mov_b32_e32 v22, 0
	v_mad_u32_u24 v5, v5, s35, v15
	v_mov_b32_e32 v23, v22
	v_mov_b32_e32 v24, v22
	v_mov_b32_e32 v25, v22
	ds_write_b128 v5, v[22:25]
                                        ; implicit-def: $vgpr5
.LBB190_56:
	s_andn2_saveexec_b64 s[16:17], s[16:17]
	s_cbranch_execz .LBB190_58
; %bb.57:
	v_mov_b32_e32 v18, 0x180
	v_mad_u64_u32 v[18:19], s[36:37], s24, v18, v[8:9]
	s_mul_i32 s35, s25, 0x180
	v_add_u32_e32 v19, s35, v19
	flat_load_dwordx4 v[22:25], v[18:19]
	s_movk_i32 s35, 0x210
	v_mad_u32_u24 v5, v5, s35, v15
	s_waitcnt vmcnt(0) lgkmcnt(0)
	ds_write2_b64 v5, v[22:23], v[24:25] offset1:1
.LBB190_58:
	s_or_b64 exec, exec, s[16:17]
	v_mov_b32_e32 v5, 0
	v_lshl_add_u64 v[8:9], v[8:9], 0, v[4:5]
	s_lshl_b64 s[16:17], s[18:19], 4
	v_mov_b32_e32 v5, s17
	v_subrev_co_u32_e64 v8, s[16:17], s16, v8
	s_nop 1
	v_subb_co_u32_e64 v9, s[16:17], v9, v5, s[16:17]
	s_mov_b64 s[16:17], 0x210
	s_nop 0
	v_lshl_add_u64 v[8:9], v[8:9], 0, s[16:17]
	v_cndmask_b32_e32 v9, v9, v11, vcc
	v_cndmask_b32_e32 v8, v8, v10, vcc
	s_branch .LBB190_61
.LBB190_59:
                                        ; implicit-def: $vgpr8_vgpr9
	s_cbranch_execz .LBB190_61
; %bb.60:
	flat_load_dwordx4 v[22:25], v[10:11]
	s_lshl_b64 s[16:17], s[24:25], 7
	v_lshl_add_u64 v[8:9], v[12:13], 0, s[16:17]
	v_add_u32_e32 v5, 0x1080, v16
	s_waitcnt vmcnt(0) lgkmcnt(0)
	ds_write2_b64 v16, v[22:23], v[24:25] offset1:1
	flat_load_dwordx4 v[22:25], v[8:9] offset:512
	v_lshl_add_u64 v[8:9], v[8:9], 0, s[16:17]
	s_waitcnt vmcnt(0) lgkmcnt(0)
	ds_write2_b64 v5, v[22:23], v[24:25] offset1:1
	flat_load_dwordx4 v[22:25], v[8:9] offset:512
	v_add_u32_e32 v5, 0x2100, v16
	v_lshl_add_u64 v[8:9], v[8:9], 0, s[16:17]
	s_waitcnt vmcnt(0) lgkmcnt(0)
	ds_write2_b64 v5, v[22:23], v[24:25] offset1:1
	flat_load_dwordx4 v[22:25], v[8:9] offset:512
	v_add_u32_e32 v5, 0x3180, v16
	v_mov_b64_e32 v[8:9], v[10:11]
	s_waitcnt vmcnt(0) lgkmcnt(0)
	ds_write2_b64 v5, v[22:23], v[24:25] offset1:1
.LBB190_61:
	v_lshl_add_u32 v5, v7, 4, v43
	s_waitcnt lgkmcnt(0)
	s_barrier
	s_and_saveexec_b64 s[16:17], s[6:7]
	s_cbranch_execz .LBB190_65
; %bb.62:
	ds_read_b128 v[10:13], v20
	s_waitcnt lgkmcnt(0)
	ds_write_b128 v5, v[10:13]
	s_or_b64 exec, exec, s[16:17]
	s_and_saveexec_b64 s[6:7], s[8:9]
	s_cbranch_execnz .LBB190_66
.LBB190_63:
	s_or_b64 exec, exec, s[6:7]
	v_add_u32_e32 v12, 0x210, v21
	s_and_saveexec_b64 s[6:7], s[10:11]
	s_cbranch_execz .LBB190_67
.LBB190_64:
	ds_read_b128 v[22:25], v12
	s_waitcnt lgkmcnt(0)
	ds_write_b128 v5, v[22:25] offset:32
	s_or_b64 exec, exec, s[6:7]
	v_add_u32_e32 v13, 0x4700, v17
	s_and_saveexec_b64 s[6:7], s[12:13]
	s_cbranch_execnz .LBB190_68
	s_branch .LBB190_69
.LBB190_65:
	s_or_b64 exec, exec, s[16:17]
	s_and_saveexec_b64 s[6:7], s[8:9]
	s_cbranch_execz .LBB190_63
.LBB190_66:
	ds_read_b128 v[10:13], v21
	s_waitcnt lgkmcnt(0)
	ds_write_b128 v5, v[10:13] offset:16
	s_or_b64 exec, exec, s[6:7]
	v_add_u32_e32 v12, 0x210, v21
	s_and_saveexec_b64 s[6:7], s[10:11]
	s_cbranch_execnz .LBB190_64
.LBB190_67:
	s_or_b64 exec, exec, s[6:7]
	v_add_u32_e32 v13, 0x4700, v17
	s_and_saveexec_b64 s[6:7], s[12:13]
	s_cbranch_execz .LBB190_69
.LBB190_68:
	ds_read_b128 v[22:25], v45
	s_waitcnt lgkmcnt(0)
	ds_write_b128 v5, v[22:25] offset:48
.LBB190_69:
	s_or_b64 exec, exec, s[6:7]
	s_waitcnt lgkmcnt(0)
	s_barrier
	ds_read_b128 v[22:25], v13 offset:512
	ds_read_b128 v[26:29], v20
	ds_read_b128 v[30:33], v13 offset:528
	ds_read_b128 v[46:49], v13 offset:544
	;; [unrolled: 1-line block ×3, first 2 shown]
	ds_read_b128 v[54:57], v21
	v_cmp_eq_u32_e64 s[6:7], 1, v14
	s_waitcnt lgkmcnt(4)
	v_mul_f64 v[10:11], v[24:25], v[28:29]
	v_fma_f64 v[10:11], v[22:23], v[26:27], -v[10:11]
	v_mul_f64 v[18:19], v[22:23], v[28:29]
	s_waitcnt lgkmcnt(0)
	v_mul_f64 v[22:23], v[32:33], v[56:57]
	v_fmac_f64_e32 v[18:19], v[24:25], v[26:27]
	v_fma_f64 v[26:27], v[30:31], v[54:55], -v[22:23]
	v_mul_f64 v[28:29], v[30:31], v[56:57]
	ds_read_b128 v[22:25], v12
	v_add_f64 v[10:11], v[10:11], 0
	v_add_f64 v[18:19], v[18:19], 0
	v_fmac_f64_e32 v[28:29], v[32:33], v[54:55]
	v_add_f64 v[10:11], v[10:11], v[26:27]
	v_add_f64 v[18:19], v[18:19], v[28:29]
	ds_read_b128 v[26:29], v45
	s_waitcnt lgkmcnt(1)
	v_mul_f64 v[30:31], v[48:49], v[24:25]
	v_mul_f64 v[24:25], v[46:47], v[24:25]
	v_fmac_f64_e32 v[24:25], v[48:49], v[22:23]
	v_fma_f64 v[30:31], v[46:47], v[22:23], -v[30:31]
	v_add_f64 v[18:19], v[18:19], v[24:25]
	s_waitcnt lgkmcnt(0)
	v_mul_f64 v[22:23], v[52:53], v[28:29]
	v_mul_f64 v[24:25], v[50:51], v[28:29]
	v_add_f64 v[10:11], v[10:11], v[30:31]
	v_fma_f64 v[22:23], v[50:51], v[26:27], -v[22:23]
	v_fmac_f64_e32 v[24:25], v[52:53], v[26:27]
	v_add_f64 v[22:23], v[10:11], v[22:23]
	v_add_f64 v[24:25], v[18:19], v[24:25]
	s_barrier
	ds_write_b128 v44, v[22:25]
	s_waitcnt lgkmcnt(0)
	s_barrier
	s_and_saveexec_b64 s[8:9], s[6:7]
	s_cbranch_execz .LBB190_71
; %bb.70:
	ds_read_b128 v[0:3], v43
	ds_read_b128 v[22:25], v43 offset:16
	ds_read_b128 v[26:29], v43 offset:32
	;; [unrolled: 1-line block ×3, first 2 shown]
	s_waitcnt lgkmcnt(2)
	v_add_f64 v[0:1], v[22:23], v[0:1]
	v_add_f64 v[10:11], v[24:25], v[2:3]
	s_waitcnt lgkmcnt(1)
	v_add_f64 v[18:19], v[0:1], v[26:27]
	ds_read_b128 v[0:3], v43 offset:64
	ds_read_b128 v[22:25], v43 offset:80
	v_add_f64 v[10:11], v[10:11], v[28:29]
	s_waitcnt lgkmcnt(2)
	v_add_f64 v[18:19], v[18:19], v[30:31]
	v_add_f64 v[10:11], v[10:11], v[32:33]
	ds_read_b128 v[26:29], v43 offset:96
	s_waitcnt lgkmcnt(2)
	v_add_f64 v[18:19], v[18:19], v[0:1]
	v_add_f64 v[10:11], v[10:11], v[2:3]
	ds_read_b128 v[0:3], v43 offset:112
	s_waitcnt lgkmcnt(2)
	v_add_f64 v[18:19], v[18:19], v[22:23]
	v_add_f64 v[10:11], v[10:11], v[24:25]
	s_waitcnt lgkmcnt(1)
	v_add_f64 v[18:19], v[18:19], v[26:27]
	v_add_f64 v[10:11], v[10:11], v[28:29]
	;; [unrolled: 3-line block ×3, first 2 shown]
.LBB190_71:
	s_or_b64 exec, exec, s[8:9]
	s_movk_i32 s8, 0xfe00
	s_mov_b32 s9, -1
	v_lshl_add_u64 v[8:9], v[8:9], 0, s[8:9]
	s_and_b64 vcc, exec, s[30:31]
	s_barrier
	s_cbranch_vccz .LBB190_89
; %bb.72:
	v_sub_co_u32_e32 v10, vcc, v8, v4
	s_ashr_i32 s19, s18, 31
	s_nop 0
	v_subbrev_co_u32_e32 v11, vcc, 0, v9, vcc
	v_lshl_add_u64 v[10:11], s[18:19], 4, v[10:11]
	v_lshl_add_u64 v[10:11], v[10:11], 0, -16
	v_cmp_gt_i32_e32 vcc, s18, v6
	s_sub_i32 s10, s18, 32
	v_cmp_le_i32_e64 s[8:9], s10, v14
	v_cndmask_b32_e32 v7, v11, v9, vcc
	v_cndmask_b32_e32 v6, v10, v8, vcc
	s_and_saveexec_b64 s[12:13], s[8:9]
	s_xor_b64 s[8:9], exec, s[12:13]
; %bb.73:
	v_mov_b32_e32 v22, 0
	v_mov_b32_e32 v23, v22
	;; [unrolled: 1-line block ×4, first 2 shown]
	ds_write_b128 v16, v[22:25]
; %bb.74:
	s_andn2_saveexec_b64 s[8:9], s[8:9]
	s_cbranch_execz .LBB190_76
; %bb.75:
	flat_load_dwordx4 v[22:25], v[6:7]
	s_waitcnt vmcnt(0) lgkmcnt(0)
	ds_write2_b64 v16, v[22:23], v[24:25] offset1:1
.LBB190_76:
	s_or_b64 exec, exec, s[8:9]
	v_add_u32_e32 v10, 8, v14
	v_cmp_le_i32_e64 s[8:9], s10, v10
	s_and_saveexec_b64 s[12:13], s[8:9]
	s_xor_b64 s[8:9], exec, s[12:13]
	s_cbranch_execz .LBB190_78
; %bb.77:
	s_movk_i32 s11, 0x210
	v_mov_b32_e32 v22, 0
	v_mad_u32_u24 v5, v10, s11, v15
	v_mov_b32_e32 v23, v22
	v_mov_b32_e32 v24, v22
	;; [unrolled: 1-line block ×3, first 2 shown]
	ds_write_b128 v5, v[22:25]
.LBB190_78:
	s_andn2_saveexec_b64 s[8:9], s[8:9]
	s_cbranch_execz .LBB190_80
; %bb.79:
	s_lshl_b64 s[12:13], s[24:25], 7
	v_lshl_add_u64 v[18:19], v[6:7], 0, s[12:13]
	flat_load_dwordx4 v[22:25], v[18:19]
	s_movk_i32 s11, 0x210
	v_mad_u32_u24 v5, v10, s11, v15
	s_waitcnt vmcnt(0) lgkmcnt(0)
	ds_write2_b64 v5, v[22:23], v[24:25] offset1:1
.LBB190_80:
	s_or_b64 exec, exec, s[8:9]
	v_add_u32_e32 v11, 16, v14
	v_cmp_le_i32_e64 s[8:9], s10, v11
	s_and_saveexec_b64 s[12:13], s[8:9]
	s_xor_b64 s[8:9], exec, s[12:13]
	s_cbranch_execz .LBB190_82
; %bb.81:
	s_movk_i32 s11, 0x210
	v_mov_b32_e32 v22, 0
	v_mad_u32_u24 v5, v11, s11, v15
	v_mov_b32_e32 v23, v22
	v_mov_b32_e32 v24, v22
	v_mov_b32_e32 v25, v22
	ds_write_b128 v5, v[22:25]
.LBB190_82:
	s_andn2_saveexec_b64 s[8:9], s[8:9]
	s_cbranch_execz .LBB190_84
; %bb.83:
	s_lshl_b64 s[12:13], s[24:25], 8
	v_lshl_add_u64 v[18:19], v[6:7], 0, s[12:13]
	flat_load_dwordx4 v[22:25], v[18:19]
	s_movk_i32 s11, 0x210
	v_mad_u32_u24 v5, v11, s11, v15
	s_waitcnt vmcnt(0) lgkmcnt(0)
	ds_write2_b64 v5, v[22:23], v[24:25] offset1:1
.LBB190_84:
	s_or_b64 exec, exec, s[8:9]
	v_add_u32_e32 v17, 24, v14
	v_cmp_le_i32_e64 s[8:9], s10, v17
	s_and_saveexec_b64 s[10:11], s[8:9]
	s_xor_b64 s[8:9], exec, s[10:11]
	s_cbranch_execz .LBB190_86
; %bb.85:
	s_movk_i32 s10, 0x210
	v_mov_b32_e32 v22, 0
	v_mad_u32_u24 v5, v17, s10, v15
	v_mov_b32_e32 v23, v22
	v_mov_b32_e32 v24, v22
	v_mov_b32_e32 v25, v22
	ds_write_b128 v5, v[22:25]
.LBB190_86:
	s_andn2_saveexec_b64 s[8:9], s[8:9]
	s_cbranch_execz .LBB190_88
; %bb.87:
	v_mov_b32_e32 v5, 0x180
	v_mad_u64_u32 v[18:19], s[10:11], s24, v5, v[6:7]
	s_mul_i32 s10, s25, 0x180
	s_nop 0
	v_add_u32_e32 v19, s10, v19
	flat_load_dwordx4 v[22:25], v[18:19]
	s_movk_i32 s10, 0x210
	v_mad_u32_u24 v5, v17, s10, v15
	s_waitcnt vmcnt(0) lgkmcnt(0)
	ds_write2_b64 v5, v[22:23], v[24:25] offset1:1
.LBB190_88:
	s_or_b64 exec, exec, s[8:9]
	v_mov_b32_e32 v5, 0
	v_lshl_add_u64 v[4:5], v[6:7], 0, v[4:5]
	s_lshl_b64 s[8:9], s[18:19], 4
	v_mov_b32_e32 v6, s9
	v_subrev_co_u32_e64 v4, s[8:9], s8, v4
	s_nop 1
	v_subb_co_u32_e64 v5, s[8:9], v5, v6, s[8:9]
	v_lshl_add_u64 v[4:5], v[4:5], 0, 16
	v_cndmask_b32_e32 v41, v5, v9, vcc
	v_cndmask_b32_e32 v40, v4, v8, vcc
	s_branch .LBB190_91
.LBB190_89:
                                        ; implicit-def: $vgpr40_vgpr41
                                        ; implicit-def: $vgpr10
                                        ; implicit-def: $vgpr11
                                        ; implicit-def: $vgpr17
	s_cbranch_execz .LBB190_91
; %bb.90:
	flat_load_dwordx4 v[4:7], v[8:9]
	s_lshl_b64 s[8:9], s[24:25], 7
	v_lshl_add_u64 v[18:19], v[8:9], 0, s[8:9]
	v_add_u32_e32 v10, 8, v14
	s_movk_i32 s10, 0x210
	v_mad_u32_u24 v15, v10, s10, v15
	v_add_u32_e32 v11, 0x1080, v15
	v_mov_b64_e32 v[40:41], v[8:9]
	s_waitcnt vmcnt(0) lgkmcnt(0)
	ds_write2_b64 v16, v[4:5], v[6:7] offset1:1
	flat_load_dwordx4 v[4:7], v[18:19]
	v_lshl_add_u64 v[16:17], v[18:19], 0, s[8:9]
	s_waitcnt vmcnt(0) lgkmcnt(0)
	ds_write2_b64 v15, v[4:5], v[6:7] offset1:1
	flat_load_dwordx4 v[4:7], v[16:17]
	v_lshl_add_u64 v[16:17], v[16:17], 0, s[8:9]
	v_add_u32_e32 v15, 0x2100, v15
	s_waitcnt vmcnt(0) lgkmcnt(0)
	ds_write2_b64 v11, v[4:5], v[6:7] offset1:1
	flat_load_dwordx4 v[4:7], v[16:17]
	v_add_u32_e32 v11, 16, v14
	v_add_u32_e32 v17, 24, v14
	s_waitcnt vmcnt(0) lgkmcnt(0)
	ds_write2_b64 v15, v[4:5], v[6:7] offset1:1
.LBB190_91:
	v_lshlrev_b32_e32 v8, 4, v14
	v_add_u32_e32 v4, v43, v8
	s_waitcnt lgkmcnt(0)
	s_barrier
	ds_read_b128 v[4:7], v4
	ds_read_b128 v[22:25], v8 offset:18176
	v_lshlrev_b32_e32 v8, 4, v10
	v_add_u32_e32 v9, v43, v8
	ds_read_b128 v[46:49], v9
	ds_read_b128 v[26:29], v8 offset:18176
	s_waitcnt lgkmcnt(2)
	v_mul_f64 v[8:9], v[6:7], v[24:25]
	v_fma_f64 v[8:9], v[4:5], v[22:23], -v[8:9]
	v_mul_f64 v[14:15], v[4:5], v[24:25]
	v_add_f64 v[4:5], v[8:9], 0
	s_waitcnt lgkmcnt(0)
	v_mul_f64 v[8:9], v[48:49], v[28:29]
	v_fma_f64 v[8:9], v[46:47], v[26:27], -v[8:9]
	v_add_f64 v[4:5], v[4:5], v[8:9]
	v_lshlrev_b32_e32 v8, 4, v11
	v_add_u32_e32 v9, v43, v8
	ds_read_b128 v[50:53], v9
	ds_read_b128 v[54:57], v8 offset:18176
	v_lshlrev_b32_e32 v8, 4, v17
	v_add_u32_e32 v9, v43, v8
	ds_read_b128 v[58:61], v9
	ds_read_b128 v[62:65], v8 offset:18176
	v_mul_f64 v[66:67], v[46:47], v[28:29]
	s_waitcnt lgkmcnt(2)
	v_mul_f64 v[8:9], v[52:53], v[56:57]
	v_fma_f64 v[8:9], v[50:51], v[54:55], -v[8:9]
	v_add_f64 v[4:5], v[4:5], v[8:9]
	s_waitcnt lgkmcnt(0)
	v_mul_f64 v[8:9], v[60:61], v[64:65]
	v_fmac_f64_e32 v[14:15], v[6:7], v[22:23]
	v_fma_f64 v[8:9], v[58:59], v[62:63], -v[8:9]
	v_fmac_f64_e32 v[66:67], v[48:49], v[26:27]
	v_add_f64 v[14:15], v[14:15], 0
	v_add_f64 v[46:47], v[4:5], v[8:9]
	ds_read_b128 v[16:19], v13 offset:528
	ds_read_b128 v[8:11], v13 offset:544
	;; [unrolled: 1-line block ×3, first 2 shown]
	ds_read_b128 v[32:35], v20
	ds_read_b128 v[4:7], v13 offset:560
	ds_read_b128 v[24:27], v21
	v_add_f64 v[48:49], v[14:15], v[66:67]
	ds_read_b128 v[20:23], v12
	ds_read_b128 v[12:15], v45
	v_mul_f64 v[50:51], v[50:51], v[56:57]
	v_mul_f64 v[56:57], v[58:59], v[64:65]
	v_fmac_f64_e32 v[50:51], v[52:53], v[54:55]
	v_add_f64 v[48:49], v[48:49], v[50:51]
	v_fmac_f64_e32 v[56:57], v[60:61], v[62:63]
	v_add_f64 v[48:49], v[48:49], v[56:57]
	s_waitcnt lgkmcnt(0)
	s_barrier
	ds_write_b128 v44, v[46:49]
	s_waitcnt lgkmcnt(0)
	s_barrier
	s_and_saveexec_b64 s[8:9], s[6:7]
	s_cbranch_execz .LBB190_93
; %bb.92:
	ds_read_b128 v[46:49], v43
	ds_read_b128 v[50:53], v43 offset:16
	ds_read_b128 v[54:57], v43 offset:32
	;; [unrolled: 1-line block ×3, first 2 shown]
	s_waitcnt lgkmcnt(3)
	v_add_f64 v[0:1], v[0:1], v[46:47]
	v_add_f64 v[2:3], v[2:3], v[48:49]
	s_waitcnt lgkmcnt(2)
	v_add_f64 v[0:1], v[0:1], v[50:51]
	v_add_f64 v[46:47], v[2:3], v[52:53]
	s_waitcnt lgkmcnt(1)
	v_add_f64 v[48:49], v[0:1], v[54:55]
	ds_read_b128 v[0:3], v43 offset:64
	v_add_f64 v[46:47], v[46:47], v[56:57]
	s_waitcnt lgkmcnt(1)
	v_add_f64 v[50:51], v[48:49], v[58:59]
	v_add_f64 v[54:55], v[46:47], v[60:61]
	ds_read_b128 v[46:49], v43 offset:80
	s_waitcnt lgkmcnt(1)
	v_add_f64 v[56:57], v[50:51], v[0:1]
	ds_read_b128 v[50:53], v43 offset:96
	v_add_f64 v[54:55], v[54:55], v[2:3]
	ds_read_b128 v[0:3], v43 offset:112
	s_waitcnt lgkmcnt(2)
	v_add_f64 v[46:47], v[56:57], v[46:47]
	v_add_f64 v[48:49], v[54:55], v[48:49]
	s_waitcnt lgkmcnt(1)
	v_add_f64 v[46:47], v[46:47], v[50:51]
	v_add_f64 v[48:49], v[48:49], v[52:53]
	s_waitcnt lgkmcnt(0)
	v_add_f64 v[0:1], v[46:47], v[0:1]
	v_add_f64 v[2:3], v[48:49], v[2:3]
.LBB190_93:
	s_or_b64 exec, exec, s[8:9]
	v_mul_f64 v[46:47], v[30:31], v[34:35]
	v_fma_f64 v[46:47], v[28:29], v[32:33], -v[46:47]
	v_mul_f64 v[28:29], v[28:29], v[34:35]
	v_fmac_f64_e32 v[28:29], v[30:31], v[32:33]
	v_mul_f64 v[32:33], v[18:19], v[26:27]
	v_fma_f64 v[32:33], v[16:17], v[24:25], -v[32:33]
	v_mul_f64 v[16:17], v[16:17], v[26:27]
	v_fmac_f64_e32 v[16:17], v[18:19], v[24:25]
	v_mul_f64 v[24:25], v[10:11], v[22:23]
	v_add_f64 v[28:29], v[28:29], 0
	v_fma_f64 v[24:25], v[8:9], v[20:21], -v[24:25]
	v_mul_f64 v[8:9], v[8:9], v[22:23]
	v_add_f64 v[30:31], v[46:47], 0
	v_add_f64 v[16:17], v[28:29], v[16:17]
	v_fmac_f64_e32 v[8:9], v[10:11], v[20:21]
	v_add_f64 v[18:19], v[30:31], v[32:33]
	v_add_f64 v[8:9], v[16:17], v[8:9]
	v_mul_f64 v[16:17], v[6:7], v[14:15]
	v_mul_f64 v[14:15], v[4:5], v[14:15]
	v_add_f64 v[10:11], v[18:19], v[24:25]
	v_fma_f64 v[16:17], v[4:5], v[12:13], -v[16:17]
	v_fmac_f64_e32 v[14:15], v[6:7], v[12:13]
	v_add_f64 v[4:5], v[10:11], v[16:17]
	v_add_f64 v[6:7], v[8:9], v[14:15]
	s_barrier
	ds_write_b128 v44, v[4:7]
	s_waitcnt lgkmcnt(0)
	s_barrier
	s_and_saveexec_b64 s[6:7], s[14:15]
	s_cbranch_execz .LBB190_95
; %bb.94:
	ds_read_b128 v[4:7], v43
	ds_read_b128 v[8:11], v43 offset:16
	ds_read_b128 v[12:15], v43 offset:32
	;; [unrolled: 1-line block ×3, first 2 shown]
	s_waitcnt lgkmcnt(3)
	v_add_f64 v[0:1], v[0:1], v[4:5]
	v_add_f64 v[2:3], v[2:3], v[6:7]
	s_waitcnt lgkmcnt(2)
	v_add_f64 v[0:1], v[0:1], v[8:9]
	v_add_f64 v[4:5], v[2:3], v[10:11]
	s_waitcnt lgkmcnt(1)
	v_add_f64 v[6:7], v[0:1], v[12:13]
	ds_read_b128 v[0:3], v43 offset:64
	v_add_f64 v[4:5], v[4:5], v[14:15]
	s_waitcnt lgkmcnt(1)
	v_add_f64 v[8:9], v[6:7], v[16:17]
	v_add_f64 v[12:13], v[4:5], v[18:19]
	ds_read_b128 v[4:7], v43 offset:80
	s_waitcnt lgkmcnt(1)
	v_add_f64 v[14:15], v[8:9], v[0:1]
	ds_read_b128 v[8:11], v43 offset:96
	v_add_f64 v[12:13], v[12:13], v[2:3]
	ds_read_b128 v[0:3], v43 offset:112
	s_waitcnt lgkmcnt(2)
	v_add_f64 v[4:5], v[14:15], v[4:5]
	v_add_f64 v[6:7], v[12:13], v[6:7]
	s_waitcnt lgkmcnt(1)
	v_add_f64 v[4:5], v[4:5], v[8:9]
	v_add_f64 v[6:7], v[6:7], v[10:11]
	;; [unrolled: 3-line block ×3, first 2 shown]
.LBB190_95:
	s_or_b64 exec, exec, s[6:7]
	s_load_dwordx2 s[0:1], s[0:1], 0x78
	s_mul_hi_u32 s6, s33, s28
	s_mul_i32 s34, s34, s28
	s_add_i32 s6, s6, s34
	s_mul_i32 s8, s33, s28
	s_mul_i32 s6, s6, s3
	s_mul_hi_u32 s7, s8, s3
	s_add_i32 s7, s7, s6
	s_mul_i32 s6, s8, s3
	s_lshl_b64 s[6:7], s[6:7], 4
	s_waitcnt lgkmcnt(0)
	s_add_u32 s6, s0, s6
	s_addc_u32 s7, s1, s7
	s_mul_hi_i32 s1, s33, s2
	s_mul_i32 s0, s33, s2
	s_lshl_b64 s[0:1], s[0:1], 4
	s_add_u32 s8, s6, s0
	s_addc_u32 s9, s7, s1
	s_add_i32 s0, s2, 1
	s_cmp_ge_u32 s0, s3
	v_lshlrev_b32_e32 v166, 4, v202
	s_barrier
	s_cbranch_scc1 .LBB190_153
; %bb.96:
	s_mul_i32 s0, s20, s27
	s_mul_hi_u32 s1, s20, s26
	s_add_i32 s0, s1, s0
	s_mul_i32 s1, s21, s26
	s_add_i32 s1, s0, s1
	s_mul_i32 s0, s20, s26
	s_lshl_b64 s[0:1], s[0:1], 4
	v_mov_b32_e32 v4, s1
	v_subrev_co_u32_e32 v168, vcc, s0, v36
	s_movk_i32 s0, 0x10c0
	s_nop 0
	v_subb_co_u32_e32 v169, vcc, v37, v4, vcc
	v_lshrrev_b32_e32 v4, 4, v42
	v_lshlrev_b32_e32 v6, 6, v4
	v_mul_i32_i24_e32 v44, 0xffffffd0, v4
	v_and_b32_e32 v4, 48, v202
	v_and_b32_e32 v5, 15, v202
	v_lshlrev_b32_e32 v43, 6, v203
	v_mad_u32_u24 v208, v203, s0, v166
	s_movk_i32 s0, 0x430
	v_lshlrev_b32_e32 v4, 4, v4
	v_mad_u32_u24 v210, v5, s0, v4
	v_or_b32_e32 v4, 0xf0, v166
	v_add_u32_e32 v7, 0x220, v43
	v_mad_u32_u24 v209, v5, s0, v6
	v_mad_u32_u24 v211, v5, s0, v4
	v_mad_u64_u32 v[4:5], s[0:1], s24, v7, 0
	v_mov_b32_e32 v6, v5
	v_lshlrev_b64 v[8:9], 4, v[38:39]
	v_mad_u64_u32 v[6:7], s[0:1], s25, v7, v[6:7]
	v_sub_co_u32_e32 v4, vcc, v4, v8
	v_add_u32_e32 v11, 0x530, v43
	s_nop 0
	v_subb_co_u32_e32 v5, vcc, v6, v9, vcc
	v_mad_u64_u32 v[6:7], s[0:1], s24, v11, 0
	v_mov_b32_e32 v10, v7
	v_mad_u64_u32 v[10:11], s[0:1], s25, v11, v[10:11]
	v_sub_co_u32_e32 v6, vcc, v6, v8
	v_add_u32_e32 v13, 0x210, v43
	s_nop 0
	v_subb_co_u32_e32 v7, vcc, v10, v9, vcc
	v_mad_u64_u32 v[10:11], s[0:1], s24, v13, 0
	v_mov_b32_e32 v12, v11
	;; [unrolled: 7-line block ×15, first 2 shown]
	v_mad_u64_u32 v[38:39], s[0:1], s25, v39, v[38:39]
	v_lshl_add_u64 v[170:171], v[40:41], 0, v[4:5]
	v_sub_co_u32_e32 v4, vcc, v36, v8
	v_lshlrev_b32_e32 v204, 2, v203
	v_mov_b32_e32 v167, 0
	v_subb_co_u32_e32 v5, vcc, v38, v9, vcc
	s_add_i32 s19, s3, -2
	v_add_u32_e32 v205, 0x4300, v166
	v_add_u32_e32 v206, 0x4300, v43
	;; [unrolled: 1-line block ×3, first 2 shown]
	v_cmp_gt_u32_e64 s[6:7], 64, v42
	v_or_b32_e32 v212, 1, v204
	v_or_b32_e32 v213, 2, v204
	;; [unrolled: 1-line block ×3, first 2 shown]
	v_add_u32_e32 v215, 16, v204
	v_add_u32_e32 v216, 17, v204
	;; [unrolled: 1-line block ×12, first 2 shown]
	s_add_i32 s26, s26, 64
	s_lshl_b64 s[10:11], s[24:25], 10
	v_lshl_add_u64 v[172:173], v[40:41], 0, v[6:7]
	v_lshl_add_u64 v[174:175], v[40:41], 0, v[10:11]
	;; [unrolled: 1-line block ×15, first 2 shown]
	v_add_u32_e32 v227, v209, v44
	v_mov_b32_e32 v228, v167
	v_mov_b32_e32 v229, v167
	;; [unrolled: 1-line block ×4, first 2 shown]
	s_cmp_eq_u32 s19, s2
	s_cselect_b32 s24, s29, 0
	s_and_saveexec_b64 s[0:1], s[4:5]
	s_cbranch_execz .LBB190_102
	s_branch .LBB190_98
.LBB190_97:                             ;   in Loop: Header=BB190_102 Depth=1
	s_mov_b32 s2, s0
	s_cmp_eq_u32 s19, s2
	s_cselect_b32 s24, s29, 0
	s_and_saveexec_b64 s[0:1], s[4:5]
	s_cbranch_execz .LBB190_102
.LBB190_98:
	s_cmp_lg_u32 s24, 0
	s_cselect_b64 s[12:13], -1, 0
	v_cmp_le_i32_e32 vcc, s24, v202
	s_and_b64 s[12:13], s[12:13], vcc
	s_and_saveexec_b64 s[14:15], s[12:13]
	s_xor_b64 s[12:13], exec, s[14:15]
; %bb.99:
	ds_write_b128 v205, v[228:231]
; %bb.100:
	s_andn2_saveexec_b64 s[12:13], s[12:13]
	s_cbranch_execz .LBB190_102
; %bb.101:
	s_ashr_i32 s12, s26, 31
	s_mul_hi_u32 s13, s20, s26
	s_mul_i32 s12, s20, s12
	s_add_i32 s12, s13, s12
	s_mul_i32 s13, s21, s26
	s_add_i32 s13, s12, s13
	s_mul_i32 s12, s20, s26
	v_lshl_add_u64 v[4:5], s[12:13], 4, v[168:169]
	flat_load_dwordx4 v[4:7], v[4:5]
	s_waitcnt vmcnt(0) lgkmcnt(0)
	ds_write2_b64 v205, v[4:5], v[6:7] offset1:1
.LBB190_102:                            ; =>This Inner Loop Header: Depth=1
	s_or_b64 exec, exec, s[0:1]
	s_cmp_eq_u32 s24, 0
	s_cselect_b64 s[12:13], -1, 0
	s_cmp_lg_u32 s24, 0
	s_cselect_b64 s[14:15], -1, 0
	v_lshl_add_u64 v[16:17], v[178:179], 0, v[166:167]
	s_and_b64 vcc, exec, s[14:15]
	s_waitcnt lgkmcnt(0)
	s_barrier
	s_cbranch_vccz .LBB190_110
; %bb.103:                              ;   in Loop: Header=BB190_102 Depth=1
	v_cmp_gt_i32_e32 vcc, s24, v204
	v_mov_b64_e32 v[8:9], 0
	v_mov_b64_e32 v[4:5], 0
	;; [unrolled: 1-line block ×3, first 2 shown]
	s_and_saveexec_b64 s[0:1], vcc
	s_cbranch_execz .LBB190_105
; %bb.104:                              ;   in Loop: Header=BB190_102 Depth=1
	flat_load_dwordx4 v[4:7], v[16:17]
.LBB190_105:                            ;   in Loop: Header=BB190_102 Depth=1
	s_or_b64 exec, exec, s[0:1]
	v_cmp_gt_i32_e32 vcc, s24, v212
	v_mov_b64_e32 v[10:11], 0
	s_and_saveexec_b64 s[0:1], vcc
	s_cbranch_execz .LBB190_107
; %bb.106:                              ;   in Loop: Header=BB190_102 Depth=1
	v_lshl_add_u64 v[8:9], v[174:175], 0, v[166:167]
	flat_load_dwordx4 v[8:11], v[8:9]
.LBB190_107:                            ;   in Loop: Header=BB190_102 Depth=1
	s_or_b64 exec, exec, s[0:1]
	v_cmp_gt_i32_e32 vcc, s24, v213
	v_mov_b64_e32 v[12:13], 0
	v_mov_b64_e32 v[14:15], 0
	s_and_saveexec_b64 s[0:1], vcc
	s_cbranch_execz .LBB190_109
; %bb.108:                              ;   in Loop: Header=BB190_102 Depth=1
	v_lshl_add_u64 v[12:13], v[170:171], 0, v[166:167]
	flat_load_dwordx4 v[12:15], v[12:13]
.LBB190_109:                            ;   in Loop: Header=BB190_102 Depth=1
	s_or_b64 exec, exec, s[0:1]
	v_cmp_gt_i32_e64 s[0:1], s24, v214
	s_branch .LBB190_112
.LBB190_110:                            ;   in Loop: Header=BB190_102 Depth=1
	s_mov_b64 s[0:1], 0
                                        ; implicit-def: $vgpr14_vgpr15
                                        ; implicit-def: $vgpr10_vgpr11
                                        ; implicit-def: $vgpr6_vgpr7
	s_cbranch_execz .LBB190_112
; %bb.111:                              ;   in Loop: Header=BB190_102 Depth=1
	s_waitcnt vmcnt(0) lgkmcnt(0)
	v_lshl_add_u64 v[8:9], v[174:175], 0, v[166:167]
	v_lshl_add_u64 v[12:13], v[170:171], 0, v[166:167]
	flat_load_dwordx4 v[4:7], v[16:17]
	s_or_b64 s[0:1], s[0:1], exec
	flat_load_dwordx4 v[8:11], v[8:9]
	s_nop 0
	flat_load_dwordx4 v[12:15], v[12:13]
.LBB190_112:                            ;   in Loop: Header=BB190_102 Depth=1
	v_mov_b64_e32 v[16:17], 0
	v_mov_b64_e32 v[18:19], 0
	s_and_saveexec_b64 s[16:17], s[0:1]
	s_cbranch_execz .LBB190_114
; %bb.113:                              ;   in Loop: Header=BB190_102 Depth=1
	v_lshl_add_u64 v[16:17], v[182:183], 0, v[166:167]
	flat_load_dwordx4 v[16:19], v[16:17]
.LBB190_114:                            ;   in Loop: Header=BB190_102 Depth=1
	s_or_b64 exec, exec, s[16:17]
	ds_read_b128 v[36:39], v207
	ds_read_b128 v[32:35], v206
	ds_read_b128 v[28:31], v206 offset:16
	ds_read_b128 v[24:27], v206 offset:32
	ds_read_b128 v[20:23], v206 offset:48
	s_waitcnt vmcnt(0) lgkmcnt(0)
	v_mul_f64 v[40:41], v[6:7], v[38:39]
	v_mul_f64 v[42:43], v[4:5], v[38:39]
	v_fma_f64 v[40:41], v[4:5], v[36:37], -v[40:41]
	v_fmac_f64_e32 v[42:43], v[6:7], v[36:37]
	ds_write_b128 v208, v[40:43]
	v_mul_f64 v[40:41], v[10:11], v[38:39]
	v_mul_f64 v[42:43], v[8:9], v[38:39]
	v_fma_f64 v[40:41], v[8:9], v[36:37], -v[40:41]
	v_fmac_f64_e32 v[42:43], v[10:11], v[36:37]
	ds_write_b128 v208, v[40:43] offset:1072
	v_mul_f64 v[40:41], v[14:15], v[38:39]
	v_mul_f64 v[42:43], v[12:13], v[38:39]
	v_fma_f64 v[40:41], v[12:13], v[36:37], -v[40:41]
	v_fmac_f64_e32 v[42:43], v[14:15], v[36:37]
	ds_write_b128 v208, v[40:43] offset:2144
	;; [unrolled: 5-line block ×3, first 2 shown]
	s_waitcnt lgkmcnt(0)
	s_barrier
	ds_read_b128 v[92:95], v209
	ds_read_b128 v[88:91], v209 offset:16
	ds_read_b128 v[84:87], v209 offset:32
	ds_read_b128 v[80:83], v209 offset:48
	v_cndmask_b32_e64 v36, 0, 1, s[14:15]
	v_cmp_ne_u32_e64 s[0:1], 1, v36
	s_andn2_b64 vcc, exec, s[14:15]
	v_lshl_add_u64 v[48:49], v[194:195], 0, v[166:167]
	s_waitcnt lgkmcnt(0)
	s_barrier
	s_cbranch_vccnz .LBB190_122
; %bb.115:                              ;   in Loop: Header=BB190_102 Depth=1
	v_cmp_gt_i32_e32 vcc, s24, v215
	v_mov_b64_e32 v[40:41], 0
	v_mov_b64_e32 v[36:37], 0
	;; [unrolled: 1-line block ×3, first 2 shown]
	s_and_saveexec_b64 s[14:15], vcc
	s_cbranch_execz .LBB190_117
; %bb.116:                              ;   in Loop: Header=BB190_102 Depth=1
	flat_load_dwordx4 v[36:39], v[48:49]
.LBB190_117:                            ;   in Loop: Header=BB190_102 Depth=1
	s_or_b64 exec, exec, s[14:15]
	v_cmp_gt_i32_e32 vcc, s24, v216
	v_mov_b64_e32 v[42:43], 0
	s_and_saveexec_b64 s[14:15], vcc
	s_cbranch_execz .LBB190_119
; %bb.118:                              ;   in Loop: Header=BB190_102 Depth=1
	v_lshl_add_u64 v[40:41], v[190:191], 0, v[166:167]
	flat_load_dwordx4 v[40:43], v[40:41]
.LBB190_119:                            ;   in Loop: Header=BB190_102 Depth=1
	s_or_b64 exec, exec, s[14:15]
	v_cmp_gt_i32_e32 vcc, s24, v217
	v_mov_b64_e32 v[44:45], 0
	v_mov_b64_e32 v[46:47], 0
	s_and_saveexec_b64 s[14:15], vcc
	s_cbranch_execz .LBB190_121
; %bb.120:                              ;   in Loop: Header=BB190_102 Depth=1
	v_lshl_add_u64 v[44:45], v[184:185], 0, v[166:167]
	flat_load_dwordx4 v[44:47], v[44:45]
.LBB190_121:                            ;   in Loop: Header=BB190_102 Depth=1
	s_or_b64 exec, exec, s[14:15]
	v_cmp_gt_i32_e64 s[14:15], s24, v218
	s_branch .LBB190_124
.LBB190_122:                            ;   in Loop: Header=BB190_102 Depth=1
	s_mov_b64 s[14:15], 0
                                        ; implicit-def: $vgpr46_vgpr47
                                        ; implicit-def: $vgpr42_vgpr43
                                        ; implicit-def: $vgpr38_vgpr39
	s_cbranch_execz .LBB190_124
; %bb.123:                              ;   in Loop: Header=BB190_102 Depth=1
	s_waitcnt vmcnt(0) lgkmcnt(0)
	v_lshl_add_u64 v[40:41], v[190:191], 0, v[166:167]
	v_lshl_add_u64 v[44:45], v[184:185], 0, v[166:167]
	flat_load_dwordx4 v[36:39], v[48:49]
	s_or_b64 s[14:15], s[14:15], exec
	flat_load_dwordx4 v[40:43], v[40:41]
	s_nop 0
	flat_load_dwordx4 v[44:47], v[44:45]
.LBB190_124:                            ;   in Loop: Header=BB190_102 Depth=1
	v_mov_b64_e32 v[48:49], 0
	v_mov_b64_e32 v[50:51], 0
	s_and_saveexec_b64 s[16:17], s[14:15]
	s_cbranch_execz .LBB190_126
; %bb.125:                              ;   in Loop: Header=BB190_102 Depth=1
	v_lshl_add_u64 v[48:49], v[198:199], 0, v[166:167]
	flat_load_dwordx4 v[48:51], v[48:49]
.LBB190_126:                            ;   in Loop: Header=BB190_102 Depth=1
	s_or_b64 exec, exec, s[16:17]
	ds_read_b128 v[68:71], v207
	ds_read_b128 v[64:67], v206 offset:256
	ds_read_b128 v[60:63], v206 offset:272
	;; [unrolled: 1-line block ×4, first 2 shown]
	s_waitcnt vmcnt(0) lgkmcnt(0)
	v_mul_f64 v[72:73], v[38:39], v[70:71]
	v_mul_f64 v[74:75], v[36:37], v[70:71]
	v_fma_f64 v[72:73], v[36:37], v[68:69], -v[72:73]
	v_fmac_f64_e32 v[74:75], v[38:39], v[68:69]
	ds_write_b128 v208, v[72:75]
	v_mul_f64 v[72:73], v[42:43], v[70:71]
	v_mul_f64 v[74:75], v[40:41], v[70:71]
	v_fma_f64 v[72:73], v[40:41], v[68:69], -v[72:73]
	v_fmac_f64_e32 v[74:75], v[42:43], v[68:69]
	ds_write_b128 v208, v[72:75] offset:1072
	v_mul_f64 v[72:73], v[46:47], v[70:71]
	v_mul_f64 v[74:75], v[44:45], v[70:71]
	v_fma_f64 v[72:73], v[44:45], v[68:69], -v[72:73]
	v_fmac_f64_e32 v[74:75], v[46:47], v[68:69]
	ds_write_b128 v208, v[72:75] offset:2144
	;; [unrolled: 5-line block ×3, first 2 shown]
	s_waitcnt lgkmcnt(0)
	s_barrier
	ds_read_b128 v[144:147], v209
	ds_read_b128 v[140:143], v209 offset:16
	ds_read_b128 v[136:139], v209 offset:32
	;; [unrolled: 1-line block ×3, first 2 shown]
	s_and_b64 vcc, exec, s[0:1]
	v_lshl_add_u64 v[96:97], v[192:193], 0, v[166:167]
	s_waitcnt lgkmcnt(0)
	s_barrier
	s_cbranch_vccnz .LBB190_134
; %bb.127:                              ;   in Loop: Header=BB190_102 Depth=1
	v_cmp_gt_i32_e32 vcc, s24, v219
	v_mov_b64_e32 v[72:73], 0
	v_mov_b64_e32 v[68:69], 0
	;; [unrolled: 1-line block ×3, first 2 shown]
	s_and_saveexec_b64 s[14:15], vcc
	s_cbranch_execz .LBB190_129
; %bb.128:                              ;   in Loop: Header=BB190_102 Depth=1
	flat_load_dwordx4 v[68:71], v[96:97]
.LBB190_129:                            ;   in Loop: Header=BB190_102 Depth=1
	s_or_b64 exec, exec, s[14:15]
	v_cmp_gt_i32_e32 vcc, s24, v220
	v_mov_b64_e32 v[74:75], 0
	s_and_saveexec_b64 s[14:15], vcc
	s_cbranch_execz .LBB190_131
; %bb.130:                              ;   in Loop: Header=BB190_102 Depth=1
	v_lshl_add_u64 v[72:73], v[196:197], 0, v[166:167]
	flat_load_dwordx4 v[72:75], v[72:73]
.LBB190_131:                            ;   in Loop: Header=BB190_102 Depth=1
	s_or_b64 exec, exec, s[14:15]
	v_cmp_gt_i32_e32 vcc, s24, v221
	v_mov_b64_e32 v[76:77], 0
	v_mov_b64_e32 v[78:79], 0
	s_and_saveexec_b64 s[14:15], vcc
	s_cbranch_execz .LBB190_133
; %bb.132:                              ;   in Loop: Header=BB190_102 Depth=1
	v_lshl_add_u64 v[76:77], v[200:201], 0, v[166:167]
	flat_load_dwordx4 v[76:79], v[76:77]
.LBB190_133:                            ;   in Loop: Header=BB190_102 Depth=1
	s_or_b64 exec, exec, s[14:15]
	v_cmp_gt_i32_e64 s[14:15], s24, v222
	s_branch .LBB190_136
.LBB190_134:                            ;   in Loop: Header=BB190_102 Depth=1
	s_mov_b64 s[14:15], 0
                                        ; implicit-def: $vgpr78_vgpr79
                                        ; implicit-def: $vgpr74_vgpr75
                                        ; implicit-def: $vgpr70_vgpr71
	s_cbranch_execz .LBB190_136
; %bb.135:                              ;   in Loop: Header=BB190_102 Depth=1
	s_waitcnt vmcnt(0) lgkmcnt(0)
	v_lshl_add_u64 v[72:73], v[196:197], 0, v[166:167]
	v_lshl_add_u64 v[76:77], v[200:201], 0, v[166:167]
	flat_load_dwordx4 v[68:71], v[96:97]
	s_or_b64 s[14:15], s[14:15], exec
	flat_load_dwordx4 v[72:75], v[72:73]
	s_nop 0
	flat_load_dwordx4 v[76:79], v[76:77]
.LBB190_136:                            ;   in Loop: Header=BB190_102 Depth=1
	v_mov_b64_e32 v[96:97], 0
	v_mov_b64_e32 v[98:99], 0
	s_and_saveexec_b64 s[16:17], s[14:15]
	s_cbranch_execz .LBB190_138
; %bb.137:                              ;   in Loop: Header=BB190_102 Depth=1
	v_lshl_add_u64 v[96:97], v[188:189], 0, v[166:167]
	flat_load_dwordx4 v[96:99], v[96:97]
.LBB190_138:                            ;   in Loop: Header=BB190_102 Depth=1
	s_or_b64 exec, exec, s[16:17]
	ds_read_b128 v[116:119], v207
	ds_read_b128 v[112:115], v206 offset:512
	ds_read_b128 v[108:111], v206 offset:528
	;; [unrolled: 1-line block ×4, first 2 shown]
	s_waitcnt vmcnt(0) lgkmcnt(0)
	v_mul_f64 v[120:121], v[70:71], v[118:119]
	v_mul_f64 v[122:123], v[68:69], v[118:119]
	v_fma_f64 v[120:121], v[68:69], v[116:117], -v[120:121]
	v_fmac_f64_e32 v[122:123], v[70:71], v[116:117]
	ds_write_b128 v208, v[120:123]
	v_mul_f64 v[120:121], v[74:75], v[118:119]
	v_mul_f64 v[122:123], v[72:73], v[118:119]
	v_fma_f64 v[120:121], v[72:73], v[116:117], -v[120:121]
	v_fmac_f64_e32 v[122:123], v[74:75], v[116:117]
	ds_write_b128 v208, v[120:123] offset:1072
	v_mul_f64 v[120:121], v[78:79], v[118:119]
	v_mul_f64 v[122:123], v[76:77], v[118:119]
	v_fma_f64 v[120:121], v[76:77], v[116:117], -v[120:121]
	v_fmac_f64_e32 v[122:123], v[78:79], v[116:117]
	ds_write_b128 v208, v[120:123] offset:2144
	;; [unrolled: 5-line block ×3, first 2 shown]
	s_waitcnt lgkmcnt(0)
	s_barrier
	ds_read_b128 v[160:163], v209
	ds_read_b128 v[156:159], v209 offset:16
	ds_read_b128 v[152:155], v209 offset:32
	;; [unrolled: 1-line block ×3, first 2 shown]
	s_and_b64 vcc, exec, s[0:1]
	v_lshl_add_u64 v[128:129], v[176:177], 0, v[166:167]
	s_waitcnt lgkmcnt(0)
	s_barrier
	s_cbranch_vccnz .LBB190_146
; %bb.139:                              ;   in Loop: Header=BB190_102 Depth=1
	v_cmp_gt_i32_e32 vcc, s24, v223
	v_mov_b64_e32 v[120:121], 0
	v_mov_b64_e32 v[116:117], 0
	;; [unrolled: 1-line block ×3, first 2 shown]
	s_and_saveexec_b64 s[0:1], vcc
	s_cbranch_execz .LBB190_141
; %bb.140:                              ;   in Loop: Header=BB190_102 Depth=1
	flat_load_dwordx4 v[116:119], v[128:129]
.LBB190_141:                            ;   in Loop: Header=BB190_102 Depth=1
	s_or_b64 exec, exec, s[0:1]
	v_cmp_gt_i32_e32 vcc, s24, v224
	v_mov_b64_e32 v[122:123], 0
	s_and_saveexec_b64 s[0:1], vcc
	s_cbranch_execz .LBB190_143
; %bb.142:                              ;   in Loop: Header=BB190_102 Depth=1
	v_lshl_add_u64 v[120:121], v[180:181], 0, v[166:167]
	flat_load_dwordx4 v[120:123], v[120:121]
.LBB190_143:                            ;   in Loop: Header=BB190_102 Depth=1
	s_or_b64 exec, exec, s[0:1]
	v_cmp_gt_i32_e32 vcc, s24, v225
	v_mov_b64_e32 v[124:125], 0
	v_mov_b64_e32 v[126:127], 0
	s_and_saveexec_b64 s[0:1], vcc
	s_cbranch_execz .LBB190_145
; %bb.144:                              ;   in Loop: Header=BB190_102 Depth=1
	v_lshl_add_u64 v[124:125], v[186:187], 0, v[166:167]
	flat_load_dwordx4 v[124:127], v[124:125]
.LBB190_145:                            ;   in Loop: Header=BB190_102 Depth=1
	s_or_b64 exec, exec, s[0:1]
	v_cmp_gt_i32_e64 s[0:1], s24, v226
	s_branch .LBB190_148
.LBB190_146:                            ;   in Loop: Header=BB190_102 Depth=1
	s_mov_b64 s[0:1], 0
                                        ; implicit-def: $vgpr126_vgpr127
                                        ; implicit-def: $vgpr122_vgpr123
                                        ; implicit-def: $vgpr118_vgpr119
	s_cbranch_execz .LBB190_148
; %bb.147:                              ;   in Loop: Header=BB190_102 Depth=1
	s_waitcnt vmcnt(0) lgkmcnt(0)
	v_lshl_add_u64 v[120:121], v[180:181], 0, v[166:167]
	v_lshl_add_u64 v[124:125], v[186:187], 0, v[166:167]
	flat_load_dwordx4 v[116:119], v[128:129]
	s_or_b64 s[0:1], s[0:1], exec
	flat_load_dwordx4 v[120:123], v[120:121]
	s_nop 0
	flat_load_dwordx4 v[124:127], v[124:125]
.LBB190_148:                            ;   in Loop: Header=BB190_102 Depth=1
	v_mov_b64_e32 v[128:129], 0
	v_mov_b64_e32 v[130:131], 0
	s_and_saveexec_b64 s[14:15], s[0:1]
	s_cbranch_execz .LBB190_150
; %bb.149:                              ;   in Loop: Header=BB190_102 Depth=1
	v_lshl_add_u64 v[128:129], v[172:173], 0, v[166:167]
	flat_load_dwordx4 v[128:131], v[128:129]
.LBB190_150:                            ;   in Loop: Header=BB190_102 Depth=1
	s_or_b64 exec, exec, s[14:15]
	v_add_f64 v[160:161], v[160:161], 0
	v_add_f64 v[144:145], v[144:145], 0
	;; [unrolled: 1-line block ×19, first 2 shown]
	ds_read_b128 v[140:143], v207
	ds_read_b128 v[132:135], v206 offset:768
	ds_read_b128 v[92:95], v206 offset:784
	;; [unrolled: 1-line block ×4, first 2 shown]
	s_waitcnt vmcnt(0) lgkmcnt(0)
	v_mul_f64 v[144:145], v[118:119], v[142:143]
	v_mul_f64 v[146:147], v[116:117], v[142:143]
	v_fma_f64 v[144:145], v[116:117], v[140:141], -v[144:145]
	v_fmac_f64_e32 v[146:147], v[118:119], v[140:141]
	ds_write_b128 v208, v[144:147]
	v_mul_f64 v[144:145], v[122:123], v[142:143]
	v_mul_f64 v[146:147], v[120:121], v[142:143]
	v_fma_f64 v[144:145], v[120:121], v[140:141], -v[144:145]
	v_fmac_f64_e32 v[146:147], v[122:123], v[140:141]
	ds_write_b128 v208, v[144:147] offset:1072
	v_mul_f64 v[144:145], v[126:127], v[142:143]
	v_mul_f64 v[146:147], v[124:125], v[142:143]
	v_fma_f64 v[144:145], v[124:125], v[140:141], -v[144:145]
	v_fmac_f64_e32 v[146:147], v[126:127], v[140:141]
	ds_write_b128 v208, v[144:147] offset:2144
	v_mul_f64 v[144:145], v[130:131], v[142:143]
	v_mul_f64 v[146:147], v[128:129], v[142:143]
	v_fma_f64 v[144:145], v[128:129], v[140:141], -v[144:145]
	v_fmac_f64_e32 v[146:147], v[130:131], v[140:141]
	v_add_f64 v[162:163], v[162:163], 0
	ds_write_b128 v208, v[144:147] offset:3216
	s_waitcnt lgkmcnt(0)
	s_barrier
	ds_read_b128 v[140:143], v209
	v_add_f64 v[158:159], v[162:163], v[158:159]
	v_add_f64 v[154:155], v[158:159], v[154:155]
	;; [unrolled: 1-line block ×4, first 2 shown]
	ds_read_b128 v[144:147], v209 offset:16
	ds_read_b128 v[152:155], v209 offset:32
	;; [unrolled: 1-line block ×3, first 2 shown]
	s_waitcnt lgkmcnt(3)
	v_add_f64 v[140:141], v[140:141], 0
	v_add_f64 v[142:143], v[142:143], 0
	v_cmp_gt_i32_e32 vcc, s24, v202
	s_waitcnt lgkmcnt(2)
	v_add_f64 v[140:141], v[140:141], v[144:145]
	v_add_f64 v[142:143], v[142:143], v[146:147]
	s_or_b64 s[0:1], s[12:13], vcc
	s_waitcnt lgkmcnt(1)
	v_add_f64 v[140:141], v[140:141], v[152:153]
	v_add_f64 v[142:143], v[142:143], v[154:155]
	s_and_b64 s[12:13], s[6:7], s[0:1]
	s_waitcnt lgkmcnt(0)
	v_add_f64 v[140:141], v[140:141], v[156:157]
	v_add_f64 v[142:143], v[142:143], v[158:159]
	s_barrier
	ds_write_b128 v227, v[80:83]
	ds_write_b128 v227, v[136:139] offset:256
	ds_write_b128 v227, v[148:151] offset:512
	;; [unrolled: 1-line block ×3, first 2 shown]
	s_waitcnt lgkmcnt(0)
	s_barrier
	s_and_saveexec_b64 s[0:1], s[12:13]
	s_cbranch_execz .LBB190_152
; %bb.151:                              ;   in Loop: Header=BB190_102 Depth=1
	ds_read_b128 v[80:83], v210
	ds_read_b128 v[136:139], v210 offset:16
	ds_read_b128 v[140:143], v210 offset:32
	;; [unrolled: 1-line block ×3, first 2 shown]
	s_waitcnt lgkmcnt(2)
	v_add_f64 v[80:81], v[136:137], v[80:81]
	v_add_f64 v[136:137], v[138:139], v[82:83]
	s_waitcnt lgkmcnt(1)
	v_add_f64 v[138:139], v[80:81], v[140:141]
	ds_read_b128 v[80:83], v210 offset:64
	v_add_f64 v[140:141], v[136:137], v[142:143]
	s_waitcnt lgkmcnt(1)
	v_add_f64 v[142:143], v[138:139], v[144:145]
	ds_read_b128 v[136:139], v210 offset:80
	;; [unrolled: 4-line block ×9, first 2 shown]
	v_add_f64 v[82:83], v[144:145], v[82:83]
	s_waitcnt lgkmcnt(1)
	v_add_f64 v[136:137], v[80:81], v[136:137]
	v_add_f64 v[144:145], v[82:83], v[138:139]
	ds_read_b128 v[80:83], v210 offset:208
	s_waitcnt lgkmcnt(1)
	v_add_f64 v[146:147], v[136:137], v[140:141]
	ds_read_b128 v[136:139], v210 offset:224
	v_add_f64 v[144:145], v[144:145], v[142:143]
	ds_read_b128 v[140:143], v211
	s_waitcnt lgkmcnt(2)
	v_add_f64 v[80:81], v[146:147], v[80:81]
	v_add_f64 v[82:83], v[144:145], v[82:83]
	s_waitcnt lgkmcnt(1)
	v_add_f64 v[80:81], v[80:81], v[136:137]
	v_add_u32_e32 v136, s26, v202
	v_add_f64 v[82:83], v[82:83], v[138:139]
	v_ashrrev_i32_e32 v137, 31, v136
	s_waitcnt lgkmcnt(0)
	v_add_f64 v[80:81], v[80:81], v[140:141]
	v_add_f64 v[82:83], v[82:83], v[142:143]
	v_lshl_add_u64 v[136:137], v[136:137], 4, s[8:9]
	global_store_dwordx4 v[136:137], v[80:83], off
.LBB190_152:                            ;   in Loop: Header=BB190_102 Depth=1
	s_or_b64 exec, exec, s[0:1]
	s_nop 0
	v_mul_f64 v[80:81], v[6:7], v[34:35]
	v_fma_f64 v[80:81], v[4:5], v[32:33], -v[80:81]
	v_mul_f64 v[4:5], v[4:5], v[34:35]
	v_mul_f64 v[34:35], v[10:11], v[30:31]
	v_add_f64 v[0:1], v[0:1], v[80:81]
	v_fma_f64 v[34:35], v[8:9], v[28:29], -v[34:35]
	v_mul_f64 v[8:9], v[8:9], v[30:31]
	v_mul_f64 v[30:31], v[14:15], v[26:27]
	v_add_f64 v[0:1], v[0:1], v[34:35]
	v_fma_f64 v[30:31], v[12:13], v[24:25], -v[30:31]
	v_mul_f64 v[12:13], v[12:13], v[26:27]
	v_mul_f64 v[26:27], v[18:19], v[22:23]
	v_fmac_f64_e32 v[4:5], v[6:7], v[32:33]
	v_add_f64 v[0:1], v[0:1], v[30:31]
	v_fma_f64 v[26:27], v[16:17], v[20:21], -v[26:27]
	v_add_f64 v[2:3], v[2:3], v[4:5]
	v_mul_f64 v[4:5], v[38:39], v[66:67]
	v_add_f64 v[0:1], v[0:1], v[26:27]
	v_fma_f64 v[4:5], v[36:37], v[64:65], -v[4:5]
	v_add_f64 v[0:1], v[0:1], v[4:5]
	v_mul_f64 v[4:5], v[42:43], v[62:63]
	v_fma_f64 v[4:5], v[40:41], v[60:61], -v[4:5]
	v_add_f64 v[0:1], v[0:1], v[4:5]
	v_mul_f64 v[4:5], v[46:47], v[58:59]
	;; [unrolled: 3-line block ×4, first 2 shown]
	v_fmac_f64_e32 v[8:9], v[10:11], v[28:29]
	v_fma_f64 v[4:5], v[68:69], v[112:113], -v[4:5]
	v_mul_f64 v[16:17], v[16:17], v[22:23]
	v_add_f64 v[2:3], v[2:3], v[8:9]
	v_fmac_f64_e32 v[12:13], v[14:15], v[24:25]
	v_add_f64 v[0:1], v[0:1], v[4:5]
	v_mul_f64 v[4:5], v[74:75], v[110:111]
	v_add_f64 v[2:3], v[2:3], v[12:13]
	v_fmac_f64_e32 v[16:17], v[18:19], v[20:21]
	v_mul_f64 v[6:7], v[36:37], v[66:67]
	v_fma_f64 v[4:5], v[72:73], v[108:109], -v[4:5]
	v_add_f64 v[2:3], v[2:3], v[16:17]
	v_mul_f64 v[8:9], v[40:41], v[62:63]
	v_fmac_f64_e32 v[6:7], v[38:39], v[64:65]
	v_add_f64 v[0:1], v[0:1], v[4:5]
	v_mul_f64 v[4:5], v[78:79], v[106:107]
	v_mul_f64 v[10:11], v[44:45], v[58:59]
	v_add_f64 v[2:3], v[2:3], v[6:7]
	v_fmac_f64_e32 v[8:9], v[42:43], v[60:61]
	v_fma_f64 v[4:5], v[76:77], v[104:105], -v[4:5]
	v_mul_f64 v[12:13], v[48:49], v[54:55]
	v_add_f64 v[2:3], v[2:3], v[8:9]
	v_fmac_f64_e32 v[10:11], v[46:47], v[56:57]
	v_add_f64 v[0:1], v[0:1], v[4:5]
	v_mul_f64 v[4:5], v[98:99], v[102:103]
	v_add_f64 v[2:3], v[2:3], v[10:11]
	v_fmac_f64_e32 v[12:13], v[50:51], v[52:53]
	v_mul_f64 v[6:7], v[68:69], v[114:115]
	v_fma_f64 v[4:5], v[96:97], v[100:101], -v[4:5]
	v_add_f64 v[2:3], v[2:3], v[12:13]
	v_mul_f64 v[8:9], v[72:73], v[110:111]
	v_add_f64 v[0:1], v[0:1], v[4:5]
	v_fmac_f64_e32 v[6:7], v[70:71], v[112:113]
	v_mul_f64 v[4:5], v[118:119], v[134:135]
	v_mul_f64 v[10:11], v[76:77], v[106:107]
	v_add_f64 v[2:3], v[2:3], v[6:7]
	v_fmac_f64_e32 v[8:9], v[74:75], v[108:109]
	v_fma_f64 v[4:5], v[116:117], v[132:133], -v[4:5]
	v_mul_f64 v[12:13], v[96:97], v[102:103]
	v_add_f64 v[2:3], v[2:3], v[8:9]
	v_fmac_f64_e32 v[10:11], v[78:79], v[104:105]
	v_add_f64 v[0:1], v[0:1], v[4:5]
	v_mul_f64 v[4:5], v[122:123], v[94:95]
	v_add_f64 v[2:3], v[2:3], v[10:11]
	v_fmac_f64_e32 v[12:13], v[98:99], v[100:101]
	v_mul_f64 v[6:7], v[116:117], v[134:135]
	v_fma_f64 v[4:5], v[120:121], v[92:93], -v[4:5]
	v_add_f64 v[2:3], v[2:3], v[12:13]
	v_mul_f64 v[8:9], v[120:121], v[94:95]
	v_add_f64 v[0:1], v[0:1], v[4:5]
	v_mul_f64 v[4:5], v[126:127], v[90:91]
	v_fmac_f64_e32 v[6:7], v[118:119], v[132:133]
	v_fma_f64 v[4:5], v[124:125], v[88:89], -v[4:5]
	v_mul_f64 v[10:11], v[124:125], v[90:91]
	v_fmac_f64_e32 v[8:9], v[122:123], v[92:93]
	v_add_f64 v[2:3], v[2:3], v[6:7]
	v_add_f64 v[0:1], v[0:1], v[4:5]
	v_mul_f64 v[4:5], v[130:131], v[86:87]
	v_mul_f64 v[12:13], v[128:129], v[86:87]
	v_fmac_f64_e32 v[10:11], v[126:127], v[88:89]
	v_add_f64 v[2:3], v[2:3], v[8:9]
	v_fma_f64 v[4:5], v[128:129], v[84:85], -v[4:5]
	v_fmac_f64_e32 v[12:13], v[130:131], v[84:85]
	v_add_f64 v[2:3], v[2:3], v[10:11]
	s_add_i32 s0, s2, 1
	s_add_i32 s26, s26, 64
	;; [unrolled: 1-line block ×3, first 2 shown]
	v_add_f64 v[0:1], v[0:1], v[4:5]
	v_add_f64 v[2:3], v[2:3], v[12:13]
	v_lshl_add_u64 v[170:171], v[170:171], 0, s[10:11]
	v_lshl_add_u64 v[172:173], v[172:173], 0, s[10:11]
	;; [unrolled: 1-line block ×15, first 2 shown]
	s_cmp_ge_u32 s1, s3
	v_lshl_add_u64 v[200:201], v[200:201], 0, s[10:11]
	s_barrier
	s_cbranch_scc0 .LBB190_97
.LBB190_153:
	s_movk_i32 s0, 0x430
	v_cmp_gt_i32_e32 vcc, s18, v202
	v_mad_u32_u24 v4, v203, s0, v166
	s_or_b64 s[0:1], s[22:23], vcc
	s_and_b64 s[0:1], s[4:5], s[0:1]
	ds_write_b128 v4, v[0:3]
	s_waitcnt lgkmcnt(0)
	s_barrier
	s_and_saveexec_b64 s[2:3], s[0:1]
	s_cbranch_execz .LBB190_155
; %bb.154:
	ds_read_b128 v[0:3], v166 offset:1072
	ds_read_b128 v[4:7], v166
	ds_read_b128 v[8:11], v166 offset:2144
	ds_read_b128 v[12:15], v166 offset:3216
	s_waitcnt lgkmcnt(2)
	v_add_f64 v[0:1], v[0:1], v[4:5]
	v_add_f64 v[2:3], v[2:3], v[6:7]
	s_waitcnt lgkmcnt(1)
	v_add_f64 v[0:1], v[0:1], v[8:9]
	v_add_f64 v[2:3], v[2:3], v[10:11]
	;; [unrolled: 3-line block ×3, first 2 shown]
	v_lshl_add_u64 v[4:5], v[164:165], 4, s[8:9]
	global_store_dwordx4 v[4:5], v[0:3], off
.LBB190_155:
	s_endpgm
	.section	.rodata,"a",@progbits
	.p2align	6, 0x0
	.amdhsa_kernel _ZL26rocblas_hemvn_kernel_upperILb0ELi64ELi4ELi33ELi32ELi16El19rocblas_complex_numIdEPKPKS1_PS1_EviT6_lT7_lT5_lS8_lS9_lS7_lT8_i
		.amdhsa_group_segment_fixed_size 19200
		.amdhsa_private_segment_fixed_size 0
		.amdhsa_kernarg_size 392
		.amdhsa_user_sgpr_count 2
		.amdhsa_user_sgpr_dispatch_ptr 0
		.amdhsa_user_sgpr_queue_ptr 0
		.amdhsa_user_sgpr_kernarg_segment_ptr 1
		.amdhsa_user_sgpr_dispatch_id 0
		.amdhsa_user_sgpr_kernarg_preload_length 0
		.amdhsa_user_sgpr_kernarg_preload_offset 0
		.amdhsa_user_sgpr_private_segment_size 0
		.amdhsa_uses_dynamic_stack 0
		.amdhsa_enable_private_segment 0
		.amdhsa_system_sgpr_workgroup_id_x 1
		.amdhsa_system_sgpr_workgroup_id_y 0
		.amdhsa_system_sgpr_workgroup_id_z 1
		.amdhsa_system_sgpr_workgroup_info 0
		.amdhsa_system_vgpr_workitem_id 1
		.amdhsa_next_free_vgpr 232
		.amdhsa_next_free_sgpr 38
		.amdhsa_accum_offset 232
		.amdhsa_reserve_vcc 1
		.amdhsa_float_round_mode_32 0
		.amdhsa_float_round_mode_16_64 0
		.amdhsa_float_denorm_mode_32 3
		.amdhsa_float_denorm_mode_16_64 3
		.amdhsa_dx10_clamp 1
		.amdhsa_ieee_mode 1
		.amdhsa_fp16_overflow 0
		.amdhsa_tg_split 0
		.amdhsa_exception_fp_ieee_invalid_op 0
		.amdhsa_exception_fp_denorm_src 0
		.amdhsa_exception_fp_ieee_div_zero 0
		.amdhsa_exception_fp_ieee_overflow 0
		.amdhsa_exception_fp_ieee_underflow 0
		.amdhsa_exception_fp_ieee_inexact 0
		.amdhsa_exception_int_div_zero 0
	.end_amdhsa_kernel
	.section	.text._ZL26rocblas_hemvn_kernel_upperILb0ELi64ELi4ELi33ELi32ELi16El19rocblas_complex_numIdEPKPKS1_PS1_EviT6_lT7_lT5_lS8_lS9_lS7_lT8_i,"axG",@progbits,_ZL26rocblas_hemvn_kernel_upperILb0ELi64ELi4ELi33ELi32ELi16El19rocblas_complex_numIdEPKPKS1_PS1_EviT6_lT7_lT5_lS8_lS9_lS7_lT8_i,comdat
.Lfunc_end190:
	.size	_ZL26rocblas_hemvn_kernel_upperILb0ELi64ELi4ELi33ELi32ELi16El19rocblas_complex_numIdEPKPKS1_PS1_EviT6_lT7_lT5_lS8_lS9_lS7_lT8_i, .Lfunc_end190-_ZL26rocblas_hemvn_kernel_upperILb0ELi64ELi4ELi33ELi32ELi16El19rocblas_complex_numIdEPKPKS1_PS1_EviT6_lT7_lT5_lS8_lS9_lS7_lT8_i
                                        ; -- End function
	.set _ZL26rocblas_hemvn_kernel_upperILb0ELi64ELi4ELi33ELi32ELi16El19rocblas_complex_numIdEPKPKS1_PS1_EviT6_lT7_lT5_lS8_lS9_lS7_lT8_i.num_vgpr, 232
	.set _ZL26rocblas_hemvn_kernel_upperILb0ELi64ELi4ELi33ELi32ELi16El19rocblas_complex_numIdEPKPKS1_PS1_EviT6_lT7_lT5_lS8_lS9_lS7_lT8_i.num_agpr, 0
	.set _ZL26rocblas_hemvn_kernel_upperILb0ELi64ELi4ELi33ELi32ELi16El19rocblas_complex_numIdEPKPKS1_PS1_EviT6_lT7_lT5_lS8_lS9_lS7_lT8_i.numbered_sgpr, 38
	.set _ZL26rocblas_hemvn_kernel_upperILb0ELi64ELi4ELi33ELi32ELi16El19rocblas_complex_numIdEPKPKS1_PS1_EviT6_lT7_lT5_lS8_lS9_lS7_lT8_i.num_named_barrier, 0
	.set _ZL26rocblas_hemvn_kernel_upperILb0ELi64ELi4ELi33ELi32ELi16El19rocblas_complex_numIdEPKPKS1_PS1_EviT6_lT7_lT5_lS8_lS9_lS7_lT8_i.private_seg_size, 0
	.set _ZL26rocblas_hemvn_kernel_upperILb0ELi64ELi4ELi33ELi32ELi16El19rocblas_complex_numIdEPKPKS1_PS1_EviT6_lT7_lT5_lS8_lS9_lS7_lT8_i.uses_vcc, 1
	.set _ZL26rocblas_hemvn_kernel_upperILb0ELi64ELi4ELi33ELi32ELi16El19rocblas_complex_numIdEPKPKS1_PS1_EviT6_lT7_lT5_lS8_lS9_lS7_lT8_i.uses_flat_scratch, 0
	.set _ZL26rocblas_hemvn_kernel_upperILb0ELi64ELi4ELi33ELi32ELi16El19rocblas_complex_numIdEPKPKS1_PS1_EviT6_lT7_lT5_lS8_lS9_lS7_lT8_i.has_dyn_sized_stack, 0
	.set _ZL26rocblas_hemvn_kernel_upperILb0ELi64ELi4ELi33ELi32ELi16El19rocblas_complex_numIdEPKPKS1_PS1_EviT6_lT7_lT5_lS8_lS9_lS7_lT8_i.has_recursion, 0
	.set _ZL26rocblas_hemvn_kernel_upperILb0ELi64ELi4ELi33ELi32ELi16El19rocblas_complex_numIdEPKPKS1_PS1_EviT6_lT7_lT5_lS8_lS9_lS7_lT8_i.has_indirect_call, 0
	.section	.AMDGPU.csdata,"",@progbits
; Kernel info:
; codeLenInByte = 10388
; TotalNumSgprs: 44
; NumVgprs: 232
; NumAgprs: 0
; TotalNumVgprs: 232
; ScratchSize: 0
; MemoryBound: 1
; FloatMode: 240
; IeeeMode: 1
; LDSByteSize: 19200 bytes/workgroup (compile time only)
; SGPRBlocks: 5
; VGPRBlocks: 28
; NumSGPRsForWavesPerEU: 44
; NumVGPRsForWavesPerEU: 232
; AccumOffset: 232
; Occupancy: 2
; WaveLimiterHint : 0
; COMPUTE_PGM_RSRC2:SCRATCH_EN: 0
; COMPUTE_PGM_RSRC2:USER_SGPR: 2
; COMPUTE_PGM_RSRC2:TRAP_HANDLER: 0
; COMPUTE_PGM_RSRC2:TGID_X_EN: 1
; COMPUTE_PGM_RSRC2:TGID_Y_EN: 0
; COMPUTE_PGM_RSRC2:TGID_Z_EN: 1
; COMPUTE_PGM_RSRC2:TIDIG_COMP_CNT: 1
; COMPUTE_PGM_RSRC3_GFX90A:ACCUM_OFFSET: 57
; COMPUTE_PGM_RSRC3_GFX90A:TG_SPLIT: 0
	.section	.text._ZL26rocblas_hemvn_kernel_upperILb0ELi64ELi4ELi33ELi32ELi16Ei19rocblas_complex_numIdEPKPKS1_PS1_EviT6_lT7_lT5_lS8_lS9_lS7_lT8_i,"axG",@progbits,_ZL26rocblas_hemvn_kernel_upperILb0ELi64ELi4ELi33ELi32ELi16Ei19rocblas_complex_numIdEPKPKS1_PS1_EviT6_lT7_lT5_lS8_lS9_lS7_lT8_i,comdat
	.globl	_ZL26rocblas_hemvn_kernel_upperILb0ELi64ELi4ELi33ELi32ELi16Ei19rocblas_complex_numIdEPKPKS1_PS1_EviT6_lT7_lT5_lS8_lS9_lS7_lT8_i ; -- Begin function _ZL26rocblas_hemvn_kernel_upperILb0ELi64ELi4ELi33ELi32ELi16Ei19rocblas_complex_numIdEPKPKS1_PS1_EviT6_lT7_lT5_lS8_lS9_lS7_lT8_i
	.p2align	8
	.type	_ZL26rocblas_hemvn_kernel_upperILb0ELi64ELi4ELi33ELi32ELi16Ei19rocblas_complex_numIdEPKPKS1_PS1_EviT6_lT7_lT5_lS8_lS9_lS7_lT8_i,@function
_ZL26rocblas_hemvn_kernel_upperILb0ELi64ELi4ELi33ELi32ELi16Ei19rocblas_complex_numIdEPKPKS1_PS1_EviT6_lT7_lT5_lS8_lS9_lS7_lT8_i: ; @_ZL26rocblas_hemvn_kernel_upperILb0ELi64ELi4ELi33ELi32ELi16Ei19rocblas_complex_numIdEPKPKS1_PS1_EviT6_lT7_lT5_lS8_lS9_lS7_lT8_i
; %bb.0:
	s_load_dwordx2 s[4:5], s[0:1], 0x94
	s_add_u32 s8, s0, 0x88
	s_mov_b32 s22, s3
	s_addc_u32 s9, s1, 0
	s_waitcnt lgkmcnt(0)
	s_and_b32 s3, s5, 0xffff
	s_lshr_b32 s5, s4, 16
	s_and_b32 s4, s4, 0xffff
	s_mul_i32 s4, s5, s4
	s_mul_i32 s4, s4, s3
	s_cmpk_lg_i32 s4, 0x100
	s_cbranch_scc1 .LBB191_155
; %bb.1:
	s_load_dwordx4 s[4:7], s[0:1], 0x8
	s_waitcnt lgkmcnt(0)
	v_cmp_neq_f64_e64 s[4:5], s[4:5], 0
	v_cmp_neq_f64_e64 s[6:7], s[6:7], 0
	s_or_b64 s[6:7], s[4:5], s[6:7]
	s_mov_b64 s[4:5], -1
	s_and_b64 vcc, exec, s[6:7]
	s_cbranch_vccnz .LBB191_3
; %bb.2:
	s_load_dwordx4 s[4:7], s[0:1], 0x60
	s_waitcnt lgkmcnt(0)
	v_cmp_eq_f64_e64 s[4:5], s[4:5], 1.0
	v_cmp_eq_f64_e64 s[6:7], s[6:7], 0
	s_and_b64 s[4:5], s[4:5], s[6:7]
	s_andn2_b64 vcc, exec, s[4:5]
	s_mov_b64 s[4:5], 0
.LBB191_3:
	s_andn2_b64 vcc, exec, s[4:5]
	s_cbranch_vccnz .LBB191_155
; %bb.4:
	s_load_dwordx4 s[4:7], s[0:1], 0x20
	s_load_dwordx4 s[12:15], s[0:1], 0x40
	s_load_dword s34, s[0:1], 0x50
	s_mov_b32 s23, 0
	s_lshl_b64 s[10:11], s[22:23], 3
	s_waitcnt lgkmcnt(0)
	s_add_u32 s16, s4, s10
	s_addc_u32 s17, s5, s11
	s_add_u32 s10, s12, s10
	s_addc_u32 s11, s13, s11
	s_load_dwordx2 s[12:13], s[10:11], 0x0
	s_load_dword s23, s[0:1], 0x0
	s_load_dword s3, s[8:9], 0x0
	s_load_dwordx2 s[4:5], s[16:17], 0x0
	s_lshl_b64 s[8:9], s[14:15], 4
	s_waitcnt lgkmcnt(0)
	s_add_u32 s8, s12, s8
	s_addc_u32 s9, s13, s9
	s_ashr_i32 s35, s23, 31
	s_lshr_b32 s11, s35, 26
	v_and_b32_e32 v166, 0x3ff, v0
	s_lshl_b32 s26, s2, 6
	s_add_i32 s11, s23, s11
	s_andn2_b32 s11, s11, 63
	v_add_u32_e32 v164, s26, v166
	v_bfe_u32 v165, v0, 10, 10
	s_add_i32 s10, s3, -1
	s_sub_i32 s33, s23, s11
	v_mul_lo_u32 v0, s34, v164
	s_cmp_eq_u32 s2, s10
	v_ashrrev_i32_e32 v1, 31, v0
	s_cselect_b32 s18, s33, 0
	v_lshl_add_u64 v[38:39], v[0:1], 4, s[8:9]
	v_cmp_eq_u32_e64 s[14:15], 0, v165
	s_and_saveexec_b64 s[8:9], s[14:15]
	s_cbranch_execz .LBB191_9
; %bb.5:
	s_cmp_lg_u32 s18, 0
	s_cselect_b64 s[10:11], -1, 0
	v_cmp_le_i32_e32 vcc, s18, v166
	v_mov_b32_e32 v0, 0x4700
	s_and_b64 s[10:11], s[10:11], vcc
	v_lshl_add_u32 v0, v166, 4, v0
	s_and_saveexec_b64 s[12:13], s[10:11]
	s_xor_b64 s[10:11], exec, s[12:13]
; %bb.6:
	v_mov_b32_e32 v2, 0
	v_mov_b32_e32 v3, v2
	;; [unrolled: 1-line block ×4, first 2 shown]
	ds_write_b128 v0, v[2:5]
                                        ; implicit-def: $vgpr0
; %bb.7:
	s_andn2_saveexec_b64 s[10:11], s[10:11]
	s_cbranch_execz .LBB191_9
; %bb.8:
	flat_load_dwordx4 v[2:5], v[38:39]
	s_waitcnt vmcnt(0) lgkmcnt(0)
	ds_write2_b64 v0, v[2:3], v[4:5] offset1:1
.LBB191_9:
	s_or_b64 exec, exec, s[8:9]
	s_lshl_b64 s[6:7], s[6:7], 4
	s_load_dword s24, s[0:1], 0x30
	s_add_u32 s6, s4, s6
	s_addc_u32 s7, s5, s7
	s_ashr_i32 s27, s26, 31
	v_lshl_add_u32 v42, v165, 6, v166
	s_lshl_b64 s[4:5], s[26:27], 4
	v_and_b32_e32 v6, 31, v166
	v_lshrrev_b32_e32 v14, 5, v42
	s_add_u32 s4, s6, s4
	s_addc_u32 s5, s7, s5
	s_waitcnt lgkmcnt(0)
	v_mad_u64_u32 v[36:37], s[6:7], s24, v14, v[6:7]
	v_ashrrev_i32_e32 v37, 31, v36
	v_lshl_add_u64 v[0:1], v[36:37], 4, s[4:5]
	s_mul_i32 s4, s24, s26
	s_ashr_i32 s5, s4, 31
	s_cmp_eq_u32 s18, 0
	s_cselect_b64 s[20:21], -1, 0
	s_cmp_lg_u32 s18, 0
	s_cselect_b64 s[30:31], -1, 0
	v_lshl_add_u64 v[0:1], s[4:5], 4, v[0:1]
	s_and_b64 vcc, exec, s[30:31]
	v_cmp_gt_i32_e64 s[4:5], s18, v6
	v_lshlrev_b32_e32 v4, 4, v6
	s_cbranch_vccz .LBB191_27
; %bb.10:
	v_sub_co_u32_e32 v2, vcc, v0, v4
	s_ashr_i32 s19, s18, 31
	s_nop 0
	v_subbrev_co_u32_e32 v3, vcc, 0, v1, vcc
	v_lshl_add_u64 v[2:3], s[18:19], 4, v[2:3]
	v_lshl_add_u64 v[2:3], v[2:3], 0, -16
	s_movk_i32 s6, 0x210
	v_cndmask_b32_e64 v3, v3, v1, s[4:5]
	v_cndmask_b32_e64 v2, v2, v0, s[4:5]
	v_cmp_le_i32_e32 vcc, s18, v14
	v_mad_u32_u24 v7, v14, s6, v4
	s_and_saveexec_b64 s[6:7], vcc
	s_xor_b64 s[6:7], exec, s[6:7]
; %bb.11:
	v_mov_b32_e32 v8, 0
	v_mov_b32_e32 v9, v8
	;; [unrolled: 1-line block ×4, first 2 shown]
	ds_write_b128 v7, v[8:11]
                                        ; implicit-def: $vgpr7
; %bb.12:
	s_or_saveexec_b64 s[6:7], s[6:7]
	v_mul_u32_u24_e32 v5, 0x210, v14
	s_xor_b64 exec, exec, s[6:7]
	s_cbranch_execz .LBB191_14
; %bb.13:
	flat_load_dwordx4 v[8:11], v[2:3]
	s_waitcnt vmcnt(0) lgkmcnt(0)
	ds_write2_b64 v7, v[8:9], v[10:11] offset1:1
.LBB191_14:
	s_or_b64 exec, exec, s[6:7]
	v_add_u32_e32 v7, 8, v14
	v_cmp_le_i32_e32 vcc, s18, v7
	v_add_u32_e32 v7, v5, v4
	s_and_saveexec_b64 s[6:7], vcc
	s_xor_b64 s[6:7], exec, s[6:7]
; %bb.15:
	v_mov_b32_e32 v8, 0
	v_mov_b32_e32 v9, v8
	;; [unrolled: 1-line block ×4, first 2 shown]
	ds_write_b128 v7, v[8:11] offset:4224
; %bb.16:
	s_andn2_saveexec_b64 s[6:7], s[6:7]
	s_cbranch_execz .LBB191_18
; %bb.17:
	s_lshl_b32 s8, s24, 3
	s_ashr_i32 s9, s8, 31
	v_lshl_add_u64 v[8:9], s[8:9], 4, v[2:3]
	flat_load_dwordx4 v[8:11], v[8:9]
	s_movk_i32 s8, 0x1080
	v_add3_u32 v12, v5, v4, s8
	s_waitcnt vmcnt(0) lgkmcnt(0)
	ds_write2_b64 v12, v[8:9], v[10:11] offset1:1
.LBB191_18:
	s_or_b64 exec, exec, s[6:7]
	v_add_u32_e32 v8, 16, v14
	v_cmp_le_i32_e32 vcc, s18, v8
	s_and_saveexec_b64 s[6:7], vcc
	s_xor_b64 s[6:7], exec, s[6:7]
; %bb.19:
	v_mov_b32_e32 v8, 0
	v_mov_b32_e32 v9, v8
	;; [unrolled: 1-line block ×4, first 2 shown]
	ds_write_b128 v7, v[8:11] offset:8448
; %bb.20:
	s_andn2_saveexec_b64 s[6:7], s[6:7]
	s_cbranch_execz .LBB191_22
; %bb.21:
	s_lshl_b32 s8, s24, 4
	s_ashr_i32 s9, s8, 31
	v_lshl_add_u64 v[8:9], s[8:9], 4, v[2:3]
	flat_load_dwordx4 v[8:11], v[8:9]
	s_movk_i32 s8, 0x2100
	v_add3_u32 v12, v5, v4, s8
	s_waitcnt vmcnt(0) lgkmcnt(0)
	ds_write2_b64 v12, v[8:9], v[10:11] offset1:1
.LBB191_22:
	s_or_b64 exec, exec, s[6:7]
	v_add_u32_e32 v8, 24, v14
	v_cmp_le_i32_e32 vcc, s18, v8
	s_and_saveexec_b64 s[6:7], vcc
	s_xor_b64 s[6:7], exec, s[6:7]
; %bb.23:
	v_mov_b32_e32 v8, 0
	v_mov_b32_e32 v9, v8
	;; [unrolled: 1-line block ×4, first 2 shown]
	ds_write_b128 v7, v[8:11] offset:12672
                                        ; implicit-def: $vgpr5
; %bb.24:
	s_andn2_saveexec_b64 s[6:7], s[6:7]
	s_cbranch_execz .LBB191_26
; %bb.25:
	s_mul_i32 s8, s24, 24
	s_ashr_i32 s9, s8, 31
	v_lshl_add_u64 v[8:9], s[8:9], 4, v[2:3]
	flat_load_dwordx4 v[8:11], v[8:9]
	s_movk_i32 s8, 0x3180
	v_add3_u32 v5, v5, v4, s8
	s_waitcnt vmcnt(0) lgkmcnt(0)
	ds_write2_b64 v5, v[8:9], v[10:11] offset1:1
.LBB191_26:
	s_or_b64 exec, exec, s[6:7]
	v_mov_b32_e32 v5, 0
	v_lshl_add_u64 v[2:3], v[2:3], 0, v[4:5]
	s_lshl_b64 s[6:7], s[18:19], 4
	v_mov_b32_e32 v5, s7
	v_subrev_co_u32_e32 v2, vcc, s6, v2
	s_nop 1
	v_subb_co_u32_e32 v3, vcc, v3, v5, vcc
	v_lshl_add_u64 v[2:3], v[2:3], 0, 16
	v_cndmask_b32_e64 v9, v3, v1, s[4:5]
	v_cndmask_b32_e64 v8, v2, v0, s[4:5]
	s_branch .LBB191_29
.LBB191_27:
                                        ; implicit-def: $vgpr8_vgpr9
	s_cbranch_execz .LBB191_29
; %bb.28:
	flat_load_dwordx4 v[8:11], v[0:1]
	v_mul_u32_u24_e32 v2, 0x210, v14
	s_lshl_b32 s4, s24, 3
	v_lshl_add_u32 v5, v6, 4, v2
	s_ashr_i32 s5, s4, 31
	v_lshl_add_u64 v[2:3], s[4:5], 4, v[0:1]
	s_ashr_i32 s25, s24, 31
	s_lshl_b64 s[4:5], s[24:25], 7
	v_add_u32_e32 v7, 0x1080, v5
	s_waitcnt vmcnt(0) lgkmcnt(0)
	ds_write2_b64 v5, v[8:9], v[10:11] offset1:1
	flat_load_dwordx4 v[8:11], v[2:3]
	v_lshl_add_u64 v[2:3], v[2:3], 0, s[4:5]
	s_waitcnt vmcnt(0) lgkmcnt(0)
	ds_write2_b64 v7, v[8:9], v[10:11] offset1:1
	flat_load_dwordx4 v[8:11], v[2:3]
	v_add_u32_e32 v7, 0x2100, v5
	v_lshl_add_u64 v[2:3], v[2:3], 0, s[4:5]
	s_waitcnt vmcnt(0) lgkmcnt(0)
	ds_write2_b64 v7, v[8:9], v[10:11] offset1:1
	flat_load_dwordx4 v[8:11], v[2:3]
	v_add_u32_e32 v2, 0x3180, v5
	s_waitcnt vmcnt(0) lgkmcnt(0)
	ds_write2_b64 v2, v[8:9], v[10:11] offset1:1
	v_mov_b64_e32 v[8:9], v[0:1]
.LBB191_29:
	v_lshlrev_b32_e32 v7, 2, v14
	v_lshl_or_b32 v0, v6, 9, v4
	v_cmp_gt_u32_e64 s[6:7], v7, v6
	v_lshl_add_u32 v1, v7, 4, v0
	s_waitcnt lgkmcnt(0)
	s_barrier
	s_and_saveexec_b64 s[4:5], s[6:7]
	s_cbranch_execz .LBB191_31
; %bb.30:
	s_movk_i32 s8, 0x840
	v_mad_u32_u24 v0, v14, s8, v4
	ds_read_b128 v[10:13], v0
	s_waitcnt lgkmcnt(0)
	ds_write_b128 v1, v[10:13]
.LBB191_31:
	s_or_b64 exec, exec, s[4:5]
	v_or_b32_e32 v0, 1, v7
	v_cmp_ge_u32_e64 s[8:9], v7, v6
	s_and_saveexec_b64 s[4:5], s[8:9]
	s_cbranch_execz .LBB191_33
; %bb.32:
	s_movk_i32 s10, 0x210
	v_mad_u32_u24 v2, v0, s10, v4
	ds_read_b128 v[10:13], v2
	s_waitcnt lgkmcnt(0)
	ds_write_b128 v1, v[10:13] offset:16
.LBB191_33:
	s_or_b64 exec, exec, s[4:5]
	v_or_b32_e32 v2, 2, v7
	v_cmp_gt_u32_e64 s[10:11], v2, v6
	s_and_saveexec_b64 s[4:5], s[10:11]
	s_cbranch_execz .LBB191_35
; %bb.34:
	s_movk_i32 s12, 0x210
	v_mad_u32_u24 v2, v2, s12, v4
	ds_read_b128 v[10:13], v2
	s_waitcnt lgkmcnt(0)
	ds_write_b128 v1, v[10:13] offset:32
.LBB191_35:
	s_or_b64 exec, exec, s[4:5]
	v_or_b32_e32 v3, 3, v7
	v_cmp_gt_u32_e64 s[12:13], v3, v6
	v_cmp_le_u32_e32 vcc, v3, v6
                                        ; implicit-def: $vgpr2
	s_and_saveexec_b64 s[4:5], vcc
	s_xor_b64 s[4:5], exec, s[4:5]
; %bb.36:
	v_mul_u32_u24_e32 v2, 0x210, v3
                                        ; implicit-def: $vgpr3
                                        ; implicit-def: $vgpr1
; %bb.37:
	s_andn2_saveexec_b64 s[4:5], s[4:5]
	s_cbranch_execz .LBB191_39
; %bb.38:
	s_movk_i32 s16, 0x210
	v_mad_u32_u24 v2, v3, s16, v4
	ds_read_b128 v[10:13], v2
	v_mul_u32_u24_e32 v2, 0x210, v3
	s_waitcnt lgkmcnt(0)
	ds_write_b128 v1, v[10:13] offset:48
.LBB191_39:
	s_or_b64 exec, exec, s[4:5]
	s_movk_i32 s4, 0x840
	v_mad_u32_u24 v15, v14, s4, v4
	v_lshlrev_b32_e32 v16, 4, v7
	s_movk_i32 s4, 0x210
	s_waitcnt lgkmcnt(0)
	s_barrier
	ds_read_b128 v[10:13], v16 offset:18176
	ds_read_b128 v[22:25], v16 offset:18192
	ds_read_b128 v[26:29], v15
	ds_read_b128 v[30:33], v16 offset:18208
	ds_read_b128 v[46:49], v16 offset:18224
	v_mad_u32_u24 v20, v0, s4, v4
	ds_read_b128 v[50:53], v20
	s_waitcnt lgkmcnt(3)
	v_mul_f64 v[0:1], v[12:13], v[28:29]
	v_fma_f64 v[18:19], v[10:11], v[26:27], -v[0:1]
	v_mul_f64 v[10:11], v[10:11], v[28:29]
	v_fmac_f64_e32 v[10:11], v[12:13], v[26:27]
	v_add_f64 v[26:27], v[10:11], 0
	s_waitcnt lgkmcnt(0)
	v_mul_f64 v[10:11], v[24:25], v[52:53]
	v_fma_f64 v[28:29], v[22:23], v[50:51], -v[10:11]
	v_mul_f64 v[22:23], v[22:23], v[52:53]
	v_fmac_f64_e32 v[22:23], v[24:25], v[50:51]
	ds_read_b128 v[10:13], v20 offset:528
	v_add_u32_e32 v45, v4, v2
	v_add_f64 v[26:27], v[26:27], v[22:23]
	ds_read_b128 v[22:25], v45
	v_add_f64 v[18:19], v[18:19], 0
	s_waitcnt lgkmcnt(1)
	v_mul_f64 v[2:3], v[32:33], v[12:13]
	v_mul_f64 v[12:13], v[30:31], v[12:13]
	v_add_f64 v[18:19], v[18:19], v[28:29]
	v_fma_f64 v[2:3], v[30:31], v[10:11], -v[2:3]
	v_fmac_f64_e32 v[12:13], v[32:33], v[10:11]
	s_waitcnt lgkmcnt(0)
	v_mul_f64 v[10:11], v[48:49], v[24:25]
	v_add_f64 v[2:3], v[18:19], v[2:3]
	v_fma_f64 v[10:11], v[46:47], v[22:23], -v[10:11]
	v_mul_f64 v[18:19], v[46:47], v[24:25]
	v_add_f64 v[10:11], v[2:3], v[10:11]
	v_mul_u32_u24_e32 v2, 33, v6
	v_add_f64 v[12:13], v[26:27], v[12:13]
	v_fmac_f64_e32 v[18:19], v[48:49], v[22:23]
	v_lshlrev_b32_e32 v43, 4, v2
	v_mov_b64_e32 v[0:1], 0
	v_add_f64 v[12:13], v[12:13], v[18:19]
	v_lshl_add_u32 v44, v14, 4, v43
	v_cmp_gt_u32_e64 s[4:5], 32, v42
	v_mov_b64_e32 v[2:3], 0
	s_barrier
	ds_write_b128 v44, v[10:13]
	s_waitcnt lgkmcnt(0)
	s_barrier
	s_and_saveexec_b64 s[16:17], s[4:5]
	s_cbranch_execz .LBB191_41
; %bb.40:
	ds_read_b128 v[0:3], v43
	ds_read_b128 v[10:13], v43 offset:16
	ds_read_b128 v[22:25], v43 offset:32
	;; [unrolled: 1-line block ×3, first 2 shown]
	s_waitcnt lgkmcnt(2)
	v_add_f64 v[0:1], v[10:11], v[0:1]
	v_add_f64 v[10:11], v[12:13], v[2:3]
	s_waitcnt lgkmcnt(1)
	v_add_f64 v[12:13], v[0:1], v[22:23]
	ds_read_b128 v[0:3], v43 offset:64
	v_add_f64 v[10:11], v[10:11], v[24:25]
	s_waitcnt lgkmcnt(1)
	v_add_f64 v[18:19], v[12:13], v[26:27]
	v_add_f64 v[26:27], v[10:11], v[28:29]
	ds_read_b128 v[10:13], v43 offset:80
	ds_read_b128 v[22:25], v43 offset:96
	s_waitcnt lgkmcnt(2)
	v_add_f64 v[18:19], v[18:19], v[0:1]
	v_add_f64 v[26:27], v[26:27], v[2:3]
	ds_read_b128 v[0:3], v43 offset:112
	s_waitcnt lgkmcnt(2)
	v_add_f64 v[10:11], v[18:19], v[10:11]
	v_add_f64 v[12:13], v[26:27], v[12:13]
	s_waitcnt lgkmcnt(1)
	v_add_f64 v[10:11], v[10:11], v[22:23]
	v_add_f64 v[12:13], v[12:13], v[24:25]
	;; [unrolled: 3-line block ×3, first 2 shown]
.LBB191_41:
	s_or_b64 exec, exec, s[16:17]
	s_lshl_b32 s28, s24, 5
	s_ashr_i32 s29, s28, 31
	v_lshl_add_u64 v[12:13], s[28:29], 4, v[8:9]
	s_mov_b64 s[16:17], 0x200
	v_lshl_add_u64 v[10:11], v[12:13], 0, s[16:17]
	s_and_b64 vcc, exec, s[30:31]
	s_barrier
	s_cbranch_vccz .LBB191_59
; %bb.42:
	v_sub_co_u32_e32 v8, vcc, v12, v4
	s_ashr_i32 s19, s18, 31
	s_nop 0
	v_subbrev_co_u32_e32 v9, vcc, 0, v13, vcc
	v_or_b32_e32 v5, 32, v6
	v_lshl_add_u64 v[8:9], s[18:19], 4, v[8:9]
	v_lshl_add_u64 v[8:9], v[8:9], 0, -16
	v_cmp_gt_i32_e32 vcc, s18, v5
	s_sub_i32 s25, s18, 32
	s_movk_i32 s27, 0x210
	v_cndmask_b32_e32 v9, v9, v11, vcc
	v_cndmask_b32_e32 v8, v8, v10, vcc
	v_cmp_le_i32_e64 s[16:17], s25, v14
	v_mad_u32_u24 v17, v14, s27, v4
	s_and_saveexec_b64 s[36:37], s[16:17]
	s_xor_b64 s[16:17], exec, s[36:37]
; %bb.43:
	v_mov_b32_e32 v22, 0
	v_mov_b32_e32 v23, v22
	;; [unrolled: 1-line block ×4, first 2 shown]
	ds_write_b128 v17, v[22:25]
                                        ; implicit-def: $vgpr17
; %bb.44:
	s_or_saveexec_b64 s[16:17], s[16:17]
	v_mul_u32_u24_e32 v5, 0x210, v14
	s_xor_b64 exec, exec, s[16:17]
	s_cbranch_execz .LBB191_46
; %bb.45:
	flat_load_dwordx4 v[22:25], v[8:9]
	s_waitcnt vmcnt(0) lgkmcnt(0)
	ds_write2_b64 v17, v[22:23], v[24:25] offset1:1
.LBB191_46:
	s_or_b64 exec, exec, s[16:17]
	v_add_u32_e32 v17, 8, v14
	v_cmp_le_i32_e64 s[16:17], s25, v17
	v_add_u32_e32 v17, v5, v4
	s_and_saveexec_b64 s[36:37], s[16:17]
	s_xor_b64 s[16:17], exec, s[36:37]
; %bb.47:
	v_mov_b32_e32 v22, 0
	v_mov_b32_e32 v23, v22
	;; [unrolled: 1-line block ×4, first 2 shown]
	ds_write_b128 v17, v[22:25] offset:4224
; %bb.48:
	s_andn2_saveexec_b64 s[16:17], s[16:17]
	s_cbranch_execz .LBB191_50
; %bb.49:
	s_lshl_b32 s36, s24, 3
	s_ashr_i32 s37, s36, 31
	v_lshl_add_u64 v[18:19], s[36:37], 4, v[8:9]
	flat_load_dwordx4 v[22:25], v[18:19]
	s_movk_i32 s27, 0x1080
	v_add3_u32 v18, v5, v4, s27
	s_waitcnt vmcnt(0) lgkmcnt(0)
	ds_write2_b64 v18, v[22:23], v[24:25] offset1:1
.LBB191_50:
	s_or_b64 exec, exec, s[16:17]
	v_add_u32_e32 v18, 16, v14
	v_cmp_le_i32_e64 s[16:17], s25, v18
	s_and_saveexec_b64 s[36:37], s[16:17]
	s_xor_b64 s[16:17], exec, s[36:37]
; %bb.51:
	v_mov_b32_e32 v22, 0
	v_mov_b32_e32 v23, v22
	;; [unrolled: 1-line block ×4, first 2 shown]
	ds_write_b128 v17, v[22:25] offset:8448
; %bb.52:
	s_andn2_saveexec_b64 s[16:17], s[16:17]
	s_cbranch_execz .LBB191_54
; %bb.53:
	s_lshl_b32 s36, s24, 4
	s_ashr_i32 s37, s36, 31
	v_lshl_add_u64 v[18:19], s[36:37], 4, v[8:9]
	flat_load_dwordx4 v[22:25], v[18:19]
	s_movk_i32 s27, 0x2100
	v_add3_u32 v18, v5, v4, s27
	s_waitcnt vmcnt(0) lgkmcnt(0)
	ds_write2_b64 v18, v[22:23], v[24:25] offset1:1
.LBB191_54:
	s_or_b64 exec, exec, s[16:17]
	v_add_u32_e32 v18, 24, v14
	v_cmp_le_i32_e64 s[16:17], s25, v18
	s_and_saveexec_b64 s[36:37], s[16:17]
	s_xor_b64 s[16:17], exec, s[36:37]
; %bb.55:
	v_mov_b32_e32 v22, 0
	v_mov_b32_e32 v23, v22
	;; [unrolled: 1-line block ×4, first 2 shown]
	ds_write_b128 v17, v[22:25] offset:12672
                                        ; implicit-def: $vgpr5
; %bb.56:
	s_andn2_saveexec_b64 s[16:17], s[16:17]
	s_cbranch_execz .LBB191_58
; %bb.57:
	s_mul_i32 s36, s24, 24
	s_ashr_i32 s37, s36, 31
	v_lshl_add_u64 v[18:19], s[36:37], 4, v[8:9]
	flat_load_dwordx4 v[22:25], v[18:19]
	s_movk_i32 s25, 0x3180
	v_add3_u32 v5, v5, v4, s25
	s_waitcnt vmcnt(0) lgkmcnt(0)
	ds_write2_b64 v5, v[22:23], v[24:25] offset1:1
.LBB191_58:
	s_or_b64 exec, exec, s[16:17]
	v_mov_b32_e32 v5, 0
	v_lshl_add_u64 v[8:9], v[8:9], 0, v[4:5]
	s_lshl_b64 s[16:17], s[18:19], 4
	v_mov_b32_e32 v5, s17
	v_subrev_co_u32_e64 v8, s[16:17], s16, v8
	s_nop 1
	v_subb_co_u32_e64 v9, s[16:17], v9, v5, s[16:17]
	s_mov_b64 s[16:17], 0x210
	s_nop 0
	v_lshl_add_u64 v[8:9], v[8:9], 0, s[16:17]
	v_cndmask_b32_e32 v9, v9, v11, vcc
	v_cndmask_b32_e32 v8, v8, v10, vcc
	s_branch .LBB191_61
.LBB191_59:
                                        ; implicit-def: $vgpr8_vgpr9
	s_cbranch_execz .LBB191_61
; %bb.60:
	flat_load_dwordx4 v[22:25], v[10:11]
	s_movk_i32 s17, 0x210
	s_lshl_b32 s16, s24, 3
	v_mad_u32_u24 v5, v14, s17, v4
	s_ashr_i32 s17, s16, 31
	v_lshl_add_u64 v[8:9], s[16:17], 4, v[12:13]
	s_ashr_i32 s25, s24, 31
	s_lshl_b64 s[16:17], s[24:25], 7
	v_add_u32_e32 v12, 0x1080, v5
	s_waitcnt vmcnt(0) lgkmcnt(0)
	ds_write2_b64 v5, v[22:23], v[24:25] offset1:1
	flat_load_dwordx4 v[22:25], v[8:9] offset:512
	v_lshl_add_u64 v[8:9], v[8:9], 0, s[16:17]
	s_waitcnt vmcnt(0) lgkmcnt(0)
	ds_write2_b64 v12, v[22:23], v[24:25] offset1:1
	flat_load_dwordx4 v[22:25], v[8:9] offset:512
	v_add_u32_e32 v12, 0x2100, v5
	v_lshl_add_u64 v[8:9], v[8:9], 0, s[16:17]
	v_add_u32_e32 v5, 0x3180, v5
	s_waitcnt vmcnt(0) lgkmcnt(0)
	ds_write2_b64 v12, v[22:23], v[24:25] offset1:1
	flat_load_dwordx4 v[22:25], v[8:9] offset:512
	v_mov_b64_e32 v[8:9], v[10:11]
	s_waitcnt vmcnt(0) lgkmcnt(0)
	ds_write2_b64 v5, v[22:23], v[24:25] offset1:1
.LBB191_61:
	v_lshl_add_u32 v5, v7, 4, v43
	s_waitcnt lgkmcnt(0)
	s_barrier
	s_and_saveexec_b64 s[16:17], s[6:7]
	s_cbranch_execz .LBB191_65
; %bb.62:
	ds_read_b128 v[10:13], v15
	s_waitcnt lgkmcnt(0)
	ds_write_b128 v5, v[10:13]
	s_or_b64 exec, exec, s[16:17]
	s_and_saveexec_b64 s[6:7], s[8:9]
	s_cbranch_execnz .LBB191_66
.LBB191_63:
	s_or_b64 exec, exec, s[6:7]
	v_add_u32_e32 v12, 0x210, v20
	s_and_saveexec_b64 s[6:7], s[10:11]
	s_cbranch_execz .LBB191_67
.LBB191_64:
	ds_read_b128 v[22:25], v12
	s_waitcnt lgkmcnt(0)
	ds_write_b128 v5, v[22:25] offset:32
	s_or_b64 exec, exec, s[6:7]
	v_add_u32_e32 v13, 0x4700, v16
	s_and_saveexec_b64 s[6:7], s[12:13]
	s_cbranch_execnz .LBB191_68
	s_branch .LBB191_69
.LBB191_65:
	s_or_b64 exec, exec, s[16:17]
	s_and_saveexec_b64 s[6:7], s[8:9]
	s_cbranch_execz .LBB191_63
.LBB191_66:
	ds_read_b128 v[10:13], v20
	s_waitcnt lgkmcnt(0)
	ds_write_b128 v5, v[10:13] offset:16
	s_or_b64 exec, exec, s[6:7]
	v_add_u32_e32 v12, 0x210, v20
	s_and_saveexec_b64 s[6:7], s[10:11]
	s_cbranch_execnz .LBB191_64
.LBB191_67:
	s_or_b64 exec, exec, s[6:7]
	v_add_u32_e32 v13, 0x4700, v16
	s_and_saveexec_b64 s[6:7], s[12:13]
	s_cbranch_execz .LBB191_69
.LBB191_68:
	ds_read_b128 v[16:19], v45
	s_waitcnt lgkmcnt(0)
	ds_write_b128 v5, v[16:19] offset:48
.LBB191_69:
	s_or_b64 exec, exec, s[6:7]
	s_waitcnt lgkmcnt(0)
	s_barrier
	ds_read_b128 v[16:19], v13 offset:512
	ds_read_b128 v[22:25], v15
	ds_read_b128 v[26:29], v13 offset:528
	ds_read_b128 v[30:33], v13 offset:544
	;; [unrolled: 1-line block ×3, first 2 shown]
	ds_read_b128 v[50:53], v20
	v_cmp_eq_u32_e64 s[6:7], 1, v14
	s_waitcnt lgkmcnt(4)
	v_mul_f64 v[10:11], v[18:19], v[24:25]
	v_fma_f64 v[10:11], v[16:17], v[22:23], -v[10:11]
	v_mul_f64 v[16:17], v[16:17], v[24:25]
	v_fmac_f64_e32 v[16:17], v[18:19], v[22:23]
	v_add_f64 v[22:23], v[16:17], 0
	s_waitcnt lgkmcnt(0)
	v_mul_f64 v[16:17], v[28:29], v[52:53]
	v_fma_f64 v[24:25], v[26:27], v[50:51], -v[16:17]
	v_mul_f64 v[26:27], v[26:27], v[52:53]
	v_add_f64 v[10:11], v[10:11], 0
	ds_read_b128 v[16:19], v12
	v_fmac_f64_e32 v[26:27], v[28:29], v[50:51]
	v_add_f64 v[10:11], v[10:11], v[24:25]
	v_add_f64 v[26:27], v[22:23], v[26:27]
	ds_read_b128 v[22:25], v45
	s_waitcnt lgkmcnt(1)
	v_mul_f64 v[28:29], v[32:33], v[18:19]
	v_mul_f64 v[18:19], v[30:31], v[18:19]
	v_fma_f64 v[28:29], v[30:31], v[16:17], -v[28:29]
	v_fmac_f64_e32 v[18:19], v[32:33], v[16:17]
	s_waitcnt lgkmcnt(0)
	v_mul_f64 v[16:17], v[48:49], v[24:25]
	v_mul_f64 v[24:25], v[46:47], v[24:25]
	v_add_f64 v[10:11], v[10:11], v[28:29]
	v_add_f64 v[18:19], v[26:27], v[18:19]
	v_fma_f64 v[16:17], v[46:47], v[22:23], -v[16:17]
	v_fmac_f64_e32 v[24:25], v[48:49], v[22:23]
	v_add_f64 v[16:17], v[10:11], v[16:17]
	v_add_f64 v[18:19], v[18:19], v[24:25]
	s_barrier
	ds_write_b128 v44, v[16:19]
	s_waitcnt lgkmcnt(0)
	s_barrier
	s_and_saveexec_b64 s[8:9], s[6:7]
	s_cbranch_execz .LBB191_71
; %bb.70:
	ds_read_b128 v[0:3], v43
	ds_read_b128 v[16:19], v43 offset:16
	ds_read_b128 v[22:25], v43 offset:32
	;; [unrolled: 1-line block ×3, first 2 shown]
	s_waitcnt lgkmcnt(2)
	v_add_f64 v[0:1], v[16:17], v[0:1]
	v_add_f64 v[10:11], v[18:19], v[2:3]
	s_waitcnt lgkmcnt(1)
	v_add_f64 v[16:17], v[0:1], v[22:23]
	ds_read_b128 v[0:3], v43 offset:64
	v_add_f64 v[10:11], v[10:11], v[24:25]
	s_waitcnt lgkmcnt(1)
	v_add_f64 v[22:23], v[16:17], v[26:27]
	ds_read_b128 v[16:19], v43 offset:80
	;; [unrolled: 4-line block ×3, first 2 shown]
	v_add_f64 v[10:11], v[10:11], v[2:3]
	ds_read_b128 v[0:3], v43 offset:112
	s_waitcnt lgkmcnt(2)
	v_add_f64 v[16:17], v[26:27], v[16:17]
	v_add_f64 v[10:11], v[10:11], v[18:19]
	s_waitcnt lgkmcnt(1)
	v_add_f64 v[16:17], v[16:17], v[22:23]
	v_add_f64 v[10:11], v[10:11], v[24:25]
	;; [unrolled: 3-line block ×3, first 2 shown]
.LBB191_71:
	s_or_b64 exec, exec, s[8:9]
	s_movk_i32 s8, 0xfe00
	s_mov_b32 s9, -1
	v_lshl_add_u64 v[8:9], v[8:9], 0, s[8:9]
	s_and_b64 vcc, exec, s[30:31]
	s_barrier
	s_cbranch_vccz .LBB191_89
; %bb.72:
	v_sub_co_u32_e32 v10, vcc, v8, v4
	s_ashr_i32 s19, s18, 31
	s_nop 0
	v_subbrev_co_u32_e32 v11, vcc, 0, v9, vcc
	v_lshl_add_u64 v[10:11], s[18:19], 4, v[10:11]
	v_lshl_add_u64 v[10:11], v[10:11], 0, -16
	v_cmp_gt_i32_e32 vcc, s18, v6
	s_sub_i32 s10, s18, 32
	s_movk_i32 s11, 0x210
	v_cndmask_b32_e32 v7, v11, v9, vcc
	v_cndmask_b32_e32 v6, v10, v8, vcc
	v_cmp_le_i32_e64 s[8:9], s10, v14
	v_mad_u32_u24 v10, v14, s11, v4
	s_and_saveexec_b64 s[12:13], s[8:9]
	s_xor_b64 s[8:9], exec, s[12:13]
; %bb.73:
	v_mov_b32_e32 v16, 0
	v_mov_b32_e32 v17, v16
	;; [unrolled: 1-line block ×4, first 2 shown]
	ds_write_b128 v10, v[16:19]
                                        ; implicit-def: $vgpr10
; %bb.74:
	s_or_saveexec_b64 s[8:9], s[8:9]
	v_mul_u32_u24_e32 v5, 0x210, v14
	s_xor_b64 exec, exec, s[8:9]
	s_cbranch_execz .LBB191_76
; %bb.75:
	flat_load_dwordx4 v[16:19], v[6:7]
	s_waitcnt vmcnt(0) lgkmcnt(0)
	ds_write2_b64 v10, v[16:17], v[18:19] offset1:1
.LBB191_76:
	s_or_b64 exec, exec, s[8:9]
	v_add_u32_e32 v10, 8, v14
	v_cmp_le_i32_e64 s[8:9], s10, v10
	v_add_u32_e32 v17, v5, v4
	s_and_saveexec_b64 s[12:13], s[8:9]
	s_xor_b64 s[8:9], exec, s[12:13]
; %bb.77:
	v_mov_b32_e32 v22, 0
	v_mov_b32_e32 v23, v22
	;; [unrolled: 1-line block ×4, first 2 shown]
	ds_write_b128 v17, v[22:25] offset:4224
; %bb.78:
	s_andn2_saveexec_b64 s[8:9], s[8:9]
	s_cbranch_execz .LBB191_80
; %bb.79:
	s_lshl_b32 s12, s24, 3
	s_ashr_i32 s13, s12, 31
	v_lshl_add_u64 v[18:19], s[12:13], 4, v[6:7]
	flat_load_dwordx4 v[22:25], v[18:19]
	s_movk_i32 s11, 0x1080
	v_add3_u32 v11, v5, v4, s11
	s_waitcnt vmcnt(0) lgkmcnt(0)
	ds_write2_b64 v11, v[22:23], v[24:25] offset1:1
.LBB191_80:
	s_or_b64 exec, exec, s[8:9]
	v_add_u32_e32 v11, 16, v14
	v_cmp_le_i32_e64 s[8:9], s10, v11
	s_and_saveexec_b64 s[12:13], s[8:9]
	s_xor_b64 s[8:9], exec, s[12:13]
; %bb.81:
	v_mov_b32_e32 v22, 0
	v_mov_b32_e32 v23, v22
	;; [unrolled: 1-line block ×4, first 2 shown]
	ds_write_b128 v17, v[22:25] offset:8448
; %bb.82:
	s_andn2_saveexec_b64 s[8:9], s[8:9]
	s_cbranch_execz .LBB191_84
; %bb.83:
	s_lshl_b32 s12, s24, 4
	s_ashr_i32 s13, s12, 31
	v_lshl_add_u64 v[18:19], s[12:13], 4, v[6:7]
	flat_load_dwordx4 v[22:25], v[18:19]
	s_movk_i32 s11, 0x2100
	v_add3_u32 v16, v5, v4, s11
	s_waitcnt vmcnt(0) lgkmcnt(0)
	ds_write2_b64 v16, v[22:23], v[24:25] offset1:1
.LBB191_84:
	s_or_b64 exec, exec, s[8:9]
	v_add_u32_e32 v16, 24, v14
	v_cmp_le_i32_e64 s[8:9], s10, v16
	s_and_saveexec_b64 s[10:11], s[8:9]
	s_xor_b64 s[8:9], exec, s[10:11]
; %bb.85:
	v_mov_b32_e32 v22, 0
	v_mov_b32_e32 v23, v22
	;; [unrolled: 1-line block ×4, first 2 shown]
	ds_write_b128 v17, v[22:25] offset:12672
                                        ; implicit-def: $vgpr5
; %bb.86:
	s_andn2_saveexec_b64 s[8:9], s[8:9]
	s_cbranch_execz .LBB191_88
; %bb.87:
	s_mul_i32 s10, s24, 24
	s_ashr_i32 s11, s10, 31
	v_lshl_add_u64 v[18:19], s[10:11], 4, v[6:7]
	flat_load_dwordx4 v[22:25], v[18:19]
	s_movk_i32 s10, 0x3180
	v_add3_u32 v5, v5, v4, s10
	s_waitcnt vmcnt(0) lgkmcnt(0)
	ds_write2_b64 v5, v[22:23], v[24:25] offset1:1
.LBB191_88:
	s_or_b64 exec, exec, s[8:9]
	v_mov_b32_e32 v5, 0
	v_lshl_add_u64 v[6:7], v[6:7], 0, v[4:5]
	s_lshl_b64 s[8:9], s[18:19], 4
	v_mov_b32_e32 v5, s9
	v_subrev_co_u32_e64 v6, s[8:9], s8, v6
	s_nop 1
	v_subb_co_u32_e64 v7, s[8:9], v7, v5, s[8:9]
	v_lshl_add_u64 v[6:7], v[6:7], 0, 16
	v_cndmask_b32_e32 v41, v7, v9, vcc
	v_cndmask_b32_e32 v40, v6, v8, vcc
	s_branch .LBB191_91
.LBB191_89:
                                        ; implicit-def: $vgpr40_vgpr41
                                        ; implicit-def: $vgpr10
                                        ; implicit-def: $vgpr11
                                        ; implicit-def: $vgpr16
	s_cbranch_execz .LBB191_91
; %bb.90:
	flat_load_dwordx4 v[16:19], v[8:9]
	s_movk_i32 s9, 0x210
	s_lshl_b32 s8, s24, 3
	v_mad_u32_u24 v21, v14, s9, v4
	s_ashr_i32 s9, s8, 31
	v_lshl_add_u64 v[10:11], s[8:9], 4, v[8:9]
	s_ashr_i32 s25, s24, 31
	s_lshl_b64 s[8:9], s[24:25], 7
	v_mov_b64_e32 v[40:41], v[8:9]
	s_waitcnt vmcnt(0) lgkmcnt(0)
	ds_write2_b64 v21, v[16:17], v[18:19] offset1:1
	flat_load_dwordx4 v[4:7], v[10:11]
	v_add_u32_e32 v16, 0x1080, v21
	v_lshl_add_u64 v[10:11], v[10:11], 0, s[8:9]
	v_add_u32_e32 v17, 0x3180, v21
	s_waitcnt vmcnt(0) lgkmcnt(0)
	ds_write2_b64 v16, v[4:5], v[6:7] offset1:1
	flat_load_dwordx4 v[4:7], v[10:11]
	v_add_u32_e32 v16, 0x2100, v21
	v_lshl_add_u64 v[10:11], v[10:11], 0, s[8:9]
	s_waitcnt vmcnt(0) lgkmcnt(0)
	ds_write2_b64 v16, v[4:5], v[6:7] offset1:1
	flat_load_dwordx4 v[4:7], v[10:11]
	v_add_u32_e32 v10, 8, v14
	v_add_u32_e32 v11, 16, v14
	;; [unrolled: 1-line block ×3, first 2 shown]
	s_waitcnt vmcnt(0) lgkmcnt(0)
	ds_write2_b64 v17, v[4:5], v[6:7] offset1:1
.LBB191_91:
	v_lshlrev_b32_e32 v8, 4, v14
	v_add_u32_e32 v4, v43, v8
	s_waitcnt lgkmcnt(0)
	s_barrier
	ds_read_b128 v[4:7], v4
	ds_read_b128 v[22:25], v8 offset:18176
	v_lshlrev_b32_e32 v8, 4, v10
	v_add_u32_e32 v9, v43, v8
	ds_read_b128 v[46:49], v9
	ds_read_b128 v[26:29], v8 offset:18176
	s_waitcnt lgkmcnt(2)
	v_mul_f64 v[8:9], v[6:7], v[24:25]
	v_fma_f64 v[8:9], v[4:5], v[22:23], -v[8:9]
	v_mul_f64 v[66:67], v[4:5], v[24:25]
	v_add_f64 v[4:5], v[8:9], 0
	s_waitcnt lgkmcnt(0)
	v_mul_f64 v[8:9], v[48:49], v[28:29]
	v_fma_f64 v[8:9], v[46:47], v[26:27], -v[8:9]
	v_add_f64 v[4:5], v[4:5], v[8:9]
	v_lshlrev_b32_e32 v8, 4, v11
	v_add_u32_e32 v9, v43, v8
	ds_read_b128 v[50:53], v9
	ds_read_b128 v[54:57], v8 offset:18176
	v_lshlrev_b32_e32 v8, 4, v16
	v_add_u32_e32 v9, v43, v8
	ds_read_b128 v[58:61], v9
	ds_read_b128 v[62:65], v8 offset:18176
	v_mul_f64 v[68:69], v[46:47], v[28:29]
	s_waitcnt lgkmcnt(2)
	v_mul_f64 v[8:9], v[52:53], v[56:57]
	v_fma_f64 v[8:9], v[50:51], v[54:55], -v[8:9]
	v_add_f64 v[4:5], v[4:5], v[8:9]
	s_waitcnt lgkmcnt(0)
	v_mul_f64 v[8:9], v[60:61], v[64:65]
	v_fma_f64 v[8:9], v[58:59], v[62:63], -v[8:9]
	v_fmac_f64_e32 v[66:67], v[6:7], v[22:23]
	v_add_f64 v[46:47], v[4:5], v[8:9]
	ds_read_b128 v[16:19], v13 offset:528
	ds_read_b128 v[8:11], v13 offset:544
	;; [unrolled: 1-line block ×3, first 2 shown]
	ds_read_b128 v[32:35], v15
	v_fmac_f64_e32 v[68:69], v[48:49], v[26:27]
	v_add_f64 v[14:15], v[66:67], 0
	ds_read_b128 v[4:7], v13 offset:560
	ds_read_b128 v[24:27], v20
	v_add_f64 v[48:49], v[14:15], v[68:69]
	ds_read_b128 v[20:23], v12
	ds_read_b128 v[12:15], v45
	v_mul_f64 v[50:51], v[50:51], v[56:57]
	v_mul_f64 v[56:57], v[58:59], v[64:65]
	v_fmac_f64_e32 v[50:51], v[52:53], v[54:55]
	v_add_f64 v[48:49], v[48:49], v[50:51]
	v_fmac_f64_e32 v[56:57], v[60:61], v[62:63]
	v_add_f64 v[48:49], v[48:49], v[56:57]
	s_waitcnt lgkmcnt(0)
	s_barrier
	ds_write_b128 v44, v[46:49]
	s_waitcnt lgkmcnt(0)
	s_barrier
	s_and_saveexec_b64 s[8:9], s[6:7]
	s_cbranch_execz .LBB191_93
; %bb.92:
	ds_read_b128 v[46:49], v43
	ds_read_b128 v[50:53], v43 offset:16
	ds_read_b128 v[54:57], v43 offset:32
	;; [unrolled: 1-line block ×3, first 2 shown]
	s_waitcnt lgkmcnt(3)
	v_add_f64 v[0:1], v[0:1], v[46:47]
	v_add_f64 v[2:3], v[2:3], v[48:49]
	s_waitcnt lgkmcnt(2)
	v_add_f64 v[0:1], v[0:1], v[50:51]
	v_add_f64 v[46:47], v[2:3], v[52:53]
	s_waitcnt lgkmcnt(1)
	v_add_f64 v[48:49], v[0:1], v[54:55]
	ds_read_b128 v[0:3], v43 offset:64
	v_add_f64 v[46:47], v[46:47], v[56:57]
	s_waitcnt lgkmcnt(1)
	v_add_f64 v[50:51], v[48:49], v[58:59]
	v_add_f64 v[54:55], v[46:47], v[60:61]
	ds_read_b128 v[46:49], v43 offset:80
	s_waitcnt lgkmcnt(1)
	v_add_f64 v[56:57], v[50:51], v[0:1]
	ds_read_b128 v[50:53], v43 offset:96
	v_add_f64 v[54:55], v[54:55], v[2:3]
	ds_read_b128 v[0:3], v43 offset:112
	s_waitcnt lgkmcnt(2)
	v_add_f64 v[46:47], v[56:57], v[46:47]
	v_add_f64 v[48:49], v[54:55], v[48:49]
	s_waitcnt lgkmcnt(1)
	v_add_f64 v[46:47], v[46:47], v[50:51]
	v_add_f64 v[48:49], v[48:49], v[52:53]
	;; [unrolled: 3-line block ×3, first 2 shown]
.LBB191_93:
	s_or_b64 exec, exec, s[8:9]
	v_mul_f64 v[46:47], v[30:31], v[34:35]
	v_fma_f64 v[46:47], v[28:29], v[32:33], -v[46:47]
	v_mul_f64 v[28:29], v[28:29], v[34:35]
	v_fmac_f64_e32 v[28:29], v[30:31], v[32:33]
	v_mul_f64 v[32:33], v[18:19], v[26:27]
	v_fma_f64 v[32:33], v[16:17], v[24:25], -v[32:33]
	v_mul_f64 v[16:17], v[16:17], v[26:27]
	v_fmac_f64_e32 v[16:17], v[18:19], v[24:25]
	v_mul_f64 v[24:25], v[10:11], v[22:23]
	v_add_f64 v[28:29], v[28:29], 0
	v_fma_f64 v[24:25], v[8:9], v[20:21], -v[24:25]
	v_mul_f64 v[8:9], v[8:9], v[22:23]
	v_add_f64 v[30:31], v[46:47], 0
	v_add_f64 v[16:17], v[28:29], v[16:17]
	v_fmac_f64_e32 v[8:9], v[10:11], v[20:21]
	v_add_f64 v[18:19], v[30:31], v[32:33]
	v_add_f64 v[8:9], v[16:17], v[8:9]
	v_mul_f64 v[16:17], v[6:7], v[14:15]
	v_mul_f64 v[14:15], v[4:5], v[14:15]
	v_add_f64 v[10:11], v[18:19], v[24:25]
	v_fma_f64 v[16:17], v[4:5], v[12:13], -v[16:17]
	v_fmac_f64_e32 v[14:15], v[6:7], v[12:13]
	v_add_f64 v[4:5], v[10:11], v[16:17]
	v_add_f64 v[6:7], v[8:9], v[14:15]
	s_barrier
	ds_write_b128 v44, v[4:7]
	s_waitcnt lgkmcnt(0)
	s_barrier
	s_and_saveexec_b64 s[6:7], s[4:5]
	s_cbranch_execz .LBB191_95
; %bb.94:
	ds_read_b128 v[4:7], v43
	ds_read_b128 v[8:11], v43 offset:16
	ds_read_b128 v[12:15], v43 offset:32
	;; [unrolled: 1-line block ×3, first 2 shown]
	s_waitcnt lgkmcnt(3)
	v_add_f64 v[0:1], v[0:1], v[4:5]
	v_add_f64 v[2:3], v[2:3], v[6:7]
	s_waitcnt lgkmcnt(2)
	v_add_f64 v[0:1], v[0:1], v[8:9]
	v_add_f64 v[4:5], v[2:3], v[10:11]
	s_waitcnt lgkmcnt(1)
	v_add_f64 v[6:7], v[0:1], v[12:13]
	ds_read_b128 v[0:3], v43 offset:64
	v_add_f64 v[4:5], v[4:5], v[14:15]
	s_waitcnt lgkmcnt(1)
	v_add_f64 v[8:9], v[6:7], v[16:17]
	v_add_f64 v[12:13], v[4:5], v[18:19]
	ds_read_b128 v[4:7], v43 offset:80
	s_waitcnt lgkmcnt(1)
	v_add_f64 v[14:15], v[8:9], v[0:1]
	ds_read_b128 v[8:11], v43 offset:96
	v_add_f64 v[12:13], v[12:13], v[2:3]
	ds_read_b128 v[0:3], v43 offset:112
	s_waitcnt lgkmcnt(2)
	v_add_f64 v[4:5], v[14:15], v[4:5]
	v_add_f64 v[6:7], v[12:13], v[6:7]
	s_waitcnt lgkmcnt(1)
	v_add_f64 v[4:5], v[4:5], v[8:9]
	v_add_f64 v[6:7], v[6:7], v[10:11]
	;; [unrolled: 3-line block ×3, first 2 shown]
.LBB191_95:
	s_or_b64 exec, exec, s[6:7]
	s_load_dwordx2 s[0:1], s[0:1], 0x78
	s_mul_hi_u32 s4, s23, s22
	s_mul_i32 s35, s35, s22
	s_add_i32 s4, s4, s35
	s_mul_i32 s6, s23, s22
	s_mul_i32 s4, s4, s3
	s_mul_hi_u32 s5, s6, s3
	s_add_i32 s5, s5, s4
	s_mul_i32 s4, s6, s3
	s_lshl_b64 s[4:5], s[4:5], 4
	s_waitcnt lgkmcnt(0)
	s_add_u32 s4, s0, s4
	s_addc_u32 s5, s1, s5
	s_mul_hi_i32 s1, s23, s2
	s_mul_i32 s0, s23, s2
	s_lshl_b64 s[0:1], s[0:1], 4
	s_add_u32 s6, s4, s0
	s_addc_u32 s7, s5, s1
	s_add_i32 s4, s2, 1
	s_cmp_ge_u32 s4, s3
	v_lshlrev_b32_e32 v167, 4, v166
	s_barrier
	s_cbranch_scc1 .LBB191_153
; %bb.96:
	s_mul_i32 s0, s34, s26
	v_lshrrev_b32_e32 v6, 4, v42
	v_mov_b32_e32 v8, 0x4300
	s_ashr_i32 s1, s0, 31
	v_lshl_add_u32 v216, v165, 6, v8
	v_lshlrev_b32_e32 v8, 6, v6
	v_mul_i32_i24_e32 v12, 0xffffffd0, v6
	v_and_b32_e32 v6, 48, v166
	s_lshl_b64 s[0:1], s[0:1], 4
	v_and_b32_e32 v7, 15, v166
	s_movk_i32 s5, 0x430
	v_lshlrev_b32_e32 v6, 4, v6
	v_lshlrev_b32_e32 v214, 2, v165
	v_mov_b32_e32 v4, s1
	v_subrev_co_u32_e32 v168, vcc, s0, v38
	s_lshl_b32 s26, s34, 6
	s_lshl_b32 s16, s24, 4
	v_mad_u32_u24 v220, v7, s5, v6
	v_or_b32_e32 v6, 0xf0, v167
	s_ashr_i32 s25, s24, 31
	s_lshl_b32 s22, s24, 1
	s_mul_i32 s30, s24, 3
	s_mul_i32 s34, s34, s4
	v_subb_co_u32_e32 v169, vcc, v39, v4, vcc
	v_mad_u64_u32 v[4:5], s[0:1], s24, v214, v[166:167]
	s_add_i32 s19, s3, -2
	v_mad_u32_u24 v219, v7, s5, v8
	s_ashr_i32 s17, s16, 31
	v_mad_u32_u24 v221, v7, s5, v6
	s_ashr_i32 s23, s22, 31
	s_ashr_i32 s31, s30, 31
	s_lshl_b64 s[12:13], s[24:25], 4
	s_lshl_b32 s8, s34, 6
	v_lshlrev_b64 v[6:7], 4, v[36:37]
	s_lshl_b64 s[34:35], s[24:25], 5
	s_lshl_b64 s[36:37], s[28:29], 4
	v_ashrrev_i32_e32 v5, 31, v4
	v_sub_co_u32_e32 v170, vcc, 0, v6
	s_add_u32 s4, s34, s36
	s_nop 0
	v_subb_co_u32_e32 v171, vcc, 0, v7, vcc
	s_addc_u32 s5, s35, s37
	v_lshlrev_b64 v[6:7], 4, v[4:5]
	v_lshl_add_u64 v[4:5], s[28:29], 0, v[4:5]
	v_lshl_add_u64 v[8:9], s[4:5], 0, v[6:7]
	v_lshlrev_b64 v[4:5], 4, v[4:5]
	v_lshl_add_u64 v[172:173], v[40:41], 0, v[8:9]
	s_mul_i32 s9, s24, 0x300
	v_mad_i64_i32 v[8:9], s[24:25], s16, 48, v[4:5]
	s_lshl_b64 s[10:11], s[16:17], 6
	s_lshl_b64 s[24:25], s[30:31], 4
	s_add_u32 s28, s12, s36
	v_lshl_add_u64 v[10:11], v[8:9], 0, s[24:25]
	s_addc_u32 s29, s13, s37
	v_lshl_add_u64 v[174:175], v[40:41], 0, v[10:11]
	v_lshl_add_u64 v[10:11], s[28:29], 0, v[6:7]
	s_lshl_b64 s[22:23], s[22:23], 4
	v_lshl_add_u64 v[176:177], v[40:41], 0, v[10:11]
	v_lshl_add_u64 v[10:11], v[8:9], 0, s[22:23]
	s_add_u32 s30, s36, s22
	v_lshl_add_u64 v[178:179], v[40:41], 0, v[10:11]
	v_lshl_add_u64 v[10:11], s[36:37], 0, v[6:7]
	s_addc_u32 s31, s37, s23
	v_lshl_add_u64 v[180:181], v[40:41], 0, v[10:11]
	v_lshl_add_u64 v[10:11], s[30:31], 0, v[6:7]
	s_add_u32 s30, s36, s24
	v_lshl_add_u64 v[182:183], v[40:41], 0, v[8:9]
	v_lshl_add_u64 v[8:9], v[8:9], 0, s[12:13]
	s_addc_u32 s31, s37, s25
	v_lshl_add_u64 v[186:187], v[40:41], 0, v[8:9]
	v_lshl_add_u64 v[8:9], s[30:31], 0, v[6:7]
	s_lshl_b64 s[30:31], s[16:17], 4
	s_add_u32 s38, s4, s30
	s_addc_u32 s39, s5, s31
	s_mul_hi_i32 s27, s16, 48
	s_add_u32 s34, s9, s34
	s_addc_u32 s35, s27, s35
	s_lshl_b64 s[16:17], s[16:17], 5
	v_lshl_add_u64 v[4:5], s[34:35], 0, v[4:5]
	s_add_u32 s34, s16, s36
	s_addc_u32 s35, s17, s37
	v_lshl_add_u64 v[188:189], v[40:41], 0, v[8:9]
	v_lshl_add_u64 v[8:9], s[38:39], 0, v[6:7]
	s_add_u32 s38, s34, s24
	s_addc_u32 s39, s35, s25
	s_add_u32 s28, s28, s30
	v_lshl_add_u64 v[192:193], v[40:41], 0, v[4:5]
	v_lshl_add_u64 v[4:5], s[38:39], 0, v[6:7]
	s_addc_u32 s29, s29, s31
	v_lshl_add_u64 v[194:195], v[40:41], 0, v[4:5]
	v_lshl_add_u64 v[4:5], s[28:29], 0, v[6:7]
	s_add_u32 s28, s34, s22
	s_addc_u32 s29, s35, s23
	v_lshl_add_u64 v[196:197], v[40:41], 0, v[4:5]
	v_lshl_add_u64 v[4:5], s[28:29], 0, v[6:7]
	s_add_u32 s28, s36, s30
	s_addc_u32 s29, s37, s31
	s_add_u32 s22, s28, s22
	v_lshl_add_u64 v[198:199], v[40:41], 0, v[4:5]
	v_lshl_add_u64 v[4:5], s[28:29], 0, v[6:7]
	s_addc_u32 s23, s29, s23
	v_lshl_add_u64 v[200:201], v[40:41], 0, v[4:5]
	v_lshl_add_u64 v[4:5], s[34:35], 0, v[6:7]
	s_add_u32 s12, s34, s12
	v_lshl_add_u64 v[202:203], v[40:41], 0, v[4:5]
	v_lshl_add_u64 v[4:5], s[22:23], 0, v[6:7]
	s_addc_u32 s13, s35, s13
	v_lshl_add_u64 v[204:205], v[40:41], 0, v[4:5]
	v_lshl_add_u64 v[4:5], s[12:13], 0, v[6:7]
	s_add_u32 s12, s28, s24
	s_addc_u32 s13, s29, s25
	s_add_u32 s4, s4, s16
	v_lshl_add_u64 v[206:207], v[40:41], 0, v[4:5]
	v_lshl_add_u64 v[4:5], s[12:13], 0, v[6:7]
	s_addc_u32 s5, s5, s17
	s_movk_i32 s0, 0x10c0
	v_lshl_add_u64 v[208:209], v[40:41], 0, v[4:5]
	v_lshl_add_u64 v[4:5], s[4:5], 0, v[6:7]
	v_mov_b32_e32 v238, 0
	v_add_u32_e32 v215, 0x4300, v167
	v_add_u32_e32 v217, 0x4700, v167
	v_mad_u32_u24 v218, v165, s0, v167
	v_cmp_gt_u32_e64 s[0:1], 64, v42
	v_or_b32_e32 v222, 1, v214
	v_or_b32_e32 v223, 2, v214
	;; [unrolled: 1-line block ×3, first 2 shown]
	v_add_u32_e32 v225, 16, v214
	v_add_u32_e32 v226, 17, v214
	;; [unrolled: 1-line block ×4, first 2 shown]
	v_lshl_add_u64 v[184:185], v[40:41], 0, v[10:11]
	v_lshl_add_u64 v[190:191], v[40:41], 0, v[8:9]
	;; [unrolled: 1-line block ×3, first 2 shown]
	v_add_u32_e32 v229, 32, v214
	v_add_u32_e32 v230, 33, v214
	;; [unrolled: 1-line block ×3, first 2 shown]
	v_mov_b32_e32 v239, v238
	v_mov_b32_e32 v240, v238
	;; [unrolled: 1-line block ×3, first 2 shown]
	v_add_u32_e32 v232, 34, v214
	v_add_u32_e32 v233, 35, v214
	;; [unrolled: 1-line block ×7, first 2 shown]
	s_cmp_eq_u32 s19, s2
	s_cselect_b32 s24, s33, 0
	s_and_saveexec_b64 s[4:5], s[14:15]
	s_cbranch_execz .LBB191_102
	s_branch .LBB191_98
.LBB191_97:                             ;   in Loop: Header=BB191_102 Depth=1
	s_mov_b32 s2, s4
	s_cmp_eq_u32 s19, s2
	s_cselect_b32 s24, s33, 0
	s_and_saveexec_b64 s[4:5], s[14:15]
	s_cbranch_execz .LBB191_102
.LBB191_98:
	s_cmp_lg_u32 s24, 0
	s_cselect_b64 s[12:13], -1, 0
	v_cmp_le_i32_e32 vcc, s24, v166
	s_and_b64 s[12:13], s[12:13], vcc
	s_and_saveexec_b64 s[16:17], s[12:13]
	s_xor_b64 s[12:13], exec, s[16:17]
; %bb.99:
	ds_write_b128 v215, v[238:241]
; %bb.100:
	s_andn2_saveexec_b64 s[12:13], s[12:13]
	s_cbranch_execz .LBB191_102
; %bb.101:
	s_ashr_i32 s9, s8, 31
	v_lshl_add_u64 v[4:5], s[8:9], 4, v[168:169]
	flat_load_dwordx4 v[4:7], v[4:5]
	s_waitcnt vmcnt(0) lgkmcnt(0)
	ds_write2_b64 v215, v[4:5], v[6:7] offset1:1
.LBB191_102:                            ; =>This Inner Loop Header: Depth=1
	s_or_b64 exec, exec, s[4:5]
	s_cmp_eq_u32 s24, 0
	s_cselect_b64 s[12:13], -1, 0
	s_cmp_lg_u32 s24, 0
	s_cselect_b64 s[16:17], -1, 0
	v_lshl_add_u64 v[16:17], v[180:181], 0, v[170:171]
	s_and_b64 vcc, exec, s[16:17]
	s_waitcnt lgkmcnt(0)
	s_barrier
	s_cbranch_vccz .LBB191_110
; %bb.103:                              ;   in Loop: Header=BB191_102 Depth=1
	v_cmp_gt_i32_e32 vcc, s24, v214
	v_mov_b64_e32 v[8:9], 0
	v_mov_b64_e32 v[4:5], 0
	;; [unrolled: 1-line block ×3, first 2 shown]
	s_and_saveexec_b64 s[4:5], vcc
	s_cbranch_execz .LBB191_105
; %bb.104:                              ;   in Loop: Header=BB191_102 Depth=1
	flat_load_dwordx4 v[4:7], v[16:17]
.LBB191_105:                            ;   in Loop: Header=BB191_102 Depth=1
	s_or_b64 exec, exec, s[4:5]
	v_cmp_gt_i32_e32 vcc, s24, v222
	v_mov_b64_e32 v[10:11], 0
	s_and_saveexec_b64 s[4:5], vcc
	s_cbranch_execz .LBB191_107
; %bb.106:                              ;   in Loop: Header=BB191_102 Depth=1
	v_lshl_add_u64 v[8:9], v[176:177], 0, v[170:171]
	flat_load_dwordx4 v[8:11], v[8:9]
.LBB191_107:                            ;   in Loop: Header=BB191_102 Depth=1
	s_or_b64 exec, exec, s[4:5]
	v_cmp_gt_i32_e32 vcc, s24, v223
	v_mov_b64_e32 v[12:13], 0
	v_mov_b64_e32 v[14:15], 0
	s_and_saveexec_b64 s[4:5], vcc
	s_cbranch_execz .LBB191_109
; %bb.108:                              ;   in Loop: Header=BB191_102 Depth=1
	v_lshl_add_u64 v[12:13], v[184:185], 0, v[170:171]
	flat_load_dwordx4 v[12:15], v[12:13]
.LBB191_109:                            ;   in Loop: Header=BB191_102 Depth=1
	s_or_b64 exec, exec, s[4:5]
	v_cmp_gt_i32_e64 s[4:5], s24, v224
	s_branch .LBB191_112
.LBB191_110:                            ;   in Loop: Header=BB191_102 Depth=1
	s_mov_b64 s[4:5], 0
                                        ; implicit-def: $vgpr14_vgpr15
                                        ; implicit-def: $vgpr10_vgpr11
                                        ; implicit-def: $vgpr6_vgpr7
	s_cbranch_execz .LBB191_112
; %bb.111:                              ;   in Loop: Header=BB191_102 Depth=1
	s_waitcnt vmcnt(0) lgkmcnt(0)
	v_lshl_add_u64 v[8:9], v[176:177], 0, v[170:171]
	v_lshl_add_u64 v[12:13], v[172:173], 0, v[170:171]
	flat_load_dwordx4 v[4:7], v[16:17]
	s_or_b64 s[4:5], s[4:5], exec
	flat_load_dwordx4 v[8:11], v[8:9]
	s_nop 0
	flat_load_dwordx4 v[12:15], v[12:13]
.LBB191_112:                            ;   in Loop: Header=BB191_102 Depth=1
	v_mov_b64_e32 v[16:17], 0
	v_mov_b64_e32 v[18:19], 0
	s_and_saveexec_b64 s[22:23], s[4:5]
	s_cbranch_execz .LBB191_114
; %bb.113:                              ;   in Loop: Header=BB191_102 Depth=1
	v_lshl_add_u64 v[16:17], v[188:189], 0, v[170:171]
	flat_load_dwordx4 v[16:19], v[16:17]
.LBB191_114:                            ;   in Loop: Header=BB191_102 Depth=1
	s_or_b64 exec, exec, s[22:23]
	ds_read_b128 v[36:39], v217
	ds_read_b128 v[32:35], v216
	ds_read_b128 v[28:31], v216 offset:16
	ds_read_b128 v[24:27], v216 offset:32
	;; [unrolled: 1-line block ×3, first 2 shown]
	s_waitcnt vmcnt(0) lgkmcnt(0)
	v_mul_f64 v[40:41], v[6:7], v[38:39]
	v_mul_f64 v[42:43], v[4:5], v[38:39]
	v_fma_f64 v[40:41], v[4:5], v[36:37], -v[40:41]
	v_fmac_f64_e32 v[42:43], v[6:7], v[36:37]
	ds_write_b128 v218, v[40:43]
	v_mul_f64 v[40:41], v[10:11], v[38:39]
	v_mul_f64 v[42:43], v[8:9], v[38:39]
	v_fma_f64 v[40:41], v[8:9], v[36:37], -v[40:41]
	v_fmac_f64_e32 v[42:43], v[10:11], v[36:37]
	ds_write_b128 v218, v[40:43] offset:1072
	v_mul_f64 v[40:41], v[14:15], v[38:39]
	v_mul_f64 v[42:43], v[12:13], v[38:39]
	v_fma_f64 v[40:41], v[12:13], v[36:37], -v[40:41]
	v_fmac_f64_e32 v[42:43], v[14:15], v[36:37]
	ds_write_b128 v218, v[40:43] offset:2144
	;; [unrolled: 5-line block ×3, first 2 shown]
	s_waitcnt lgkmcnt(0)
	s_barrier
	ds_read_b128 v[92:95], v219
	ds_read_b128 v[88:91], v219 offset:16
	ds_read_b128 v[84:87], v219 offset:32
	;; [unrolled: 1-line block ×3, first 2 shown]
	v_cndmask_b32_e64 v36, 0, 1, s[16:17]
	v_cmp_ne_u32_e64 s[4:5], 1, v36
	s_andn2_b64 vcc, exec, s[16:17]
	v_lshl_add_u64 v[48:49], v[200:201], 0, v[170:171]
	s_waitcnt lgkmcnt(0)
	s_barrier
	s_cbranch_vccnz .LBB191_122
; %bb.115:                              ;   in Loop: Header=BB191_102 Depth=1
	v_cmp_gt_i32_e32 vcc, s24, v225
	v_mov_b64_e32 v[40:41], 0
	v_mov_b64_e32 v[36:37], 0
	;; [unrolled: 1-line block ×3, first 2 shown]
	s_and_saveexec_b64 s[16:17], vcc
	s_cbranch_execz .LBB191_117
; %bb.116:                              ;   in Loop: Header=BB191_102 Depth=1
	flat_load_dwordx4 v[36:39], v[48:49]
.LBB191_117:                            ;   in Loop: Header=BB191_102 Depth=1
	s_or_b64 exec, exec, s[16:17]
	v_cmp_gt_i32_e32 vcc, s24, v226
	v_mov_b64_e32 v[42:43], 0
	s_and_saveexec_b64 s[16:17], vcc
	s_cbranch_execz .LBB191_119
; %bb.118:                              ;   in Loop: Header=BB191_102 Depth=1
	v_lshl_add_u64 v[40:41], v[196:197], 0, v[170:171]
	flat_load_dwordx4 v[40:43], v[40:41]
.LBB191_119:                            ;   in Loop: Header=BB191_102 Depth=1
	s_or_b64 exec, exec, s[16:17]
	v_cmp_gt_i32_e32 vcc, s24, v227
	v_mov_b64_e32 v[44:45], 0
	v_mov_b64_e32 v[46:47], 0
	s_and_saveexec_b64 s[16:17], vcc
	s_cbranch_execz .LBB191_121
; %bb.120:                              ;   in Loop: Header=BB191_102 Depth=1
	v_lshl_add_u64 v[44:45], v[204:205], 0, v[170:171]
	flat_load_dwordx4 v[44:47], v[44:45]
.LBB191_121:                            ;   in Loop: Header=BB191_102 Depth=1
	s_or_b64 exec, exec, s[16:17]
	v_cmp_gt_i32_e64 s[16:17], s24, v228
	s_branch .LBB191_124
.LBB191_122:                            ;   in Loop: Header=BB191_102 Depth=1
	s_mov_b64 s[16:17], 0
                                        ; implicit-def: $vgpr46_vgpr47
                                        ; implicit-def: $vgpr42_vgpr43
                                        ; implicit-def: $vgpr38_vgpr39
	s_cbranch_execz .LBB191_124
; %bb.123:                              ;   in Loop: Header=BB191_102 Depth=1
	s_waitcnt vmcnt(0) lgkmcnt(0)
	v_lshl_add_u64 v[40:41], v[196:197], 0, v[170:171]
	v_lshl_add_u64 v[44:45], v[190:191], 0, v[170:171]
	flat_load_dwordx4 v[36:39], v[48:49]
	s_or_b64 s[16:17], s[16:17], exec
	flat_load_dwordx4 v[40:43], v[40:41]
	s_nop 0
	flat_load_dwordx4 v[44:47], v[44:45]
.LBB191_124:                            ;   in Loop: Header=BB191_102 Depth=1
	v_mov_b64_e32 v[48:49], 0
	v_mov_b64_e32 v[50:51], 0
	s_and_saveexec_b64 s[22:23], s[16:17]
	s_cbranch_execz .LBB191_126
; %bb.125:                              ;   in Loop: Header=BB191_102 Depth=1
	v_lshl_add_u64 v[48:49], v[208:209], 0, v[170:171]
	flat_load_dwordx4 v[48:51], v[48:49]
.LBB191_126:                            ;   in Loop: Header=BB191_102 Depth=1
	s_or_b64 exec, exec, s[22:23]
	ds_read_b128 v[68:71], v217
	ds_read_b128 v[64:67], v216 offset:256
	ds_read_b128 v[60:63], v216 offset:272
	;; [unrolled: 1-line block ×4, first 2 shown]
	s_waitcnt vmcnt(0) lgkmcnt(0)
	v_mul_f64 v[72:73], v[38:39], v[70:71]
	v_mul_f64 v[74:75], v[36:37], v[70:71]
	v_fma_f64 v[72:73], v[36:37], v[68:69], -v[72:73]
	v_fmac_f64_e32 v[74:75], v[38:39], v[68:69]
	ds_write_b128 v218, v[72:75]
	v_mul_f64 v[72:73], v[42:43], v[70:71]
	v_mul_f64 v[74:75], v[40:41], v[70:71]
	v_fma_f64 v[72:73], v[40:41], v[68:69], -v[72:73]
	v_fmac_f64_e32 v[74:75], v[42:43], v[68:69]
	ds_write_b128 v218, v[72:75] offset:1072
	v_mul_f64 v[72:73], v[46:47], v[70:71]
	v_mul_f64 v[74:75], v[44:45], v[70:71]
	v_fma_f64 v[72:73], v[44:45], v[68:69], -v[72:73]
	v_fmac_f64_e32 v[74:75], v[46:47], v[68:69]
	ds_write_b128 v218, v[72:75] offset:2144
	;; [unrolled: 5-line block ×3, first 2 shown]
	s_waitcnt lgkmcnt(0)
	s_barrier
	ds_read_b128 v[144:147], v219
	ds_read_b128 v[140:143], v219 offset:16
	ds_read_b128 v[136:139], v219 offset:32
	;; [unrolled: 1-line block ×3, first 2 shown]
	s_and_b64 vcc, exec, s[4:5]
	v_lshl_add_u64 v[96:97], v[202:203], 0, v[170:171]
	s_waitcnt lgkmcnt(0)
	s_barrier
	s_cbranch_vccnz .LBB191_134
; %bb.127:                              ;   in Loop: Header=BB191_102 Depth=1
	v_cmp_gt_i32_e32 vcc, s24, v229
	v_mov_b64_e32 v[72:73], 0
	v_mov_b64_e32 v[68:69], 0
	v_mov_b64_e32 v[70:71], 0
	s_and_saveexec_b64 s[16:17], vcc
	s_cbranch_execz .LBB191_129
; %bb.128:                              ;   in Loop: Header=BB191_102 Depth=1
	flat_load_dwordx4 v[68:71], v[96:97]
.LBB191_129:                            ;   in Loop: Header=BB191_102 Depth=1
	s_or_b64 exec, exec, s[16:17]
	v_cmp_gt_i32_e32 vcc, s24, v230
	v_mov_b64_e32 v[74:75], 0
	s_and_saveexec_b64 s[16:17], vcc
	s_cbranch_execz .LBB191_131
; %bb.130:                              ;   in Loop: Header=BB191_102 Depth=1
	v_lshl_add_u64 v[72:73], v[206:207], 0, v[170:171]
	flat_load_dwordx4 v[72:75], v[72:73]
.LBB191_131:                            ;   in Loop: Header=BB191_102 Depth=1
	s_or_b64 exec, exec, s[16:17]
	v_cmp_gt_i32_e32 vcc, s24, v232
	v_mov_b64_e32 v[76:77], 0
	v_mov_b64_e32 v[78:79], 0
	s_and_saveexec_b64 s[16:17], vcc
	s_cbranch_execz .LBB191_133
; %bb.132:                              ;   in Loop: Header=BB191_102 Depth=1
	v_lshl_add_u64 v[76:77], v[198:199], 0, v[170:171]
	flat_load_dwordx4 v[76:79], v[76:77]
.LBB191_133:                            ;   in Loop: Header=BB191_102 Depth=1
	s_or_b64 exec, exec, s[16:17]
	v_cmp_gt_i32_e64 s[16:17], s24, v233
	s_branch .LBB191_136
.LBB191_134:                            ;   in Loop: Header=BB191_102 Depth=1
	s_mov_b64 s[16:17], 0
                                        ; implicit-def: $vgpr78_vgpr79
                                        ; implicit-def: $vgpr74_vgpr75
                                        ; implicit-def: $vgpr70_vgpr71
	s_cbranch_execz .LBB191_136
; %bb.135:                              ;   in Loop: Header=BB191_102 Depth=1
	s_waitcnt vmcnt(0) lgkmcnt(0)
	v_lshl_add_u64 v[72:73], v[206:207], 0, v[170:171]
	v_lshl_add_u64 v[76:77], v[210:211], 0, v[170:171]
	flat_load_dwordx4 v[68:71], v[96:97]
	s_or_b64 s[16:17], s[16:17], exec
	flat_load_dwordx4 v[72:75], v[72:73]
	s_nop 0
	flat_load_dwordx4 v[76:79], v[76:77]
.LBB191_136:                            ;   in Loop: Header=BB191_102 Depth=1
	v_mov_b64_e32 v[96:97], 0
	v_mov_b64_e32 v[98:99], 0
	s_and_saveexec_b64 s[22:23], s[16:17]
	s_cbranch_execz .LBB191_138
; %bb.137:                              ;   in Loop: Header=BB191_102 Depth=1
	v_lshl_add_u64 v[96:97], v[194:195], 0, v[170:171]
	flat_load_dwordx4 v[96:99], v[96:97]
.LBB191_138:                            ;   in Loop: Header=BB191_102 Depth=1
	s_or_b64 exec, exec, s[22:23]
	ds_read_b128 v[116:119], v217
	ds_read_b128 v[112:115], v216 offset:512
	ds_read_b128 v[108:111], v216 offset:528
	;; [unrolled: 1-line block ×4, first 2 shown]
	s_waitcnt vmcnt(0) lgkmcnt(0)
	v_mul_f64 v[120:121], v[70:71], v[118:119]
	v_mul_f64 v[122:123], v[68:69], v[118:119]
	v_fma_f64 v[120:121], v[68:69], v[116:117], -v[120:121]
	v_fmac_f64_e32 v[122:123], v[70:71], v[116:117]
	ds_write_b128 v218, v[120:123]
	v_mul_f64 v[120:121], v[74:75], v[118:119]
	v_mul_f64 v[122:123], v[72:73], v[118:119]
	v_fma_f64 v[120:121], v[72:73], v[116:117], -v[120:121]
	v_fmac_f64_e32 v[122:123], v[74:75], v[116:117]
	ds_write_b128 v218, v[120:123] offset:1072
	v_mul_f64 v[120:121], v[78:79], v[118:119]
	v_mul_f64 v[122:123], v[76:77], v[118:119]
	v_fma_f64 v[120:121], v[76:77], v[116:117], -v[120:121]
	v_fmac_f64_e32 v[122:123], v[78:79], v[116:117]
	ds_write_b128 v218, v[120:123] offset:2144
	;; [unrolled: 5-line block ×3, first 2 shown]
	s_waitcnt lgkmcnt(0)
	s_barrier
	ds_read_b128 v[160:163], v219
	ds_read_b128 v[156:159], v219 offset:16
	ds_read_b128 v[152:155], v219 offset:32
	;; [unrolled: 1-line block ×3, first 2 shown]
	s_and_b64 vcc, exec, s[4:5]
	v_lshl_add_u64 v[128:129], v[182:183], 0, v[170:171]
	s_waitcnt lgkmcnt(0)
	s_barrier
	s_cbranch_vccnz .LBB191_146
; %bb.139:                              ;   in Loop: Header=BB191_102 Depth=1
	v_cmp_gt_i32_e32 vcc, s24, v234
	v_mov_b64_e32 v[120:121], 0
	v_mov_b64_e32 v[116:117], 0
	;; [unrolled: 1-line block ×3, first 2 shown]
	s_and_saveexec_b64 s[4:5], vcc
	s_cbranch_execz .LBB191_141
; %bb.140:                              ;   in Loop: Header=BB191_102 Depth=1
	flat_load_dwordx4 v[116:119], v[128:129]
.LBB191_141:                            ;   in Loop: Header=BB191_102 Depth=1
	s_or_b64 exec, exec, s[4:5]
	v_cmp_gt_i32_e32 vcc, s24, v235
	v_mov_b64_e32 v[122:123], 0
	s_and_saveexec_b64 s[4:5], vcc
	s_cbranch_execz .LBB191_143
; %bb.142:                              ;   in Loop: Header=BB191_102 Depth=1
	v_lshl_add_u64 v[120:121], v[186:187], 0, v[170:171]
	flat_load_dwordx4 v[120:123], v[120:121]
.LBB191_143:                            ;   in Loop: Header=BB191_102 Depth=1
	s_or_b64 exec, exec, s[4:5]
	v_cmp_gt_i32_e32 vcc, s24, v236
	v_mov_b64_e32 v[124:125], 0
	v_mov_b64_e32 v[126:127], 0
	s_and_saveexec_b64 s[4:5], vcc
	s_cbranch_execz .LBB191_145
; %bb.144:                              ;   in Loop: Header=BB191_102 Depth=1
	v_lshl_add_u64 v[124:125], v[178:179], 0, v[170:171]
	flat_load_dwordx4 v[124:127], v[124:125]
.LBB191_145:                            ;   in Loop: Header=BB191_102 Depth=1
	s_or_b64 exec, exec, s[4:5]
	v_cmp_gt_i32_e64 s[4:5], s24, v237
	s_branch .LBB191_148
.LBB191_146:                            ;   in Loop: Header=BB191_102 Depth=1
	s_mov_b64 s[4:5], 0
                                        ; implicit-def: $vgpr126_vgpr127
                                        ; implicit-def: $vgpr122_vgpr123
                                        ; implicit-def: $vgpr118_vgpr119
	s_cbranch_execz .LBB191_148
; %bb.147:                              ;   in Loop: Header=BB191_102 Depth=1
	s_waitcnt vmcnt(0) lgkmcnt(0)
	v_lshl_add_u64 v[120:121], v[186:187], 0, v[170:171]
	v_lshl_add_u64 v[124:125], v[192:193], 0, v[170:171]
	flat_load_dwordx4 v[116:119], v[128:129]
	s_or_b64 s[4:5], s[4:5], exec
	flat_load_dwordx4 v[120:123], v[120:121]
	s_nop 0
	flat_load_dwordx4 v[124:127], v[124:125]
.LBB191_148:                            ;   in Loop: Header=BB191_102 Depth=1
	v_mov_b64_e32 v[128:129], 0
	v_mov_b64_e32 v[130:131], 0
	s_and_saveexec_b64 s[16:17], s[4:5]
	s_cbranch_execz .LBB191_150
; %bb.149:                              ;   in Loop: Header=BB191_102 Depth=1
	v_lshl_add_u64 v[128:129], v[174:175], 0, v[170:171]
	flat_load_dwordx4 v[128:131], v[128:129]
.LBB191_150:                            ;   in Loop: Header=BB191_102 Depth=1
	s_or_b64 exec, exec, s[16:17]
	v_add_f64 v[160:161], v[160:161], 0
	v_add_f64 v[144:145], v[144:145], 0
	;; [unrolled: 1-line block ×19, first 2 shown]
	ds_read_b128 v[140:143], v217
	ds_read_b128 v[132:135], v216 offset:768
	ds_read_b128 v[92:95], v216 offset:784
	;; [unrolled: 1-line block ×4, first 2 shown]
	s_waitcnt vmcnt(0) lgkmcnt(0)
	v_mul_f64 v[144:145], v[118:119], v[142:143]
	v_mul_f64 v[146:147], v[116:117], v[142:143]
	v_fma_f64 v[144:145], v[116:117], v[140:141], -v[144:145]
	v_fmac_f64_e32 v[146:147], v[118:119], v[140:141]
	ds_write_b128 v218, v[144:147]
	v_mul_f64 v[144:145], v[122:123], v[142:143]
	v_mul_f64 v[146:147], v[120:121], v[142:143]
	v_fma_f64 v[144:145], v[120:121], v[140:141], -v[144:145]
	v_fmac_f64_e32 v[146:147], v[122:123], v[140:141]
	ds_write_b128 v218, v[144:147] offset:1072
	v_mul_f64 v[144:145], v[126:127], v[142:143]
	v_mul_f64 v[146:147], v[124:125], v[142:143]
	v_fma_f64 v[144:145], v[124:125], v[140:141], -v[144:145]
	v_fmac_f64_e32 v[146:147], v[126:127], v[140:141]
	ds_write_b128 v218, v[144:147] offset:2144
	v_mul_f64 v[144:145], v[130:131], v[142:143]
	v_mul_f64 v[146:147], v[128:129], v[142:143]
	v_fma_f64 v[144:145], v[128:129], v[140:141], -v[144:145]
	v_fmac_f64_e32 v[146:147], v[130:131], v[140:141]
	v_add_f64 v[162:163], v[162:163], 0
	ds_write_b128 v218, v[144:147] offset:3216
	s_waitcnt lgkmcnt(0)
	s_barrier
	ds_read_b128 v[140:143], v219
	v_add_f64 v[158:159], v[162:163], v[158:159]
	v_add_f64 v[154:155], v[158:159], v[154:155]
	;; [unrolled: 1-line block ×4, first 2 shown]
	ds_read_b128 v[144:147], v219 offset:16
	ds_read_b128 v[152:155], v219 offset:32
	;; [unrolled: 1-line block ×3, first 2 shown]
	s_waitcnt lgkmcnt(3)
	v_add_f64 v[140:141], v[140:141], 0
	v_add_f64 v[142:143], v[142:143], 0
	v_cmp_gt_i32_e32 vcc, s24, v166
	s_waitcnt lgkmcnt(2)
	v_add_f64 v[140:141], v[140:141], v[144:145]
	v_add_f64 v[142:143], v[142:143], v[146:147]
	s_or_b64 s[4:5], s[12:13], vcc
	s_waitcnt lgkmcnt(1)
	v_add_f64 v[140:141], v[140:141], v[152:153]
	v_add_f64 v[142:143], v[142:143], v[154:155]
	s_and_b64 s[12:13], s[0:1], s[4:5]
	s_waitcnt lgkmcnt(0)
	v_add_f64 v[140:141], v[140:141], v[156:157]
	v_add_f64 v[142:143], v[142:143], v[158:159]
	s_barrier
	ds_write_b128 v231, v[80:83]
	ds_write_b128 v231, v[136:139] offset:256
	ds_write_b128 v231, v[148:151] offset:512
	;; [unrolled: 1-line block ×3, first 2 shown]
	s_waitcnt lgkmcnt(0)
	s_barrier
	s_and_saveexec_b64 s[4:5], s[12:13]
	s_cbranch_execz .LBB191_152
; %bb.151:                              ;   in Loop: Header=BB191_102 Depth=1
	ds_read_b128 v[80:83], v220
	ds_read_b128 v[136:139], v220 offset:16
	ds_read_b128 v[140:143], v220 offset:32
	;; [unrolled: 1-line block ×3, first 2 shown]
	v_ashrrev_i32_e32 v213, 31, v212
	s_waitcnt lgkmcnt(2)
	v_add_f64 v[80:81], v[136:137], v[80:81]
	v_add_f64 v[136:137], v[138:139], v[82:83]
	s_waitcnt lgkmcnt(1)
	v_add_f64 v[138:139], v[80:81], v[140:141]
	ds_read_b128 v[80:83], v220 offset:64
	v_add_f64 v[140:141], v[136:137], v[142:143]
	s_waitcnt lgkmcnt(1)
	v_add_f64 v[142:143], v[138:139], v[144:145]
	ds_read_b128 v[136:139], v220 offset:80
	v_add_f64 v[144:145], v[140:141], v[146:147]
	s_waitcnt lgkmcnt(1)
	v_add_f64 v[80:81], v[142:143], v[80:81]
	ds_read_b128 v[140:143], v220 offset:96
	v_add_f64 v[144:145], v[144:145], v[82:83]
	s_waitcnt lgkmcnt(1)
	v_add_f64 v[136:137], v[80:81], v[136:137]
	ds_read_b128 v[80:83], v220 offset:112
	v_add_f64 v[144:145], v[144:145], v[138:139]
	s_waitcnt lgkmcnt(1)
	v_add_f64 v[140:141], v[136:137], v[140:141]
	ds_read_b128 v[136:139], v220 offset:128
	v_add_f64 v[144:145], v[144:145], v[142:143]
	s_waitcnt lgkmcnt(1)
	v_add_f64 v[80:81], v[140:141], v[80:81]
	ds_read_b128 v[140:143], v220 offset:144
	v_add_f64 v[144:145], v[144:145], v[82:83]
	s_waitcnt lgkmcnt(1)
	v_add_f64 v[136:137], v[80:81], v[136:137]
	ds_read_b128 v[80:83], v220 offset:160
	v_add_f64 v[144:145], v[144:145], v[138:139]
	s_waitcnt lgkmcnt(1)
	v_add_f64 v[140:141], v[136:137], v[140:141]
	ds_read_b128 v[136:139], v220 offset:176
	v_add_f64 v[144:145], v[144:145], v[142:143]
	s_waitcnt lgkmcnt(1)
	v_add_f64 v[80:81], v[140:141], v[80:81]
	ds_read_b128 v[140:143], v220 offset:192
	v_add_f64 v[82:83], v[144:145], v[82:83]
	s_waitcnt lgkmcnt(1)
	v_add_f64 v[136:137], v[80:81], v[136:137]
	v_add_f64 v[144:145], v[82:83], v[138:139]
	ds_read_b128 v[80:83], v220 offset:208
	s_waitcnt lgkmcnt(1)
	v_add_f64 v[146:147], v[136:137], v[140:141]
	ds_read_b128 v[136:139], v220 offset:224
	v_add_f64 v[144:145], v[144:145], v[142:143]
	ds_read_b128 v[140:143], v221
	s_waitcnt lgkmcnt(2)
	v_add_f64 v[80:81], v[146:147], v[80:81]
	v_add_f64 v[82:83], v[144:145], v[82:83]
	s_waitcnt lgkmcnt(1)
	v_add_f64 v[80:81], v[80:81], v[136:137]
	v_add_f64 v[82:83], v[82:83], v[138:139]
	;; [unrolled: 3-line block ×3, first 2 shown]
	v_lshl_add_u64 v[136:137], v[212:213], 4, s[6:7]
	global_store_dwordx4 v[136:137], v[80:83], off
.LBB191_152:                            ;   in Loop: Header=BB191_102 Depth=1
	s_or_b64 exec, exec, s[4:5]
	s_nop 0
	v_mul_f64 v[80:81], v[6:7], v[34:35]
	v_fma_f64 v[80:81], v[4:5], v[32:33], -v[80:81]
	v_mul_f64 v[4:5], v[4:5], v[34:35]
	v_mul_f64 v[34:35], v[10:11], v[30:31]
	v_add_f64 v[0:1], v[0:1], v[80:81]
	v_fma_f64 v[34:35], v[8:9], v[28:29], -v[34:35]
	v_mul_f64 v[8:9], v[8:9], v[30:31]
	v_mul_f64 v[30:31], v[14:15], v[26:27]
	v_add_f64 v[0:1], v[0:1], v[34:35]
	v_fma_f64 v[30:31], v[12:13], v[24:25], -v[30:31]
	v_mul_f64 v[12:13], v[12:13], v[26:27]
	v_mul_f64 v[26:27], v[18:19], v[22:23]
	v_fmac_f64_e32 v[4:5], v[6:7], v[32:33]
	v_add_f64 v[0:1], v[0:1], v[30:31]
	v_fma_f64 v[26:27], v[16:17], v[20:21], -v[26:27]
	v_add_f64 v[2:3], v[2:3], v[4:5]
	v_mul_f64 v[4:5], v[38:39], v[66:67]
	v_add_f64 v[0:1], v[0:1], v[26:27]
	v_fma_f64 v[4:5], v[36:37], v[64:65], -v[4:5]
	v_add_f64 v[0:1], v[0:1], v[4:5]
	v_mul_f64 v[4:5], v[42:43], v[62:63]
	v_fma_f64 v[4:5], v[40:41], v[60:61], -v[4:5]
	v_add_f64 v[0:1], v[0:1], v[4:5]
	v_mul_f64 v[4:5], v[46:47], v[58:59]
	;; [unrolled: 3-line block ×4, first 2 shown]
	v_fmac_f64_e32 v[8:9], v[10:11], v[28:29]
	v_fma_f64 v[4:5], v[68:69], v[112:113], -v[4:5]
	v_mul_f64 v[16:17], v[16:17], v[22:23]
	v_add_f64 v[2:3], v[2:3], v[8:9]
	v_fmac_f64_e32 v[12:13], v[14:15], v[24:25]
	v_add_f64 v[0:1], v[0:1], v[4:5]
	v_mul_f64 v[4:5], v[74:75], v[110:111]
	v_add_f64 v[2:3], v[2:3], v[12:13]
	v_fmac_f64_e32 v[16:17], v[18:19], v[20:21]
	v_mul_f64 v[6:7], v[36:37], v[66:67]
	v_fma_f64 v[4:5], v[72:73], v[108:109], -v[4:5]
	v_add_f64 v[2:3], v[2:3], v[16:17]
	v_mul_f64 v[8:9], v[40:41], v[62:63]
	v_fmac_f64_e32 v[6:7], v[38:39], v[64:65]
	v_add_f64 v[0:1], v[0:1], v[4:5]
	v_mul_f64 v[4:5], v[78:79], v[106:107]
	v_mul_f64 v[10:11], v[44:45], v[58:59]
	v_add_f64 v[2:3], v[2:3], v[6:7]
	v_fmac_f64_e32 v[8:9], v[42:43], v[60:61]
	v_fma_f64 v[4:5], v[76:77], v[104:105], -v[4:5]
	v_mul_f64 v[12:13], v[48:49], v[54:55]
	v_add_f64 v[2:3], v[2:3], v[8:9]
	v_fmac_f64_e32 v[10:11], v[46:47], v[56:57]
	v_add_f64 v[0:1], v[0:1], v[4:5]
	v_mul_f64 v[4:5], v[98:99], v[102:103]
	v_add_f64 v[2:3], v[2:3], v[10:11]
	v_fmac_f64_e32 v[12:13], v[50:51], v[52:53]
	v_mul_f64 v[6:7], v[68:69], v[114:115]
	v_fma_f64 v[4:5], v[96:97], v[100:101], -v[4:5]
	v_add_f64 v[2:3], v[2:3], v[12:13]
	v_mul_f64 v[8:9], v[72:73], v[110:111]
	v_add_f64 v[0:1], v[0:1], v[4:5]
	v_fmac_f64_e32 v[6:7], v[70:71], v[112:113]
	v_mul_f64 v[4:5], v[118:119], v[134:135]
	v_mul_f64 v[10:11], v[76:77], v[106:107]
	v_add_f64 v[2:3], v[2:3], v[6:7]
	v_fmac_f64_e32 v[8:9], v[74:75], v[108:109]
	v_fma_f64 v[4:5], v[116:117], v[132:133], -v[4:5]
	v_mul_f64 v[12:13], v[96:97], v[102:103]
	v_add_f64 v[2:3], v[2:3], v[8:9]
	v_fmac_f64_e32 v[10:11], v[78:79], v[104:105]
	v_add_f64 v[0:1], v[0:1], v[4:5]
	v_mul_f64 v[4:5], v[122:123], v[94:95]
	v_add_f64 v[2:3], v[2:3], v[10:11]
	v_fmac_f64_e32 v[12:13], v[98:99], v[100:101]
	v_mul_f64 v[6:7], v[116:117], v[134:135]
	v_fma_f64 v[4:5], v[120:121], v[92:93], -v[4:5]
	v_add_f64 v[2:3], v[2:3], v[12:13]
	v_mul_f64 v[8:9], v[120:121], v[94:95]
	v_add_f64 v[0:1], v[0:1], v[4:5]
	v_mul_f64 v[4:5], v[126:127], v[90:91]
	v_fmac_f64_e32 v[6:7], v[118:119], v[132:133]
	v_fma_f64 v[4:5], v[124:125], v[88:89], -v[4:5]
	v_mul_f64 v[10:11], v[124:125], v[90:91]
	v_fmac_f64_e32 v[8:9], v[122:123], v[92:93]
	v_add_f64 v[2:3], v[2:3], v[6:7]
	v_add_f64 v[0:1], v[0:1], v[4:5]
	v_mul_f64 v[4:5], v[130:131], v[86:87]
	v_mul_f64 v[12:13], v[128:129], v[86:87]
	v_fmac_f64_e32 v[10:11], v[126:127], v[88:89]
	v_add_f64 v[2:3], v[2:3], v[8:9]
	v_fma_f64 v[4:5], v[128:129], v[84:85], -v[4:5]
	v_fmac_f64_e32 v[12:13], v[130:131], v[84:85]
	v_add_f64 v[2:3], v[2:3], v[10:11]
	s_add_i32 s4, s2, 1
	s_add_i32 s8, s8, s26
	;; [unrolled: 1-line block ×3, first 2 shown]
	v_add_f64 v[0:1], v[0:1], v[4:5]
	v_add_f64 v[2:3], v[2:3], v[12:13]
	v_add_u32_e32 v212, 64, v212
	v_lshl_add_u64 v[172:173], v[172:173], 0, s[10:11]
	v_lshl_add_u64 v[174:175], v[174:175], 0, s[10:11]
	;; [unrolled: 1-line block ×19, first 2 shown]
	s_cmp_ge_u32 s2, s3
	v_lshl_add_u64 v[210:211], v[210:211], 0, s[10:11]
	s_barrier
	s_cbranch_scc0 .LBB191_97
.LBB191_153:
	s_movk_i32 s0, 0x430
	v_cmp_gt_i32_e32 vcc, s18, v166
	v_mad_u32_u24 v4, v165, s0, v167
	s_or_b64 s[0:1], s[20:21], vcc
	s_and_b64 s[0:1], s[14:15], s[0:1]
	ds_write_b128 v4, v[0:3]
	s_waitcnt lgkmcnt(0)
	s_barrier
	s_and_saveexec_b64 s[2:3], s[0:1]
	s_cbranch_execz .LBB191_155
; %bb.154:
	ds_read_b128 v[0:3], v167 offset:1072
	ds_read_b128 v[4:7], v167
	ds_read_b128 v[8:11], v167 offset:2144
	ds_read_b128 v[12:15], v167 offset:3216
	v_ashrrev_i32_e32 v165, 31, v164
	s_waitcnt lgkmcnt(2)
	v_add_f64 v[0:1], v[0:1], v[4:5]
	v_add_f64 v[2:3], v[2:3], v[6:7]
	s_waitcnt lgkmcnt(1)
	v_add_f64 v[0:1], v[0:1], v[8:9]
	v_add_f64 v[2:3], v[2:3], v[10:11]
	;; [unrolled: 3-line block ×3, first 2 shown]
	v_lshl_add_u64 v[4:5], v[164:165], 4, s[6:7]
	global_store_dwordx4 v[4:5], v[0:3], off
.LBB191_155:
	s_endpgm
	.section	.rodata,"a",@progbits
	.p2align	6, 0x0
	.amdhsa_kernel _ZL26rocblas_hemvn_kernel_upperILb0ELi64ELi4ELi33ELi32ELi16Ei19rocblas_complex_numIdEPKPKS1_PS1_EviT6_lT7_lT5_lS8_lS9_lS7_lT8_i
		.amdhsa_group_segment_fixed_size 19200
		.amdhsa_private_segment_fixed_size 0
		.amdhsa_kernarg_size 392
		.amdhsa_user_sgpr_count 2
		.amdhsa_user_sgpr_dispatch_ptr 0
		.amdhsa_user_sgpr_queue_ptr 0
		.amdhsa_user_sgpr_kernarg_segment_ptr 1
		.amdhsa_user_sgpr_dispatch_id 0
		.amdhsa_user_sgpr_kernarg_preload_length 0
		.amdhsa_user_sgpr_kernarg_preload_offset 0
		.amdhsa_user_sgpr_private_segment_size 0
		.amdhsa_uses_dynamic_stack 0
		.amdhsa_enable_private_segment 0
		.amdhsa_system_sgpr_workgroup_id_x 1
		.amdhsa_system_sgpr_workgroup_id_y 0
		.amdhsa_system_sgpr_workgroup_id_z 1
		.amdhsa_system_sgpr_workgroup_info 0
		.amdhsa_system_vgpr_workitem_id 1
		.amdhsa_next_free_vgpr 242
		.amdhsa_next_free_sgpr 40
		.amdhsa_accum_offset 244
		.amdhsa_reserve_vcc 1
		.amdhsa_float_round_mode_32 0
		.amdhsa_float_round_mode_16_64 0
		.amdhsa_float_denorm_mode_32 3
		.amdhsa_float_denorm_mode_16_64 3
		.amdhsa_dx10_clamp 1
		.amdhsa_ieee_mode 1
		.amdhsa_fp16_overflow 0
		.amdhsa_tg_split 0
		.amdhsa_exception_fp_ieee_invalid_op 0
		.amdhsa_exception_fp_denorm_src 0
		.amdhsa_exception_fp_ieee_div_zero 0
		.amdhsa_exception_fp_ieee_overflow 0
		.amdhsa_exception_fp_ieee_underflow 0
		.amdhsa_exception_fp_ieee_inexact 0
		.amdhsa_exception_int_div_zero 0
	.end_amdhsa_kernel
	.section	.text._ZL26rocblas_hemvn_kernel_upperILb0ELi64ELi4ELi33ELi32ELi16Ei19rocblas_complex_numIdEPKPKS1_PS1_EviT6_lT7_lT5_lS8_lS9_lS7_lT8_i,"axG",@progbits,_ZL26rocblas_hemvn_kernel_upperILb0ELi64ELi4ELi33ELi32ELi16Ei19rocblas_complex_numIdEPKPKS1_PS1_EviT6_lT7_lT5_lS8_lS9_lS7_lT8_i,comdat
.Lfunc_end191:
	.size	_ZL26rocblas_hemvn_kernel_upperILb0ELi64ELi4ELi33ELi32ELi16Ei19rocblas_complex_numIdEPKPKS1_PS1_EviT6_lT7_lT5_lS8_lS9_lS7_lT8_i, .Lfunc_end191-_ZL26rocblas_hemvn_kernel_upperILb0ELi64ELi4ELi33ELi32ELi16Ei19rocblas_complex_numIdEPKPKS1_PS1_EviT6_lT7_lT5_lS8_lS9_lS7_lT8_i
                                        ; -- End function
	.set _ZL26rocblas_hemvn_kernel_upperILb0ELi64ELi4ELi33ELi32ELi16Ei19rocblas_complex_numIdEPKPKS1_PS1_EviT6_lT7_lT5_lS8_lS9_lS7_lT8_i.num_vgpr, 242
	.set _ZL26rocblas_hemvn_kernel_upperILb0ELi64ELi4ELi33ELi32ELi16Ei19rocblas_complex_numIdEPKPKS1_PS1_EviT6_lT7_lT5_lS8_lS9_lS7_lT8_i.num_agpr, 0
	.set _ZL26rocblas_hemvn_kernel_upperILb0ELi64ELi4ELi33ELi32ELi16Ei19rocblas_complex_numIdEPKPKS1_PS1_EviT6_lT7_lT5_lS8_lS9_lS7_lT8_i.numbered_sgpr, 40
	.set _ZL26rocblas_hemvn_kernel_upperILb0ELi64ELi4ELi33ELi32ELi16Ei19rocblas_complex_numIdEPKPKS1_PS1_EviT6_lT7_lT5_lS8_lS9_lS7_lT8_i.num_named_barrier, 0
	.set _ZL26rocblas_hemvn_kernel_upperILb0ELi64ELi4ELi33ELi32ELi16Ei19rocblas_complex_numIdEPKPKS1_PS1_EviT6_lT7_lT5_lS8_lS9_lS7_lT8_i.private_seg_size, 0
	.set _ZL26rocblas_hemvn_kernel_upperILb0ELi64ELi4ELi33ELi32ELi16Ei19rocblas_complex_numIdEPKPKS1_PS1_EviT6_lT7_lT5_lS8_lS9_lS7_lT8_i.uses_vcc, 1
	.set _ZL26rocblas_hemvn_kernel_upperILb0ELi64ELi4ELi33ELi32ELi16Ei19rocblas_complex_numIdEPKPKS1_PS1_EviT6_lT7_lT5_lS8_lS9_lS7_lT8_i.uses_flat_scratch, 0
	.set _ZL26rocblas_hemvn_kernel_upperILb0ELi64ELi4ELi33ELi32ELi16Ei19rocblas_complex_numIdEPKPKS1_PS1_EviT6_lT7_lT5_lS8_lS9_lS7_lT8_i.has_dyn_sized_stack, 0
	.set _ZL26rocblas_hemvn_kernel_upperILb0ELi64ELi4ELi33ELi32ELi16Ei19rocblas_complex_numIdEPKPKS1_PS1_EviT6_lT7_lT5_lS8_lS9_lS7_lT8_i.has_recursion, 0
	.set _ZL26rocblas_hemvn_kernel_upperILb0ELi64ELi4ELi33ELi32ELi16Ei19rocblas_complex_numIdEPKPKS1_PS1_EviT6_lT7_lT5_lS8_lS9_lS7_lT8_i.has_indirect_call, 0
	.section	.AMDGPU.csdata,"",@progbits
; Kernel info:
; codeLenInByte = 10120
; TotalNumSgprs: 46
; NumVgprs: 242
; NumAgprs: 0
; TotalNumVgprs: 242
; ScratchSize: 0
; MemoryBound: 1
; FloatMode: 240
; IeeeMode: 1
; LDSByteSize: 19200 bytes/workgroup (compile time only)
; SGPRBlocks: 5
; VGPRBlocks: 30
; NumSGPRsForWavesPerEU: 46
; NumVGPRsForWavesPerEU: 242
; AccumOffset: 244
; Occupancy: 2
; WaveLimiterHint : 0
; COMPUTE_PGM_RSRC2:SCRATCH_EN: 0
; COMPUTE_PGM_RSRC2:USER_SGPR: 2
; COMPUTE_PGM_RSRC2:TRAP_HANDLER: 0
; COMPUTE_PGM_RSRC2:TGID_X_EN: 1
; COMPUTE_PGM_RSRC2:TGID_Y_EN: 0
; COMPUTE_PGM_RSRC2:TGID_Z_EN: 1
; COMPUTE_PGM_RSRC2:TIDIG_COMP_CNT: 1
; COMPUTE_PGM_RSRC3_GFX90A:ACCUM_OFFSET: 60
; COMPUTE_PGM_RSRC3_GFX90A:TG_SPLIT: 0
	.section	.text._ZL26rocblas_hemvn_kernel_lowerILb0ELi64ELi4ELi33ELi32ELi16ElPK19rocblas_complex_numIdEPKS3_PS1_EviT6_lT7_lT5_lS8_lS9_lS7_lT8_i,"axG",@progbits,_ZL26rocblas_hemvn_kernel_lowerILb0ELi64ELi4ELi33ELi32ELi16ElPK19rocblas_complex_numIdEPKS3_PS1_EviT6_lT7_lT5_lS8_lS9_lS7_lT8_i,comdat
	.globl	_ZL26rocblas_hemvn_kernel_lowerILb0ELi64ELi4ELi33ELi32ELi16ElPK19rocblas_complex_numIdEPKS3_PS1_EviT6_lT7_lT5_lS8_lS9_lS7_lT8_i ; -- Begin function _ZL26rocblas_hemvn_kernel_lowerILb0ELi64ELi4ELi33ELi32ELi16ElPK19rocblas_complex_numIdEPKS3_PS1_EviT6_lT7_lT5_lS8_lS9_lS7_lT8_i
	.p2align	8
	.type	_ZL26rocblas_hemvn_kernel_lowerILb0ELi64ELi4ELi33ELi32ELi16ElPK19rocblas_complex_numIdEPKS3_PS1_EviT6_lT7_lT5_lS8_lS9_lS7_lT8_i,@function
_ZL26rocblas_hemvn_kernel_lowerILb0ELi64ELi4ELi33ELi32ELi16ElPK19rocblas_complex_numIdEPKS3_PS1_EviT6_lT7_lT5_lS8_lS9_lS7_lT8_i: ; @_ZL26rocblas_hemvn_kernel_lowerILb0ELi64ELi4ELi33ELi32ELi16ElPK19rocblas_complex_numIdEPKS3_PS1_EviT6_lT7_lT5_lS8_lS9_lS7_lT8_i
; %bb.0:
	s_load_dwordx2 s[4:5], s[0:1], 0x84
	s_add_u32 s12, s0, 0x78
	s_mov_b32 s22, s3
	s_addc_u32 s13, s1, 0
	s_waitcnt lgkmcnt(0)
	s_and_b32 s3, s5, 0xffff
	s_lshr_b32 s5, s4, 16
	s_and_b32 s4, s4, 0xffff
	s_mul_i32 s4, s5, s4
	s_mul_i32 s4, s4, s3
	s_cmpk_lg_i32 s4, 0x100
	s_cbranch_scc1 .LBB192_104
; %bb.1:
	s_load_dwordx8 s[4:11], s[0:1], 0x8
	s_mov_b32 s23, 0
	s_waitcnt lgkmcnt(0)
	s_mul_i32 s3, s7, s22
	s_mul_hi_u32 s7, s6, s22
	s_mul_i32 s6, s6, s22
	s_add_i32 s7, s7, s3
	s_lshl_b64 s[6:7], s[6:7], 4
	s_add_u32 s14, s4, s6
	s_addc_u32 s15, s5, s7
	s_load_dwordx4 s[16:19], s[14:15], 0x0
	s_load_dwordx2 s[26:27], s[0:1], 0x68
	s_load_dwordx4 s[4:7], s[0:1], 0x58
	s_waitcnt lgkmcnt(0)
	v_cmp_neq_f64_e64 s[14:15], s[16:17], 0
	v_cmp_neq_f64_e64 s[16:17], s[18:19], 0
	s_or_b64 s[16:17], s[14:15], s[16:17]
	s_mov_b64 s[14:15], -1
	s_and_b64 vcc, exec, s[16:17]
	s_cbranch_vccnz .LBB192_3
; %bb.2:
	s_mul_i32 s3, s7, s22
	s_mul_hi_u32 s7, s6, s22
	s_add_i32 s7, s7, s3
	s_mul_i32 s6, s6, s22
	s_lshl_b64 s[6:7], s[6:7], 4
	s_add_u32 s14, s4, s6
	s_addc_u32 s15, s5, s7
	s_load_dwordx4 s[4:7], s[14:15], 0x0
	s_mov_b64 s[14:15], 0
	s_waitcnt lgkmcnt(0)
	v_cmp_eq_f64_e64 s[4:5], s[4:5], 1.0
	v_cmp_eq_f64_e64 s[6:7], s[6:7], 0
	s_and_b64 s[4:5], s[4:5], s[6:7]
	s_andn2_b64 vcc, exec, s[4:5]
.LBB192_3:
	s_andn2_b64 vcc, exec, s[14:15]
	s_cbranch_vccnz .LBB192_104
; %bb.4:
	s_load_dword s3, s[12:13], 0x0
	s_load_dwordx4 s[4:7], s[0:1], 0x38
	s_load_dwordx2 s[20:21], s[0:1], 0x48
	s_lshl_b64 s[12:13], s[22:23], 3
	s_add_u32 s8, s8, s12
	s_addc_u32 s9, s9, s13
	s_waitcnt lgkmcnt(0)
	s_add_u32 s12, s4, s12
	s_addc_u32 s13, s5, s13
	s_load_dwordx2 s[14:15], s[12:13], 0x0
	s_load_dwordx2 s[24:25], s[0:1], 0x28
	s_load_dword s23, s[0:1], 0x0
	s_load_dwordx2 s[4:5], s[8:9], 0x0
	s_lshl_b64 s[0:1], s[6:7], 4
	s_waitcnt lgkmcnt(0)
	s_add_u32 s0, s14, s0
	s_addc_u32 s1, s15, s1
	s_ashr_i32 s33, s23, 31
	s_lshr_b32 s7, s33, 26
	s_add_i32 s7, s23, s7
	v_and_b32_e32 v159, 0x3ff, v0
	s_lshl_b32 s30, s2, 6
	s_andn2_b32 s7, s7, 63
	s_add_i32 s6, s3, -1
	s_sub_i32 s7, s23, s7
	v_add_u32_e32 v148, s30, v159
	s_cmp_eq_u32 s2, s6
	v_ashrrev_i32_e32 v149, 31, v148
	v_bfe_u32 v158, v0, 10, 10
	s_cselect_b32 s28, s7, 0
	v_mul_lo_u32 v2, s20, v149
	v_mul_lo_u32 v3, s21, v148
	v_mad_u64_u32 v[0:1], s[6:7], s20, v148, 0
	v_add3_u32 v1, v1, v2, v3
	v_lshl_add_u64 v[36:37], v[0:1], 4, s[0:1]
	v_cmp_ne_u32_e64 s[0:1], 0, v158
	v_cmp_eq_u32_e64 s[16:17], 0, v158
	s_and_saveexec_b64 s[6:7], s[16:17]
	s_cbranch_execz .LBB192_9
; %bb.5:
	s_cmp_lg_u32 s28, 0
	s_cselect_b64 s[8:9], -1, 0
	v_cmp_le_i32_e32 vcc, s28, v159
	v_mov_b32_e32 v0, 0x4700
	s_and_b64 s[8:9], s[8:9], vcc
	v_lshl_add_u32 v0, v159, 4, v0
	s_and_saveexec_b64 s[12:13], s[8:9]
	s_xor_b64 s[8:9], exec, s[12:13]
; %bb.6:
	v_mov_b32_e32 v2, 0
	v_mov_b32_e32 v3, v2
	;; [unrolled: 1-line block ×4, first 2 shown]
	ds_write_b128 v0, v[2:5]
                                        ; implicit-def: $vgpr0
; %bb.7:
	s_andn2_saveexec_b64 s[8:9], s[8:9]
	s_cbranch_execz .LBB192_9
; %bb.8:
	flat_load_dwordx4 v[2:5], v[36:37]
	s_waitcnt vmcnt(0) lgkmcnt(0)
	ds_write2_b64 v0, v[2:3], v[4:5] offset1:1
.LBB192_9:
	s_or_b64 exec, exec, s[6:7]
	s_lshl_b64 s[6:7], s[10:11], 4
	s_add_u32 s6, s4, s6
	s_addc_u32 s7, s5, s7
	s_ashr_i32 s31, s30, 31
	v_lshl_add_u32 v42, v158, 6, v159
	s_lshl_b64 s[4:5], s[30:31], 4
	v_and_b32_e32 v4, 31, v159
	v_lshrrev_b32_e32 v12, 5, v42
	s_add_u32 s4, s6, s4
	v_mov_b32_e32 v5, 0
	s_addc_u32 s5, s7, s5
	v_mad_u64_u32 v[38:39], s[6:7], s24, v12, v[4:5]
	v_mov_b32_e32 v0, v39
	v_mad_u64_u32 v[0:1], s[6:7], s25, v12, v[0:1]
	v_mov_b32_e32 v39, v0
	v_lshl_add_u64 v[0:1], v[38:39], 4, s[4:5]
	s_mul_hi_u32 s4, s24, s30
	s_mul_i32 s5, s24, s31
	s_add_i32 s4, s4, s5
	s_mul_i32 s5, s25, s30
	s_add_i32 s35, s4, s5
	s_cmp_lg_u32 s28, 0
	s_mul_i32 s34, s24, s30
	s_cselect_b64 s[36:37], -1, 0
	s_cmp_eq_u32 s28, 0
	v_lshl_add_u64 v[6:7], s[34:35], 4, v[0:1]
	s_cselect_b64 s[18:19], -1, 0
	s_mov_b64 s[4:5], -1
	s_and_b64 vcc, exec, s[36:37]
	s_cbranch_vccnz .LBB192_11
; %bb.10:
	flat_load_dwordx4 v[0:3], v[6:7]
	v_mul_u32_u24_e32 v5, 0x210, v12
	s_lshl_b64 s[4:5], s[24:25], 7
	v_lshl_add_u32 v5, v4, 4, v5
	v_lshl_add_u64 v[8:9], v[6:7], 0, s[4:5]
	v_add_u32_e32 v10, 0x1080, v5
	s_waitcnt vmcnt(0) lgkmcnt(0)
	ds_write2_b64 v5, v[0:1], v[2:3] offset1:1
	flat_load_dwordx4 v[0:3], v[8:9]
	v_lshl_add_u64 v[8:9], v[8:9], 0, s[4:5]
	s_waitcnt vmcnt(0) lgkmcnt(0)
	ds_write2_b64 v10, v[0:1], v[2:3] offset1:1
	flat_load_dwordx4 v[0:3], v[8:9]
	v_add_u32_e32 v10, 0x2100, v5
	v_lshl_add_u64 v[8:9], v[8:9], 0, s[4:5]
	v_add_u32_e32 v5, 0x3180, v5
	s_mov_b64 s[4:5], 0
	s_waitcnt vmcnt(0) lgkmcnt(0)
	ds_write2_b64 v10, v[0:1], v[2:3] offset1:1
	flat_load_dwordx4 v[0:3], v[8:9]
	s_waitcnt vmcnt(0) lgkmcnt(0)
	ds_write2_b64 v5, v[0:1], v[2:3] offset1:1
.LBB192_11:
	s_andn2_b64 vcc, exec, s[4:5]
	v_lshlrev_b32_e32 v5, 4, v4
	s_cbranch_vccnz .LBB192_29
; %bb.12:
	v_lshlrev_b32_e32 v0, 4, v4
	v_sub_co_u32_e32 v2, vcc, v6, v0
	s_ashr_i32 s29, s28, 31
	s_nop 0
	v_subbrev_co_u32_e32 v3, vcc, 0, v7, vcc
	v_lshl_add_u64 v[2:3], s[28:29], 4, v[2:3]
	v_lshl_add_u64 v[2:3], v[2:3], 0, -16
	v_cmp_gt_i32_e32 vcc, s28, v4
	s_movk_i32 s6, 0x210
	v_cmp_le_i32_e64 s[4:5], s28, v12
	v_cndmask_b32_e32 v3, v3, v7, vcc
	v_cndmask_b32_e32 v2, v2, v6, vcc
	v_mad_u32_u24 v1, v12, s6, v5
	s_and_saveexec_b64 s[6:7], s[4:5]
	s_xor_b64 s[4:5], exec, s[6:7]
; %bb.13:
	v_mov_b32_e32 v8, 0
	v_mov_b32_e32 v9, v8
	;; [unrolled: 1-line block ×4, first 2 shown]
	ds_write_b128 v1, v[8:11]
                                        ; implicit-def: $vgpr1
; %bb.14:
	s_andn2_saveexec_b64 s[4:5], s[4:5]
	s_cbranch_execz .LBB192_16
; %bb.15:
	flat_load_dwordx4 v[8:11], v[2:3]
	s_waitcnt vmcnt(0) lgkmcnt(0)
	ds_write2_b64 v1, v[8:9], v[10:11] offset1:1
.LBB192_16:
	s_or_b64 exec, exec, s[4:5]
	v_add_u32_e32 v8, 8, v12
	v_mul_u32_u24_e32 v1, 0x210, v12
	v_cmp_le_i32_e64 s[4:5], s28, v8
	s_and_saveexec_b64 s[6:7], s[4:5]
	s_xor_b64 s[4:5], exec, s[6:7]
	s_cbranch_execz .LBB192_18
; %bb.17:
	v_mov_b32_e32 v14, 0
	v_add_u32_e32 v8, v1, v5
	v_mov_b32_e32 v15, v14
	v_mov_b32_e32 v16, v14
	;; [unrolled: 1-line block ×3, first 2 shown]
	ds_write_b128 v8, v[14:17] offset:4224
.LBB192_18:
	s_andn2_saveexec_b64 s[4:5], s[4:5]
	s_cbranch_execz .LBB192_20
; %bb.19:
	s_lshl_b64 s[6:7], s[24:25], 7
	v_lshl_add_u64 v[8:9], v[2:3], 0, s[6:7]
	flat_load_dwordx4 v[8:11], v[8:9]
	s_movk_i32 s6, 0x1080
	v_add3_u32 v13, v1, v5, s6
	s_waitcnt vmcnt(0) lgkmcnt(0)
	ds_write2_b64 v13, v[8:9], v[10:11] offset1:1
.LBB192_20:
	s_or_b64 exec, exec, s[4:5]
	v_add_u32_e32 v8, 16, v12
	v_cmp_le_i32_e64 s[4:5], s28, v8
	s_and_saveexec_b64 s[6:7], s[4:5]
	s_xor_b64 s[4:5], exec, s[6:7]
	s_cbranch_execz .LBB192_22
; %bb.21:
	v_mov_b32_e32 v14, 0
	v_add_u32_e32 v8, v1, v5
	v_mov_b32_e32 v15, v14
	v_mov_b32_e32 v16, v14
	;; [unrolled: 1-line block ×3, first 2 shown]
	ds_write_b128 v8, v[14:17] offset:8448
.LBB192_22:
	s_andn2_saveexec_b64 s[4:5], s[4:5]
	s_cbranch_execz .LBB192_24
; %bb.23:
	s_lshl_b64 s[6:7], s[24:25], 8
	v_lshl_add_u64 v[8:9], v[2:3], 0, s[6:7]
	flat_load_dwordx4 v[8:11], v[8:9]
	s_movk_i32 s6, 0x2100
	v_add3_u32 v13, v1, v5, s6
	s_waitcnt vmcnt(0) lgkmcnt(0)
	ds_write2_b64 v13, v[8:9], v[10:11] offset1:1
.LBB192_24:
	s_or_b64 exec, exec, s[4:5]
	v_add_u32_e32 v8, 24, v12
	v_cmp_le_i32_e64 s[4:5], s28, v8
	s_and_saveexec_b64 s[6:7], s[4:5]
	s_xor_b64 s[4:5], exec, s[6:7]
	s_cbranch_execz .LBB192_26
; %bb.25:
	v_mov_b32_e32 v8, 0
	v_add_u32_e32 v1, v1, v5
	v_mov_b32_e32 v9, v8
	v_mov_b32_e32 v10, v8
	;; [unrolled: 1-line block ×3, first 2 shown]
	ds_write_b128 v1, v[8:11] offset:12672
                                        ; implicit-def: $vgpr1
.LBB192_26:
	s_andn2_saveexec_b64 s[4:5], s[4:5]
	s_cbranch_execz .LBB192_28
; %bb.27:
	v_mov_b32_e32 v8, 0x180
	v_mad_u64_u32 v[8:9], s[6:7], s24, v8, v[2:3]
	s_mul_i32 s6, s25, 0x180
	s_nop 0
	v_add_u32_e32 v9, s6, v9
	flat_load_dwordx4 v[8:11], v[8:9]
	s_movk_i32 s6, 0x3180
	v_add3_u32 v1, v1, v5, s6
	s_waitcnt vmcnt(0) lgkmcnt(0)
	ds_write2_b64 v1, v[8:9], v[10:11] offset1:1
.LBB192_28:
	s_or_b64 exec, exec, s[4:5]
	v_mov_b32_e32 v1, 0
	v_lshl_add_u64 v[0:1], v[2:3], 0, v[0:1]
	s_lshl_b64 s[4:5], s[28:29], 4
	v_mov_b32_e32 v2, s5
	v_subrev_co_u32_e64 v0, s[4:5], s4, v0
	s_nop 1
	v_subb_co_u32_e64 v1, s[4:5], v1, v2, s[4:5]
	v_lshl_add_u64 v[0:1], v[0:1], 0, 16
	v_cndmask_b32_e32 v7, v1, v7, vcc
	v_cndmask_b32_e32 v6, v0, v6, vcc
.LBB192_29:
	v_lshlrev_b32_e32 v13, 2, v12
	v_lshl_or_b32 v1, v4, 9, v5
	v_cmp_lt_u32_e64 s[6:7], v13, v4
	s_waitcnt lgkmcnt(0)
	s_barrier
	s_and_saveexec_b64 s[4:5], s[6:7]
	s_cbranch_execz .LBB192_31
; %bb.30:
	s_movk_i32 s8, 0x840
	v_mad_u32_u24 v0, v12, s8, v5
	ds_read_b128 v[8:11], v0
	v_lshl_add_u32 v0, v13, 4, v1
	s_waitcnt lgkmcnt(0)
	ds_write_b128 v0, v[8:11]
.LBB192_31:
	s_or_b64 exec, exec, s[4:5]
	v_or_b32_e32 v0, 1, v13
	v_cmp_lt_u32_e64 s[8:9], v0, v4
	s_and_saveexec_b64 s[4:5], s[8:9]
	s_cbranch_execz .LBB192_33
; %bb.32:
	s_movk_i32 s10, 0x210
	v_mad_u32_u24 v2, v0, s10, v5
	ds_read_b128 v[8:11], v2
	v_lshl_add_u32 v2, v13, 4, v1
	s_waitcnt lgkmcnt(0)
	ds_write_b128 v2, v[8:11] offset:16
.LBB192_33:
	s_or_b64 exec, exec, s[4:5]
	v_or_b32_e32 v2, 2, v13
	v_cmp_lt_u32_e64 s[10:11], v2, v4
	s_and_saveexec_b64 s[4:5], s[10:11]
	s_cbranch_execz .LBB192_35
; %bb.34:
	s_movk_i32 s12, 0x210
	v_mad_u32_u24 v2, v2, s12, v5
	ds_read_b128 v[8:11], v2
	v_lshl_add_u32 v2, v13, 4, v1
	s_waitcnt lgkmcnt(0)
	ds_write_b128 v2, v[8:11] offset:32
.LBB192_35:
	s_or_b64 exec, exec, s[4:5]
	v_or_b32_e32 v3, 3, v13
	v_cmp_lt_u32_e64 s[12:13], v3, v4
	v_cmp_ge_u32_e32 vcc, v3, v4
                                        ; implicit-def: $vgpr2
	s_and_saveexec_b64 s[4:5], vcc
	s_xor_b64 s[4:5], exec, s[4:5]
; %bb.36:
	v_mul_u32_u24_e32 v2, 0x210, v3
                                        ; implicit-def: $vgpr1
                                        ; implicit-def: $vgpr3
; %bb.37:
	s_andn2_saveexec_b64 s[4:5], s[4:5]
	s_cbranch_execz .LBB192_39
; %bb.38:
	s_movk_i32 s14, 0x210
	v_mad_u32_u24 v2, v3, s14, v5
	ds_read_b128 v[8:11], v2
	v_lshl_add_u32 v1, v13, 4, v1
	v_mul_u32_u24_e32 v2, 0x210, v3
	s_waitcnt lgkmcnt(0)
	ds_write_b128 v1, v[8:11] offset:48
.LBB192_39:
	s_or_b64 exec, exec, s[4:5]
	s_movk_i32 s4, 0x840
	v_lshlrev_b32_e32 v15, 4, v13
	s_movk_i32 s29, 0x210
	s_waitcnt lgkmcnt(0)
	s_barrier
	v_mad_u32_u24 v16, v12, s4, v5
	ds_read_b128 v[8:11], v15 offset:18176
	ds_read_b128 v[18:21], v15 offset:18192
	ds_read_b128 v[22:25], v16
	ds_read_b128 v[26:29], v15 offset:18208
	ds_read_b128 v[30:33], v15 offset:18224
	v_mad_u32_u24 v17, v0, s29, v5
	ds_read_b128 v[44:47], v17
	s_waitcnt lgkmcnt(3)
	v_mul_f64 v[0:1], v[10:11], v[24:25]
	v_fma_f64 v[34:35], v[8:9], v[22:23], -v[0:1]
	v_mul_f64 v[8:9], v[8:9], v[24:25]
	v_fmac_f64_e32 v[8:9], v[10:11], v[22:23]
	v_add_f64 v[24:25], v[8:9], 0
	s_waitcnt lgkmcnt(0)
	v_mul_f64 v[8:9], v[20:21], v[46:47]
	v_add_f64 v[22:23], v[34:35], 0
	v_fma_f64 v[34:35], v[18:19], v[44:45], -v[8:9]
	v_mul_f64 v[18:19], v[18:19], v[46:47]
	v_fmac_f64_e32 v[18:19], v[20:21], v[44:45]
	ds_read_b128 v[8:11], v17 offset:528
	v_add_f64 v[24:25], v[24:25], v[18:19]
	v_add_u32_e32 v18, v5, v2
	v_add_f64 v[34:35], v[22:23], v[34:35]
	ds_read_b128 v[20:23], v18
	s_waitcnt lgkmcnt(1)
	v_mul_f64 v[2:3], v[28:29], v[10:11]
	v_mul_f64 v[10:11], v[26:27], v[10:11]
	v_fma_f64 v[2:3], v[26:27], v[8:9], -v[2:3]
	v_fmac_f64_e32 v[10:11], v[28:29], v[8:9]
	s_waitcnt lgkmcnt(0)
	v_mul_f64 v[8:9], v[32:33], v[22:23]
	v_add_f64 v[2:3], v[34:35], v[2:3]
	v_fma_f64 v[8:9], v[30:31], v[20:21], -v[8:9]
	v_mul_f64 v[22:23], v[30:31], v[22:23]
	v_add_f64 v[8:9], v[2:3], v[8:9]
	v_mul_u32_u24_e32 v2, 33, v4
	v_add_f64 v[10:11], v[24:25], v[10:11]
	v_fmac_f64_e32 v[22:23], v[32:33], v[20:21]
	v_lshlrev_b32_e32 v43, 4, v2
	v_mov_b64_e32 v[0:1], 0
	v_add_f64 v[10:11], v[10:11], v[22:23]
	v_lshl_add_u32 v44, v12, 4, v43
	v_cmp_gt_u32_e64 s[4:5], 32, v42
	v_mov_b64_e32 v[2:3], 0
	s_barrier
	ds_write_b128 v44, v[8:11]
	s_waitcnt lgkmcnt(0)
	s_barrier
	s_and_saveexec_b64 s[14:15], s[4:5]
	s_cbranch_execz .LBB192_41
; %bb.40:
	ds_read_b128 v[0:3], v43
	ds_read_b128 v[8:11], v43 offset:16
	ds_read_b128 v[20:23], v43 offset:32
	;; [unrolled: 1-line block ×3, first 2 shown]
	s_waitcnt lgkmcnt(2)
	v_add_f64 v[0:1], v[8:9], v[0:1]
	v_add_f64 v[8:9], v[10:11], v[2:3]
	s_waitcnt lgkmcnt(1)
	v_add_f64 v[10:11], v[0:1], v[20:21]
	ds_read_b128 v[0:3], v43 offset:64
	v_add_f64 v[8:9], v[8:9], v[22:23]
	s_waitcnt lgkmcnt(1)
	v_add_f64 v[20:21], v[10:11], v[24:25]
	v_add_f64 v[24:25], v[8:9], v[26:27]
	ds_read_b128 v[8:11], v43 offset:80
	s_waitcnt lgkmcnt(1)
	v_add_f64 v[26:27], v[20:21], v[0:1]
	ds_read_b128 v[20:23], v43 offset:96
	v_add_f64 v[24:25], v[24:25], v[2:3]
	ds_read_b128 v[0:3], v43 offset:112
	s_waitcnt lgkmcnt(2)
	v_add_f64 v[8:9], v[26:27], v[8:9]
	v_add_f64 v[10:11], v[24:25], v[10:11]
	s_waitcnt lgkmcnt(1)
	v_add_f64 v[8:9], v[8:9], v[20:21]
	v_add_f64 v[10:11], v[10:11], v[22:23]
	;; [unrolled: 3-line block ×3, first 2 shown]
.LBB192_41:
	s_or_b64 exec, exec, s[14:15]
	s_lshl_b64 s[14:15], s[24:25], 9
	v_lshl_add_u64 v[10:11], v[6:7], 0, s[14:15]
	s_mov_b64 s[14:15], 0x200
	v_cndmask_b32_e64 v8, 0, 1, s[18:19]
	v_lshl_add_u64 v[6:7], v[10:11], 0, s[14:15]
	v_mad_u32_u24 v14, v12, s29, v5
	v_cmp_ne_u32_e64 s[14:15], 1, v8
	s_andn2_b64 vcc, exec, s[18:19]
	s_mov_b64 s[18:19], -1
	s_barrier
	s_cbranch_vccnz .LBB192_43
; %bb.42:
	flat_load_dwordx4 v[20:23], v[6:7]
	s_lshl_b64 s[18:19], s[24:25], 7
	v_lshl_add_u64 v[8:9], v[10:11], 0, s[18:19]
	v_add_u32_e32 v19, 0x1080, v14
	s_waitcnt vmcnt(0) lgkmcnt(0)
	ds_write2_b64 v14, v[20:21], v[22:23] offset1:1
	flat_load_dwordx4 v[20:23], v[8:9] offset:512
	v_lshl_add_u64 v[8:9], v[8:9], 0, s[18:19]
	s_waitcnt vmcnt(0) lgkmcnt(0)
	ds_write2_b64 v19, v[20:21], v[22:23] offset1:1
	flat_load_dwordx4 v[20:23], v[8:9] offset:512
	v_add_u32_e32 v19, 0x2100, v14
	v_lshl_add_u64 v[8:9], v[8:9], 0, s[18:19]
	s_mov_b64 s[18:19], 0
	s_waitcnt vmcnt(0) lgkmcnt(0)
	ds_write2_b64 v19, v[20:21], v[22:23] offset1:1
	flat_load_dwordx4 v[20:23], v[8:9] offset:512
	v_add_u32_e32 v8, 0x3180, v14
	s_waitcnt vmcnt(0) lgkmcnt(0)
	ds_write2_b64 v8, v[20:21], v[22:23] offset1:1
.LBB192_43:
	s_andn2_b64 vcc, exec, s[18:19]
	s_cbranch_vccnz .LBB192_61
; %bb.44:
	v_lshlrev_b32_e32 v8, 4, v4
	v_sub_co_u32_e32 v10, vcc, v10, v8
	s_ashr_i32 s29, s28, 31
	s_nop 0
	v_subbrev_co_u32_e32 v11, vcc, 0, v11, vcc
	v_or_b32_e32 v9, 32, v4
	v_lshl_add_u64 v[10:11], s[28:29], 4, v[10:11]
	v_lshl_add_u64 v[10:11], v[10:11], 0, -16
	v_cmp_gt_i32_e32 vcc, s28, v9
	s_sub_i32 s38, s28, 32
	v_cmp_le_i32_e64 s[18:19], s38, v12
	v_cndmask_b32_e32 v11, v11, v7, vcc
	v_cndmask_b32_e32 v10, v10, v6, vcc
	s_and_saveexec_b64 s[40:41], s[18:19]
	s_xor_b64 s[18:19], exec, s[40:41]
; %bb.45:
	v_mov_b32_e32 v20, 0
	v_mov_b32_e32 v21, v20
	v_mov_b32_e32 v22, v20
	v_mov_b32_e32 v23, v20
	ds_write_b128 v14, v[20:23]
; %bb.46:
	s_andn2_saveexec_b64 s[18:19], s[18:19]
	s_cbranch_execz .LBB192_48
; %bb.47:
	flat_load_dwordx4 v[20:23], v[10:11]
	s_waitcnt vmcnt(0) lgkmcnt(0)
	ds_write2_b64 v14, v[20:21], v[22:23] offset1:1
.LBB192_48:
	s_or_b64 exec, exec, s[18:19]
	v_add_u32_e32 v19, 8, v12
	v_mul_u32_u24_e32 v9, 0x210, v12
	v_cmp_le_i32_e64 s[18:19], s38, v19
	s_and_saveexec_b64 s[40:41], s[18:19]
	s_xor_b64 s[18:19], exec, s[40:41]
	s_cbranch_execz .LBB192_50
; %bb.49:
	v_mov_b32_e32 v20, 0
	v_add_u32_e32 v19, v9, v5
	v_mov_b32_e32 v21, v20
	v_mov_b32_e32 v22, v20
	v_mov_b32_e32 v23, v20
	ds_write_b128 v19, v[20:23] offset:4224
.LBB192_50:
	s_andn2_saveexec_b64 s[18:19], s[18:19]
	s_cbranch_execz .LBB192_52
; %bb.51:
	s_lshl_b64 s[40:41], s[24:25], 7
	v_lshl_add_u64 v[20:21], v[10:11], 0, s[40:41]
	flat_load_dwordx4 v[20:23], v[20:21]
	s_movk_i32 s39, 0x1080
	v_add3_u32 v19, v9, v5, s39
	s_waitcnt vmcnt(0) lgkmcnt(0)
	ds_write2_b64 v19, v[20:21], v[22:23] offset1:1
.LBB192_52:
	s_or_b64 exec, exec, s[18:19]
	v_add_u32_e32 v19, 16, v12
	v_cmp_le_i32_e64 s[18:19], s38, v19
	s_and_saveexec_b64 s[40:41], s[18:19]
	s_xor_b64 s[18:19], exec, s[40:41]
	s_cbranch_execz .LBB192_54
; %bb.53:
	v_mov_b32_e32 v20, 0
	v_add_u32_e32 v19, v9, v5
	v_mov_b32_e32 v21, v20
	v_mov_b32_e32 v22, v20
	;; [unrolled: 1-line block ×3, first 2 shown]
	ds_write_b128 v19, v[20:23] offset:8448
.LBB192_54:
	s_andn2_saveexec_b64 s[18:19], s[18:19]
	s_cbranch_execz .LBB192_56
; %bb.55:
	s_lshl_b64 s[40:41], s[24:25], 8
	v_lshl_add_u64 v[20:21], v[10:11], 0, s[40:41]
	flat_load_dwordx4 v[20:23], v[20:21]
	s_movk_i32 s39, 0x2100
	v_add3_u32 v19, v9, v5, s39
	s_waitcnt vmcnt(0) lgkmcnt(0)
	ds_write2_b64 v19, v[20:21], v[22:23] offset1:1
.LBB192_56:
	s_or_b64 exec, exec, s[18:19]
	v_add_u32_e32 v19, 24, v12
	v_cmp_le_i32_e64 s[18:19], s38, v19
	s_and_saveexec_b64 s[38:39], s[18:19]
	s_xor_b64 s[18:19], exec, s[38:39]
	s_cbranch_execz .LBB192_58
; %bb.57:
	v_mov_b32_e32 v20, 0
	v_add_u32_e32 v9, v9, v5
	v_mov_b32_e32 v21, v20
	v_mov_b32_e32 v22, v20
	;; [unrolled: 1-line block ×3, first 2 shown]
	ds_write_b128 v9, v[20:23] offset:12672
                                        ; implicit-def: $vgpr9
.LBB192_58:
	s_andn2_saveexec_b64 s[18:19], s[18:19]
	s_cbranch_execz .LBB192_60
; %bb.59:
	v_mov_b32_e32 v19, 0x180
	v_mad_u64_u32 v[20:21], s[38:39], s24, v19, v[10:11]
	s_mul_i32 s38, s25, 0x180
	s_nop 0
	v_add_u32_e32 v21, s38, v21
	flat_load_dwordx4 v[20:23], v[20:21]
	s_movk_i32 s38, 0x3180
	v_add3_u32 v9, v9, v5, s38
	s_waitcnt vmcnt(0) lgkmcnt(0)
	ds_write2_b64 v9, v[20:21], v[22:23] offset1:1
.LBB192_60:
	s_or_b64 exec, exec, s[18:19]
	v_mov_b32_e32 v9, 0
	v_lshl_add_u64 v[8:9], v[10:11], 0, v[8:9]
	s_lshl_b64 s[18:19], s[28:29], 4
	v_mov_b32_e32 v10, s19
	v_subrev_co_u32_e64 v8, s[18:19], s18, v8
	s_nop 1
	v_subb_co_u32_e64 v9, s[18:19], v9, v10, s[18:19]
	s_mov_b64 s[18:19], 0x210
	s_nop 0
	v_lshl_add_u64 v[8:9], v[8:9], 0, s[18:19]
	v_cndmask_b32_e32 v7, v9, v7, vcc
	v_cndmask_b32_e32 v6, v8, v6, vcc
.LBB192_61:
	v_add_u32_e32 v15, 0x4700, v15
	v_add_u32_e32 v8, 0x210, v17
	s_lshl_b64 s[18:19], s[24:25], 5
	s_waitcnt lgkmcnt(0)
	s_barrier
	s_and_saveexec_b64 s[38:39], s[6:7]
	s_cbranch_execnz .LBB192_70
; %bb.62:
	s_or_b64 exec, exec, s[38:39]
	s_and_saveexec_b64 s[6:7], s[8:9]
	s_cbranch_execnz .LBB192_71
.LBB192_63:
	s_or_b64 exec, exec, s[6:7]
	s_and_saveexec_b64 s[6:7], s[10:11]
	s_cbranch_execnz .LBB192_72
.LBB192_64:
	s_or_b64 exec, exec, s[6:7]
	s_and_saveexec_b64 s[6:7], s[12:13]
	s_cbranch_execz .LBB192_66
.LBB192_65:
	ds_read_b128 v[20:23], v18
	v_lshl_add_u32 v9, v13, 4, v43
	s_waitcnt lgkmcnt(0)
	ds_write_b128 v9, v[20:23] offset:48
.LBB192_66:
	s_or_b64 exec, exec, s[6:7]
	s_waitcnt lgkmcnt(0)
	s_barrier
	ds_read_b128 v[20:23], v15 offset:512
	ds_read_b128 v[24:27], v16
	ds_read_b128 v[28:31], v15 offset:528
	ds_read_b128 v[32:35], v15 offset:544
	;; [unrolled: 1-line block ×3, first 2 shown]
	ds_read_b128 v[50:53], v17
	v_cmp_eq_u32_e64 s[6:7], 1, v12
	s_waitcnt lgkmcnt(4)
	v_mul_f64 v[10:11], v[22:23], v[26:27]
	v_fma_f64 v[10:11], v[20:21], v[24:25], -v[10:11]
	v_mul_f64 v[16:17], v[20:21], v[26:27]
	v_add_f64 v[20:21], v[10:11], 0
	s_waitcnt lgkmcnt(0)
	v_mul_f64 v[10:11], v[30:31], v[52:53]
	v_fmac_f64_e32 v[16:17], v[22:23], v[24:25]
	v_fma_f64 v[22:23], v[28:29], v[50:51], -v[10:11]
	v_mul_f64 v[24:25], v[28:29], v[52:53]
	ds_read_b128 v[8:11], v8
	v_add_f64 v[16:17], v[16:17], 0
	v_fmac_f64_e32 v[24:25], v[30:31], v[50:51]
	v_add_f64 v[20:21], v[20:21], v[22:23]
	v_add_f64 v[22:23], v[16:17], v[24:25]
	ds_read_b128 v[16:19], v18
	s_waitcnt lgkmcnt(1)
	v_mul_f64 v[24:25], v[34:35], v[10:11]
	v_fma_f64 v[24:25], v[32:33], v[8:9], -v[24:25]
	v_mul_f64 v[10:11], v[32:33], v[10:11]
	v_fmac_f64_e32 v[10:11], v[34:35], v[8:9]
	v_add_f64 v[8:9], v[20:21], v[24:25]
	s_waitcnt lgkmcnt(0)
	v_mul_f64 v[20:21], v[48:49], v[18:19]
	v_mul_f64 v[18:19], v[46:47], v[18:19]
	v_add_f64 v[10:11], v[22:23], v[10:11]
	v_fma_f64 v[20:21], v[46:47], v[16:17], -v[20:21]
	v_fmac_f64_e32 v[18:19], v[48:49], v[16:17]
	v_add_f64 v[8:9], v[8:9], v[20:21]
	v_add_f64 v[10:11], v[10:11], v[18:19]
	s_barrier
	ds_write_b128 v44, v[8:11]
	s_waitcnt lgkmcnt(0)
	s_barrier
	s_and_saveexec_b64 s[8:9], s[6:7]
	s_cbranch_execz .LBB192_68
; %bb.67:
	ds_read_b128 v[0:3], v43
	ds_read_b128 v[8:11], v43 offset:16
	ds_read_b128 v[16:19], v43 offset:32
	;; [unrolled: 1-line block ×3, first 2 shown]
	s_waitcnt lgkmcnt(2)
	v_add_f64 v[0:1], v[8:9], v[0:1]
	v_add_f64 v[8:9], v[10:11], v[2:3]
	s_waitcnt lgkmcnt(1)
	v_add_f64 v[10:11], v[0:1], v[16:17]
	ds_read_b128 v[0:3], v43 offset:64
	v_add_f64 v[8:9], v[8:9], v[18:19]
	s_waitcnt lgkmcnt(1)
	v_add_f64 v[16:17], v[10:11], v[20:21]
	v_add_f64 v[20:21], v[8:9], v[22:23]
	ds_read_b128 v[8:11], v43 offset:80
	s_waitcnt lgkmcnt(1)
	v_add_f64 v[22:23], v[16:17], v[0:1]
	ds_read_b128 v[16:19], v43 offset:96
	v_add_f64 v[20:21], v[20:21], v[2:3]
	ds_read_b128 v[0:3], v43 offset:112
	s_waitcnt lgkmcnt(2)
	v_add_f64 v[8:9], v[22:23], v[8:9]
	v_add_f64 v[10:11], v[20:21], v[10:11]
	s_waitcnt lgkmcnt(1)
	v_add_f64 v[8:9], v[8:9], v[16:17]
	v_add_f64 v[10:11], v[10:11], v[18:19]
	;; [unrolled: 3-line block ×3, first 2 shown]
.LBB192_68:
	s_or_b64 exec, exec, s[8:9]
	s_lshl_b64 s[8:9], s[18:19], 4
	v_mov_b32_e32 v8, s9
	v_subrev_co_u32_e64 v40, s[8:9], s8, v6
	s_and_b64 vcc, exec, s[14:15]
	s_nop 0
	v_subb_co_u32_e64 v41, s[8:9], v7, v8, s[8:9]
	s_barrier
	s_cbranch_vccnz .LBB192_73
; %bb.69:
	flat_load_dwordx4 v[6:9], v[40:41]
	s_lshl_b64 s[8:9], s[24:25], 7
	v_lshl_add_u64 v[10:11], v[40:41], 0, s[8:9]
	s_movk_i32 s10, 0x210
	s_waitcnt vmcnt(0) lgkmcnt(0)
	ds_write2_b64 v14, v[6:7], v[8:9] offset1:1
	flat_load_dwordx4 v[16:19], v[10:11]
	v_add_u32_e32 v8, 8, v12
	v_mad_u32_u24 v6, v8, s10, v5
	v_lshl_add_u64 v[10:11], v[10:11], 0, s[8:9]
	v_add_u32_e32 v9, 16, v12
	s_waitcnt vmcnt(0) lgkmcnt(0)
	ds_write2_b64 v6, v[16:17], v[18:19] offset1:1
	flat_load_dwordx4 v[16:19], v[10:11]
	v_mov_b32_e32 v6, 0x1080
	v_mad_u32_u24 v6, v8, s10, v6
	v_add_u32_e32 v7, v5, v6
	v_lshl_add_u64 v[10:11], v[10:11], 0, s[8:9]
	s_waitcnt vmcnt(0) lgkmcnt(0)
	ds_write2_b64 v7, v[16:17], v[18:19] offset1:1
	flat_load_dwordx4 v[16:19], v[10:11]
	v_mov_b32_e32 v11, 0x2100
	v_mad_u32_u24 v11, v8, s10, v11
	v_add_u32_e32 v10, 24, v12
	v_mul_u32_u24_e32 v7, 0x210, v8
	v_add_u32_e32 v20, v5, v11
	s_waitcnt vmcnt(0) lgkmcnt(0)
	ds_write2_b64 v20, v[16:17], v[18:19] offset1:1
	s_cbranch_execz .LBB192_74
	s_branch .LBB192_91
.LBB192_70:
	ds_read_b128 v[20:23], v16
	v_lshl_add_u32 v9, v13, 4, v43
	s_waitcnt lgkmcnt(0)
	ds_write_b128 v9, v[20:23]
	s_or_b64 exec, exec, s[38:39]
	s_and_saveexec_b64 s[6:7], s[8:9]
	s_cbranch_execz .LBB192_63
.LBB192_71:
	ds_read_b128 v[20:23], v17
	v_lshl_add_u32 v9, v13, 4, v43
	s_waitcnt lgkmcnt(0)
	ds_write_b128 v9, v[20:23] offset:16
	s_or_b64 exec, exec, s[6:7]
	s_and_saveexec_b64 s[6:7], s[10:11]
	s_cbranch_execz .LBB192_64
.LBB192_72:
	ds_read_b128 v[20:23], v8
	v_lshl_add_u32 v9, v13, 4, v43
	s_waitcnt lgkmcnt(0)
	ds_write_b128 v9, v[20:23] offset:32
	s_or_b64 exec, exec, s[6:7]
	s_and_saveexec_b64 s[6:7], s[12:13]
	s_cbranch_execnz .LBB192_65
	s_branch .LBB192_66
.LBB192_73:
                                        ; implicit-def: $vgpr8
                                        ; implicit-def: $vgpr7
                                        ; implicit-def: $vgpr9
                                        ; implicit-def: $vgpr6
                                        ; implicit-def: $vgpr10
                                        ; implicit-def: $vgpr11
.LBB192_74:
	v_or_b32_e32 v8, 32, v4
	v_lshlrev_b32_e32 v6, 4, v8
	v_sub_co_u32_e32 v6, vcc, v40, v6
	s_ashr_i32 s29, s28, 31
	s_nop 0
	v_subbrev_co_u32_e32 v7, vcc, 0, v41, vcc
	v_lshl_add_u64 v[6:7], s[28:29], 4, v[6:7]
	v_lshl_add_u64 v[6:7], v[6:7], 0, -16
	v_cmp_gt_i32_e32 vcc, s28, v8
	v_cmp_le_i32_e64 s[8:9], s28, v12
	s_nop 0
	v_cndmask_b32_e32 v7, v7, v41, vcc
	v_cndmask_b32_e32 v6, v6, v40, vcc
	s_and_saveexec_b64 s[10:11], s[8:9]
	s_xor_b64 s[8:9], exec, s[10:11]
; %bb.75:
	v_mov_b32_e32 v8, 0
	v_mov_b32_e32 v9, v8
	v_mov_b32_e32 v10, v8
	v_mov_b32_e32 v11, v8
	ds_write_b128 v14, v[8:11]
; %bb.76:
	s_andn2_saveexec_b64 s[8:9], s[8:9]
	s_cbranch_execz .LBB192_78
; %bb.77:
	flat_load_dwordx4 v[8:11], v[6:7]
	s_waitcnt vmcnt(0) lgkmcnt(0)
	ds_write2_b64 v14, v[8:9], v[10:11] offset1:1
.LBB192_78:
	s_or_b64 exec, exec, s[8:9]
	v_add_u32_e32 v8, 8, v12
	v_cmp_le_i32_e64 s[8:9], s28, v8
	s_and_saveexec_b64 s[10:11], s[8:9]
	s_xor_b64 s[8:9], exec, s[10:11]
	s_cbranch_execz .LBB192_80
; %bb.79:
	s_movk_i32 s10, 0x210
	v_mov_b32_e32 v16, 0
	v_mad_u32_u24 v9, v8, s10, v5
	v_mov_b32_e32 v17, v16
	v_mov_b32_e32 v18, v16
	;; [unrolled: 1-line block ×3, first 2 shown]
	ds_write_b128 v9, v[16:19]
.LBB192_80:
	s_andn2_saveexec_b64 s[8:9], s[8:9]
	s_cbranch_execz .LBB192_82
; %bb.81:
	s_lshl_b64 s[10:11], s[24:25], 7
	v_lshl_add_u64 v[10:11], v[6:7], 0, s[10:11]
	flat_load_dwordx4 v[16:19], v[10:11]
	s_movk_i32 s10, 0x210
	v_mad_u32_u24 v9, v8, s10, v5
	s_waitcnt vmcnt(0) lgkmcnt(0)
	ds_write2_b64 v9, v[16:17], v[18:19] offset1:1
.LBB192_82:
	s_or_b64 exec, exec, s[8:9]
	v_add_u32_e32 v9, 16, v12
	v_cmp_le_i32_e64 s[8:9], s28, v9
	s_and_saveexec_b64 s[10:11], s[8:9]
	s_xor_b64 s[8:9], exec, s[10:11]
	s_cbranch_execz .LBB192_84
; %bb.83:
	s_movk_i32 s10, 0x210
	v_mov_b32_e32 v16, 0
	v_mad_u32_u24 v10, v9, s10, v5
	v_mov_b32_e32 v17, v16
	v_mov_b32_e32 v18, v16
	;; [unrolled: 1-line block ×3, first 2 shown]
	ds_write_b128 v10, v[16:19]
.LBB192_84:
	s_andn2_saveexec_b64 s[8:9], s[8:9]
	s_cbranch_execz .LBB192_86
; %bb.85:
	s_lshl_b64 s[10:11], s[24:25], 8
	v_lshl_add_u64 v[10:11], v[6:7], 0, s[10:11]
	flat_load_dwordx4 v[16:19], v[10:11]
	s_movk_i32 s10, 0x210
	v_mad_u32_u24 v10, v9, s10, v5
	s_waitcnt vmcnt(0) lgkmcnt(0)
	ds_write2_b64 v10, v[16:17], v[18:19] offset1:1
.LBB192_86:
	s_or_b64 exec, exec, s[8:9]
	v_add_u32_e32 v10, 24, v12
	v_cmp_le_i32_e64 s[8:9], s28, v10
                                        ; implicit-def: $vgpr11
	s_and_saveexec_b64 s[10:11], s[8:9]
	s_xor_b64 s[8:9], exec, s[10:11]
	s_cbranch_execz .LBB192_88
; %bb.87:
	s_movk_i32 s10, 0x210
	v_mov_b32_e32 v18, 0
	v_mul_u32_u24_e32 v11, 0x210, v10
	v_mad_u32_u24 v16, v10, s10, v5
	v_mov_b32_e32 v19, v18
	v_mov_b32_e32 v20, v18
	;; [unrolled: 1-line block ×3, first 2 shown]
	ds_write_b128 v16, v[18:21]
.LBB192_88:
	s_andn2_saveexec_b64 s[8:9], s[8:9]
	s_cbranch_execz .LBB192_90
; %bb.89:
	v_mov_b32_e32 v11, 0x180
	v_mad_u64_u32 v[16:17], s[10:11], s24, v11, v[6:7]
	s_mul_i32 s10, s25, 0x180
	s_nop 0
	v_add_u32_e32 v17, s10, v17
	flat_load_dwordx4 v[16:19], v[16:17]
	s_movk_i32 s10, 0x210
	v_mul_u32_u24_e32 v11, 0x210, v10
	v_mad_u32_u24 v20, v10, s10, v5
	s_waitcnt vmcnt(0) lgkmcnt(0)
	ds_write2_b64 v20, v[16:17], v[18:19] offset1:1
.LBB192_90:
	s_or_b64 exec, exec, s[8:9]
	v_lshlrev_b32_e32 v16, 4, v4
	v_mov_b32_e32 v17, 0
	v_lshl_add_u64 v[6:7], v[6:7], 0, v[16:17]
	s_lshl_b64 s[8:9], s[28:29], 4
	v_mov_b32_e32 v4, s9
	v_subrev_co_u32_e64 v6, s[8:9], s8, v6
	s_nop 1
	v_subb_co_u32_e64 v7, s[8:9], v7, v4, s[8:9]
	s_mov_b64 s[8:9], 0x210
	s_nop 0
	v_lshl_add_u64 v[6:7], v[6:7], 0, s[8:9]
	s_movk_i32 s8, 0x210
	v_mov_b32_e32 v4, 0x1080
	v_cndmask_b32_e32 v41, v7, v41, vcc
	v_cndmask_b32_e32 v40, v6, v40, vcc
	v_mul_u32_u24_e32 v7, 0x210, v8
	v_mad_u32_u24 v6, v8, s8, v4
.LBB192_91:
	v_lshlrev_b32_e32 v4, 4, v12
	s_waitcnt lgkmcnt(0)
	s_barrier
	ds_read_b128 v[20:23], v4 offset:18176
	ds_read_b128 v[24:27], v14
	v_add_u32_e32 v4, v5, v7
	v_lshlrev_b32_e32 v7, 4, v8
	ds_read_b128 v[46:49], v7 offset:18176
	ds_read_b128 v[50:53], v4
	v_add_u32_e32 v4, v5, v6
	v_lshlrev_b32_e32 v6, 4, v9
	;; [unrolled: 4-line block ×3, first 2 shown]
	ds_read_b128 v[62:65], v5 offset:18176
	ds_read2_b64 v[66:69], v4 offset1:1
	s_waitcnt lgkmcnt(6)
	v_mul_f64 v[16:17], v[22:23], v[26:27]
	v_fma_f64 v[16:17], v[20:21], v[24:25], -v[16:17]
	s_waitcnt lgkmcnt(4)
	v_mul_f64 v[18:19], v[48:49], v[52:53]
	v_add_f64 v[16:17], v[16:17], 0
	v_fma_f64 v[18:19], v[46:47], v[50:51], -v[18:19]
	s_waitcnt lgkmcnt(2)
	v_mul_f64 v[6:7], v[56:57], v[60:61]
	v_add_f64 v[4:5], v[16:17], v[18:19]
	v_fma_f64 v[6:7], v[54:55], v[58:59], -v[6:7]
	v_add_f64 v[4:5], v[4:5], v[6:7]
	s_waitcnt lgkmcnt(0)
	v_mul_f64 v[6:7], v[64:65], v[68:69]
	v_fma_f64 v[6:7], v[62:63], v[66:67], -v[6:7]
	v_add_f64 v[70:71], v[4:5], v[6:7]
	v_lshl_add_u32 v4, v13, 4, v43
	v_mul_f64 v[72:73], v[20:21], v[26:27]
	ds_read_b128 v[28:31], v4
	ds_read_b128 v[16:19], v4 offset:16
	ds_read_b128 v[8:11], v4 offset:32
	;; [unrolled: 1-line block ×3, first 2 shown]
	v_fmac_f64_e32 v[72:73], v[22:23], v[24:25]
	v_mul_f64 v[46:47], v[46:47], v[52:53]
	v_fmac_f64_e32 v[46:47], v[48:49], v[50:51]
	v_add_f64 v[48:49], v[72:73], 0
	ds_read_b128 v[32:35], v15 offset:512
	ds_read_b128 v[24:27], v15 offset:528
	;; [unrolled: 1-line block ×4, first 2 shown]
	v_add_f64 v[46:47], v[48:49], v[46:47]
	v_mul_f64 v[48:49], v[54:55], v[60:61]
	v_fmac_f64_e32 v[48:49], v[56:57], v[58:59]
	v_add_f64 v[46:47], v[46:47], v[48:49]
	v_mul_f64 v[48:49], v[62:63], v[68:69]
	v_fmac_f64_e32 v[48:49], v[64:65], v[66:67]
	v_add_f64 v[72:73], v[46:47], v[48:49]
	s_waitcnt lgkmcnt(0)
	s_barrier
	ds_write_b128 v44, v[70:73]
	s_waitcnt lgkmcnt(0)
	s_barrier
	s_and_saveexec_b64 s[8:9], s[6:7]
	s_cbranch_execz .LBB192_93
; %bb.92:
	ds_read_b128 v[46:49], v43
	ds_read_b128 v[50:53], v43 offset:16
	ds_read_b128 v[54:57], v43 offset:32
	ds_read_b128 v[58:61], v43 offset:48
	s_waitcnt lgkmcnt(3)
	v_add_f64 v[0:1], v[0:1], v[46:47]
	v_add_f64 v[2:3], v[2:3], v[48:49]
	s_waitcnt lgkmcnt(2)
	v_add_f64 v[0:1], v[0:1], v[50:51]
	v_add_f64 v[46:47], v[2:3], v[52:53]
	s_waitcnt lgkmcnt(1)
	v_add_f64 v[48:49], v[0:1], v[54:55]
	ds_read_b128 v[0:3], v43 offset:64
	v_add_f64 v[46:47], v[46:47], v[56:57]
	s_waitcnt lgkmcnt(1)
	v_add_f64 v[50:51], v[48:49], v[58:59]
	v_add_f64 v[54:55], v[46:47], v[60:61]
	ds_read_b128 v[46:49], v43 offset:80
	s_waitcnt lgkmcnt(1)
	v_add_f64 v[56:57], v[50:51], v[0:1]
	ds_read_b128 v[50:53], v43 offset:96
	v_add_f64 v[54:55], v[54:55], v[2:3]
	ds_read_b128 v[0:3], v43 offset:112
	s_waitcnt lgkmcnt(2)
	v_add_f64 v[46:47], v[56:57], v[46:47]
	v_add_f64 v[48:49], v[54:55], v[48:49]
	s_waitcnt lgkmcnt(1)
	v_add_f64 v[46:47], v[46:47], v[50:51]
	v_add_f64 v[48:49], v[48:49], v[52:53]
	;; [unrolled: 3-line block ×3, first 2 shown]
.LBB192_93:
	s_or_b64 exec, exec, s[8:9]
	v_mul_f64 v[46:47], v[30:31], v[34:35]
	v_fma_f64 v[46:47], v[28:29], v[32:33], -v[46:47]
	v_mul_f64 v[28:29], v[28:29], v[34:35]
	v_fmac_f64_e32 v[28:29], v[30:31], v[32:33]
	v_mul_f64 v[32:33], v[18:19], v[26:27]
	v_fma_f64 v[32:33], v[16:17], v[24:25], -v[32:33]
	v_mul_f64 v[16:17], v[16:17], v[26:27]
	v_fmac_f64_e32 v[16:17], v[18:19], v[24:25]
	v_mul_f64 v[24:25], v[10:11], v[22:23]
	v_add_f64 v[28:29], v[28:29], 0
	v_fma_f64 v[24:25], v[8:9], v[20:21], -v[24:25]
	v_mul_f64 v[8:9], v[8:9], v[22:23]
	v_add_f64 v[30:31], v[46:47], 0
	v_add_f64 v[16:17], v[28:29], v[16:17]
	v_fmac_f64_e32 v[8:9], v[10:11], v[20:21]
	v_add_f64 v[18:19], v[30:31], v[32:33]
	v_add_f64 v[8:9], v[16:17], v[8:9]
	v_mul_f64 v[16:17], v[6:7], v[14:15]
	v_mul_f64 v[14:15], v[4:5], v[14:15]
	v_add_f64 v[10:11], v[18:19], v[24:25]
	v_fma_f64 v[16:17], v[4:5], v[12:13], -v[16:17]
	v_fmac_f64_e32 v[14:15], v[6:7], v[12:13]
	v_add_f64 v[4:5], v[10:11], v[16:17]
	v_add_f64 v[6:7], v[8:9], v[14:15]
	s_barrier
	ds_write_b128 v44, v[4:7]
	s_waitcnt lgkmcnt(0)
	s_barrier
	s_and_saveexec_b64 s[6:7], s[4:5]
	s_cbranch_execz .LBB192_95
; %bb.94:
	ds_read_b128 v[4:7], v43
	ds_read_b128 v[8:11], v43 offset:16
	ds_read_b128 v[12:15], v43 offset:32
	;; [unrolled: 1-line block ×3, first 2 shown]
	s_waitcnt lgkmcnt(3)
	v_add_f64 v[0:1], v[0:1], v[4:5]
	v_add_f64 v[2:3], v[2:3], v[6:7]
	s_waitcnt lgkmcnt(2)
	v_add_f64 v[0:1], v[0:1], v[8:9]
	v_add_f64 v[4:5], v[2:3], v[10:11]
	s_waitcnt lgkmcnt(1)
	v_add_f64 v[6:7], v[0:1], v[12:13]
	ds_read_b128 v[0:3], v43 offset:64
	v_add_f64 v[4:5], v[4:5], v[14:15]
	s_waitcnt lgkmcnt(1)
	v_add_f64 v[8:9], v[6:7], v[16:17]
	v_add_f64 v[12:13], v[4:5], v[18:19]
	ds_read_b128 v[4:7], v43 offset:80
	s_waitcnt lgkmcnt(1)
	v_add_f64 v[14:15], v[8:9], v[0:1]
	ds_read_b128 v[8:11], v43 offset:96
	v_add_f64 v[12:13], v[12:13], v[2:3]
	ds_read_b128 v[0:3], v43 offset:112
	s_waitcnt lgkmcnt(2)
	v_add_f64 v[4:5], v[14:15], v[4:5]
	v_add_f64 v[6:7], v[12:13], v[6:7]
	s_waitcnt lgkmcnt(1)
	v_add_f64 v[4:5], v[4:5], v[8:9]
	v_add_f64 v[6:7], v[6:7], v[10:11]
	;; [unrolled: 3-line block ×3, first 2 shown]
.LBB192_95:
	s_or_b64 exec, exec, s[6:7]
	s_mul_hi_u32 s4, s23, s22
	s_mul_i32 s33, s33, s22
	s_add_i32 s4, s4, s33
	s_mul_i32 s6, s23, s22
	s_mul_i32 s4, s4, s3
	s_mul_hi_u32 s5, s6, s3
	s_add_i32 s5, s5, s4
	s_mul_i32 s4, s6, s3
	s_lshl_b64 s[4:5], s[4:5], 4
	s_add_u32 s3, s26, s4
	s_mul_i32 s4, s23, s2
	s_addc_u32 s7, s27, s5
	s_ashr_i32 s5, s4, 31
	s_lshl_b64 s[4:5], s[4:5], 4
	s_add_u32 s6, s3, s4
	v_cmp_le_i32_e32 vcc, s28, v159
	s_addc_u32 s7, s7, s5
	s_and_b64 vcc, s[36:37], vcc
	s_cmp_lt_i32 s2, 1
	v_lshlrev_b32_e32 v150, 4, v159
	s_barrier
	s_cbranch_scc1 .LBB192_102
; %bb.96:
	s_mul_i32 s3, s20, s31
	s_mul_hi_u32 s4, s20, s30
	s_add_i32 s3, s4, s3
	s_mul_i32 s4, s21, s30
	s_add_i32 s5, s3, s4
	s_mul_i32 s4, s20, s30
	s_lshl_b64 s[4:5], s[4:5], 4
	v_mov_b32_e32 v4, s5
	v_subrev_co_u32_e64 v152, s[4:5], s4, v36
	v_lshlrev_b64 v[6:7], 4, v[38:39]
	s_nop 0
	v_subb_co_u32_e64 v153, s[4:5], v37, v4, s[4:5]
	s_lshl_b64 s[4:5], s[34:35], 4
	s_nop 0
	v_mov_b32_e32 v5, s5
	v_subrev_co_u32_e64 v4, s[4:5], s4, v40
	v_lshlrev_b32_e32 v9, 2, v158
	s_nop 0
	v_subb_co_u32_e64 v5, s[4:5], v41, v5, s[4:5]
	s_movk_i32 s4, 0xfe00
	s_mov_b32 s5, -1
	v_lshl_add_u64 v[4:5], v[4:5], 0, s[4:5]
	v_sub_co_u32_e64 v4, s[4:5], v4, v6
	s_ashr_i32 s29, s28, 31
	s_nop 0
	v_subb_co_u32_e64 v5, s[4:5], v5, v7, s[4:5]
	v_mad_u64_u32 v[6:7], s[4:5], s24, v9, 0
	v_mov_b32_e32 v8, v7
	v_mad_u64_u32 v[8:9], s[4:5], s25, v9, v[8:9]
	v_mov_b32_e32 v7, v8
	v_lshl_add_u64 v[4:5], v[6:7], 4, v[4:5]
	v_mov_b32_e32 v155, 0
	v_lshl_add_u64 v[6:7], s[28:29], 4, v[4:5]
	v_mov_b32_e32 v151, v155
	v_lshl_add_u64 v[6:7], v[6:7], 0, -16
	v_lshl_add_u64 v[4:5], v[4:5], 0, v[150:151]
	v_cndmask_b32_e32 v9, v5, v7, vcc
	s_movk_i32 s3, 0x10c0
	v_and_b32_e32 v5, 48, v159
	v_lshrrev_b32_e32 v10, 4, v42
	v_and_b32_e32 v11, 15, v159
	v_cndmask_b32_e32 v8, v4, v6, vcc
	v_mov_b32_e32 v4, 0x4300
	v_mad_u32_u24 v162, v158, s3, v150
	s_movk_i32 s3, 0x430
	v_lshlrev_b32_e32 v5, 4, v5
	v_lshl_add_u32 v160, v158, 6, v4
	v_lshlrev_b32_e32 v4, 6, v10
	v_mad_u32_u24 v164, v11, s3, v5
	v_or_b32_e32 v5, 0xf0, v150
	v_mad_u32_u24 v163, v11, s3, v4
	v_mul_i32_i24_e32 v4, 0xffffffd0, v10
	v_mad_u32_u24 v165, v11, s3, v5
	s_mul_i32 s3, s25, 0xd0
	s_mul_hi_u32 s10, s24, 0xd0
	v_add_u32_e32 v151, 0x4300, v150
	v_add_u32_e32 v161, 0x4700, v150
	v_cmp_gt_u32_e64 s[4:5], 64, v42
	s_lshl_b64 s[8:9], s[24:25], 4
	s_add_i32 s11, s10, s3
	s_mul_i32 s10, s24, 0xd0
	s_mov_b32 s3, 0
	v_add_u32_e32 v166, v163, v4
	s_branch .LBB192_98
.LBB192_97:                             ;   in Loop: Header=BB192_98 Depth=1
	s_or_b64 exec, exec, s[12:13]
	v_mul_f64 v[132:133], v[6:7], v[34:35]
	v_fma_f64 v[132:133], v[4:5], v[32:33], -v[132:133]
	v_mul_f64 v[4:5], v[4:5], v[34:35]
	v_mul_f64 v[34:35], v[10:11], v[30:31]
	v_add_f64 v[0:1], v[0:1], v[132:133]
	v_fma_f64 v[34:35], v[8:9], v[28:29], -v[34:35]
	v_mul_f64 v[8:9], v[8:9], v[30:31]
	v_mul_f64 v[30:31], v[14:15], v[26:27]
	v_add_f64 v[0:1], v[0:1], v[34:35]
	v_fma_f64 v[30:31], v[12:13], v[24:25], -v[30:31]
	v_mul_f64 v[12:13], v[12:13], v[26:27]
	v_mul_f64 v[26:27], v[18:19], v[22:23]
	v_fmac_f64_e32 v[4:5], v[6:7], v[32:33]
	v_add_f64 v[0:1], v[0:1], v[30:31]
	v_fma_f64 v[26:27], v[16:17], v[20:21], -v[26:27]
	v_add_f64 v[2:3], v[2:3], v[4:5]
	v_mul_f64 v[4:5], v[38:39], v[70:71]
	v_add_f64 v[0:1], v[0:1], v[26:27]
	v_fma_f64 v[4:5], v[36:37], v[68:69], -v[4:5]
	v_add_f64 v[0:1], v[0:1], v[4:5]
	v_mul_f64 v[4:5], v[42:43], v[66:67]
	v_fma_f64 v[4:5], v[40:41], v[64:65], -v[4:5]
	v_add_f64 v[0:1], v[0:1], v[4:5]
	v_mul_f64 v[4:5], v[46:47], v[58:59]
	;; [unrolled: 3-line block ×4, first 2 shown]
	v_fmac_f64_e32 v[8:9], v[10:11], v[28:29]
	v_fma_f64 v[4:5], v[60:61], v[108:109], -v[4:5]
	v_mul_f64 v[16:17], v[16:17], v[22:23]
	v_add_f64 v[2:3], v[2:3], v[8:9]
	v_fmac_f64_e32 v[12:13], v[14:15], v[24:25]
	v_add_f64 v[0:1], v[0:1], v[4:5]
	v_mul_f64 v[4:5], v[74:75], v[106:107]
	v_add_f64 v[2:3], v[2:3], v[12:13]
	v_fmac_f64_e32 v[16:17], v[18:19], v[20:21]
	v_mul_f64 v[6:7], v[36:37], v[70:71]
	v_fma_f64 v[4:5], v[72:73], v[104:105], -v[4:5]
	v_add_f64 v[2:3], v[2:3], v[16:17]
	v_mul_f64 v[8:9], v[40:41], v[66:67]
	v_fmac_f64_e32 v[6:7], v[38:39], v[68:69]
	v_add_f64 v[0:1], v[0:1], v[4:5]
	v_mul_f64 v[4:5], v[78:79], v[98:99]
	v_mul_f64 v[10:11], v[44:45], v[58:59]
	v_add_f64 v[2:3], v[2:3], v[6:7]
	v_fmac_f64_e32 v[8:9], v[42:43], v[64:65]
	v_fma_f64 v[4:5], v[76:77], v[96:97], -v[4:5]
	v_mul_f64 v[12:13], v[48:49], v[54:55]
	v_add_f64 v[2:3], v[2:3], v[8:9]
	v_fmac_f64_e32 v[10:11], v[46:47], v[56:57]
	v_add_f64 v[0:1], v[0:1], v[4:5]
	v_mul_f64 v[4:5], v[82:83], v[86:87]
	v_add_f64 v[2:3], v[2:3], v[10:11]
	v_fmac_f64_e32 v[12:13], v[50:51], v[52:53]
	v_mul_f64 v[6:7], v[60:61], v[110:111]
	v_fma_f64 v[4:5], v[80:81], v[84:85], -v[4:5]
	v_add_f64 v[2:3], v[2:3], v[12:13]
	v_mul_f64 v[8:9], v[72:73], v[106:107]
	v_add_f64 v[0:1], v[0:1], v[4:5]
	v_fmac_f64_e32 v[6:7], v[62:63], v[108:109]
	v_mul_f64 v[4:5], v[90:91], v[118:119]
	v_mul_f64 v[10:11], v[76:77], v[98:99]
	v_add_f64 v[2:3], v[2:3], v[6:7]
	v_fmac_f64_e32 v[8:9], v[74:75], v[104:105]
	v_fma_f64 v[4:5], v[88:89], v[116:117], -v[4:5]
	v_mul_f64 v[12:13], v[80:81], v[86:87]
	v_add_f64 v[2:3], v[2:3], v[8:9]
	v_fmac_f64_e32 v[10:11], v[78:79], v[96:97]
	v_add_f64 v[0:1], v[0:1], v[4:5]
	v_mul_f64 v[4:5], v[94:95], v[122:123]
	v_add_f64 v[2:3], v[2:3], v[10:11]
	v_fmac_f64_e32 v[12:13], v[82:83], v[84:85]
	v_mul_f64 v[6:7], v[88:89], v[118:119]
	v_fma_f64 v[4:5], v[92:93], v[120:121], -v[4:5]
	v_add_f64 v[2:3], v[2:3], v[12:13]
	v_mul_f64 v[8:9], v[92:93], v[122:123]
	v_add_f64 v[0:1], v[0:1], v[4:5]
	v_mul_f64 v[4:5], v[102:103], v[126:127]
	v_fmac_f64_e32 v[6:7], v[90:91], v[116:117]
	v_fma_f64 v[4:5], v[100:101], v[124:125], -v[4:5]
	v_mul_f64 v[10:11], v[100:101], v[126:127]
	v_fmac_f64_e32 v[8:9], v[94:95], v[120:121]
	v_add_f64 v[2:3], v[2:3], v[6:7]
	v_add_f64 v[0:1], v[0:1], v[4:5]
	v_mul_f64 v[4:5], v[114:115], v[130:131]
	v_mul_f64 v[12:13], v[112:113], v[130:131]
	v_fmac_f64_e32 v[10:11], v[102:103], v[124:125]
	v_add_f64 v[2:3], v[2:3], v[8:9]
	v_fma_f64 v[4:5], v[112:113], v[128:129], -v[4:5]
	v_fmac_f64_e32 v[12:13], v[114:115], v[128:129]
	v_add_f64 v[2:3], v[2:3], v[10:11]
	s_add_i32 s3, s3, 64
	s_add_i32 s2, s2, -1
	v_add_f64 v[0:1], v[0:1], v[4:5]
	v_add_f64 v[2:3], v[2:3], v[12:13]
	s_cmp_eq_u32 s2, 0
	v_lshl_add_u64 v[8:9], v[156:157], 0, s[10:11]
	s_barrier
	s_cbranch_scc1 .LBB192_102
.LBB192_98:                             ; =>This Inner Loop Header: Depth=1
	s_and_saveexec_b64 s[12:13], s[16:17]
	s_cbranch_execz .LBB192_100
; %bb.99:                               ;   in Loop: Header=BB192_98 Depth=1
	s_mul_i32 s14, s21, s3
	s_mul_hi_u32 s15, s20, s3
	s_add_i32 s15, s15, s14
	s_mul_i32 s14, s20, s3
	v_lshl_add_u64 v[4:5], s[14:15], 4, v[152:153]
	flat_load_dwordx4 v[4:7], v[4:5]
	s_waitcnt vmcnt(0) lgkmcnt(0)
	ds_write2_b64 v151, v[4:5], v[6:7] offset1:1
.LBB192_100:                            ;   in Loop: Header=BB192_98 Depth=1
	s_or_b64 exec, exec, s[12:13]
	s_waitcnt lgkmcnt(0)
	s_barrier
	flat_load_dwordx4 v[4:7], v[8:9]
	v_lshl_add_u64 v[12:13], v[8:9], 0, s[8:9]
	flat_load_dwordx4 v[8:11], v[12:13]
	v_lshl_add_u64 v[16:17], v[12:13], 0, s[8:9]
	;; [unrolled: 2-line block ×3, first 2 shown]
	flat_load_dwordx4 v[16:19], v[40:41]
	ds_read_b128 v[36:39], v161
	ds_read_b128 v[32:35], v160
	ds_read_b128 v[28:31], v160 offset:16
	ds_read_b128 v[24:27], v160 offset:32
	;; [unrolled: 1-line block ×3, first 2 shown]
	v_lshl_add_u64 v[48:49], v[40:41], 0, s[10:11]
	s_waitcnt vmcnt(0) lgkmcnt(0)
	v_mul_f64 v[40:41], v[6:7], v[38:39]
	v_mul_f64 v[42:43], v[4:5], v[38:39]
	v_fma_f64 v[40:41], v[4:5], v[36:37], -v[40:41]
	v_fmac_f64_e32 v[42:43], v[6:7], v[36:37]
	v_mul_f64 v[46:47], v[10:11], v[38:39]
	v_mul_f64 v[44:45], v[8:9], v[38:39]
	ds_write_b128 v162, v[40:43]
	v_fma_f64 v[42:43], v[8:9], v[36:37], -v[46:47]
	v_fmac_f64_e32 v[44:45], v[10:11], v[36:37]
	v_mul_f64 v[40:41], v[14:15], v[38:39]
	v_mul_f64 v[46:47], v[12:13], v[38:39]
	ds_write_b128 v162, v[42:45] offset:1072
	v_fma_f64 v[44:45], v[12:13], v[36:37], -v[40:41]
	v_fmac_f64_e32 v[46:47], v[14:15], v[36:37]
	v_mul_f64 v[42:43], v[18:19], v[38:39]
	v_mul_f64 v[40:41], v[16:17], v[38:39]
	ds_write_b128 v162, v[44:47] offset:2144
	v_fma_f64 v[38:39], v[16:17], v[36:37], -v[42:43]
	v_fmac_f64_e32 v[40:41], v[18:19], v[36:37]
	v_lshl_add_u64 v[44:45], v[48:49], 0, s[8:9]
	ds_write_b128 v162, v[38:41] offset:3216
	s_waitcnt lgkmcnt(0)
	s_barrier
	ds_read_b128 v[128:131], v163
	ds_read_b128 v[124:127], v163 offset:16
	ds_read_b128 v[120:123], v163 offset:32
	;; [unrolled: 1-line block ×3, first 2 shown]
	s_waitcnt lgkmcnt(0)
	s_barrier
	flat_load_dwordx4 v[36:39], v[48:49]
	flat_load_dwordx4 v[40:43], v[44:45]
	v_lshl_add_u64 v[48:49], v[44:45], 0, s[8:9]
	v_lshl_add_u64 v[52:53], v[48:49], 0, s[8:9]
	flat_load_dwordx4 v[44:47], v[48:49]
	v_lshl_add_u64 v[88:89], v[52:53], 0, s[10:11]
	flat_load_dwordx4 v[48:51], v[52:53]
	ds_read_b128 v[60:63], v161
	ds_read_b128 v[68:71], v160 offset:256
	ds_read_b128 v[64:67], v160 offset:272
	;; [unrolled: 1-line block ×4, first 2 shown]
	v_add_f64 v[128:129], v[128:129], 0
	v_add_f64 v[130:131], v[130:131], 0
	;; [unrolled: 1-line block ×8, first 2 shown]
	s_waitcnt vmcnt(0) lgkmcnt(0)
	v_mul_f64 v[72:73], v[38:39], v[62:63]
	v_mul_f64 v[74:75], v[36:37], v[62:63]
	;; [unrolled: 1-line block ×8, first 2 shown]
	v_fma_f64 v[72:73], v[36:37], v[60:61], -v[72:73]
	v_fma_f64 v[76:77], v[40:41], v[60:61], -v[76:77]
	v_fmac_f64_e32 v[74:75], v[38:39], v[60:61]
	v_fma_f64 v[80:81], v[44:45], v[60:61], -v[80:81]
	v_fma_f64 v[84:85], v[48:49], v[60:61], -v[84:85]
	v_fmac_f64_e32 v[78:79], v[42:43], v[60:61]
	v_fmac_f64_e32 v[82:83], v[46:47], v[60:61]
	;; [unrolled: 1-line block ×3, first 2 shown]
	ds_write_b128 v162, v[72:75]
	ds_write_b128 v162, v[76:79] offset:1072
	ds_write_b128 v162, v[80:83] offset:2144
	;; [unrolled: 1-line block ×3, first 2 shown]
	v_lshl_add_u64 v[76:77], v[88:89], 0, s[8:9]
	v_lshl_add_u64 v[80:81], v[76:77], 0, s[8:9]
	s_waitcnt lgkmcnt(0)
	s_barrier
	ds_read_b128 v[144:147], v163
	ds_read_b128 v[140:143], v163 offset:16
	ds_read_b128 v[136:139], v163 offset:32
	;; [unrolled: 1-line block ×3, first 2 shown]
	s_waitcnt lgkmcnt(0)
	s_barrier
	flat_load_dwordx4 v[60:63], v[88:89]
	flat_load_dwordx4 v[72:75], v[76:77]
	v_lshl_add_u64 v[84:85], v[80:81], 0, s[8:9]
	flat_load_dwordx4 v[76:79], v[80:81]
	v_lshl_add_u64 v[94:95], v[84:85], 0, s[10:11]
	flat_load_dwordx4 v[80:83], v[84:85]
	ds_read_b128 v[88:91], v161
	ds_read_b128 v[108:111], v160 offset:512
	ds_read_b128 v[104:107], v160 offset:528
	ds_read_b128 v[96:99], v160 offset:544
	ds_read_b128 v[84:87], v160 offset:560
	v_add_f64 v[116:117], v[144:145], 0
	v_add_f64 v[118:119], v[146:147], 0
	;; [unrolled: 1-line block ×8, first 2 shown]
	s_waitcnt vmcnt(0) lgkmcnt(0)
	v_mul_f64 v[100:101], v[62:63], v[90:91]
	v_mul_f64 v[92:93], v[60:61], v[90:91]
	;; [unrolled: 1-line block ×8, first 2 shown]
	v_fma_f64 v[90:91], v[60:61], v[88:89], -v[100:101]
	v_fma_f64 v[100:101], v[72:73], v[88:89], -v[112:113]
	v_fmac_f64_e32 v[92:93], v[62:63], v[88:89]
	v_fma_f64 v[112:113], v[76:77], v[88:89], -v[156:157]
	v_fma_f64 v[168:169], v[80:81], v[88:89], -v[168:169]
	v_fmac_f64_e32 v[102:103], v[74:75], v[88:89]
	v_fmac_f64_e32 v[114:115], v[78:79], v[88:89]
	;; [unrolled: 1-line block ×3, first 2 shown]
	ds_write_b128 v162, v[90:93]
	ds_write_b128 v162, v[100:103] offset:1072
	ds_write_b128 v162, v[112:115] offset:2144
	;; [unrolled: 1-line block ×3, first 2 shown]
	v_lshl_add_u64 v[100:101], v[94:95], 0, s[8:9]
	v_lshl_add_u64 v[112:113], v[100:101], 0, s[8:9]
	s_waitcnt lgkmcnt(0)
	s_barrier
	ds_read_b128 v[168:171], v163
	ds_read_b128 v[172:175], v163 offset:16
	ds_read_b128 v[176:179], v163 offset:32
	;; [unrolled: 1-line block ×3, first 2 shown]
	s_waitcnt lgkmcnt(0)
	s_barrier
	flat_load_dwordx4 v[88:91], v[94:95]
	v_lshl_add_u64 v[156:157], v[112:113], 0, s[8:9]
	flat_load_dwordx4 v[92:95], v[100:101]
	v_add_f64 v[140:141], v[168:169], 0
	flat_load_dwordx4 v[100:103], v[112:113]
	v_add_f64 v[142:143], v[170:171], 0
	flat_load_dwordx4 v[112:115], v[156:157]
	ds_read_b128 v[136:139], v161
	ds_read_b128 v[116:119], v160 offset:768
	ds_read_b128 v[120:123], v160 offset:784
	;; [unrolled: 1-line block ×4, first 2 shown]
	v_add_f64 v[140:141], v[140:141], v[172:173]
	v_add_f64 v[142:143], v[142:143], v[174:175]
	;; [unrolled: 1-line block ×6, first 2 shown]
	s_waitcnt vmcnt(0) lgkmcnt(0)
	v_mul_f64 v[144:145], v[90:91], v[138:139]
	v_mul_f64 v[146:147], v[88:89], v[138:139]
	v_mul_f64 v[168:169], v[94:95], v[138:139]
	v_mul_f64 v[170:171], v[92:93], v[138:139]
	v_mul_f64 v[172:173], v[102:103], v[138:139]
	v_mul_f64 v[174:175], v[100:101], v[138:139]
	v_mul_f64 v[176:177], v[114:115], v[138:139]
	v_mul_f64 v[178:179], v[112:113], v[138:139]
	v_fma_f64 v[144:145], v[88:89], v[136:137], -v[144:145]
	v_fma_f64 v[168:169], v[92:93], v[136:137], -v[168:169]
	;; [unrolled: 1-line block ×3, first 2 shown]
	v_fmac_f64_e32 v[146:147], v[90:91], v[136:137]
	v_fmac_f64_e32 v[170:171], v[94:95], v[136:137]
	;; [unrolled: 1-line block ×3, first 2 shown]
	v_fma_f64 v[176:177], v[112:113], v[136:137], -v[176:177]
	v_fmac_f64_e32 v[178:179], v[114:115], v[136:137]
	ds_write_b128 v162, v[144:147]
	ds_write_b128 v162, v[168:171] offset:1072
	ds_write_b128 v162, v[172:175] offset:2144
	;; [unrolled: 1-line block ×3, first 2 shown]
	s_waitcnt lgkmcnt(0)
	s_barrier
	ds_read_b128 v[136:139], v163
	ds_read_b128 v[144:147], v163 offset:16
	ds_read_b128 v[168:171], v163 offset:32
	;; [unrolled: 1-line block ×3, first 2 shown]
	s_waitcnt lgkmcnt(0)
	s_barrier
	ds_write_b128 v166, v[184:187]
	ds_write_b128 v166, v[132:135] offset:256
	ds_write_b128 v166, v[140:143] offset:512
	v_add_f64 v[132:133], v[136:137], 0
	v_add_f64 v[134:135], v[138:139], 0
	;; [unrolled: 1-line block ×8, first 2 shown]
	ds_write_b128 v166, v[132:135] offset:768
	s_waitcnt lgkmcnt(0)
	s_barrier
	s_and_saveexec_b64 s[12:13], s[4:5]
	s_cbranch_execz .LBB192_97
; %bb.101:                              ;   in Loop: Header=BB192_98 Depth=1
	ds_read_b128 v[132:135], v164
	ds_read_b128 v[136:139], v164 offset:16
	ds_read_b128 v[140:143], v164 offset:32
	;; [unrolled: 1-line block ×3, first 2 shown]
	v_add_u32_e32 v154, s3, v159
	s_waitcnt lgkmcnt(2)
	v_add_f64 v[132:133], v[136:137], v[132:133]
	v_add_f64 v[136:137], v[138:139], v[134:135]
	s_waitcnt lgkmcnt(1)
	v_add_f64 v[138:139], v[132:133], v[140:141]
	ds_read_b128 v[132:135], v164 offset:64
	v_add_f64 v[140:141], v[136:137], v[142:143]
	s_waitcnt lgkmcnt(1)
	v_add_f64 v[142:143], v[138:139], v[144:145]
	ds_read_b128 v[136:139], v164 offset:80
	;; [unrolled: 4-line block ×9, first 2 shown]
	v_add_f64 v[134:135], v[144:145], v[134:135]
	s_waitcnt lgkmcnt(1)
	v_add_f64 v[136:137], v[132:133], v[136:137]
	v_add_f64 v[144:145], v[134:135], v[138:139]
	ds_read_b128 v[132:135], v164 offset:208
	s_waitcnt lgkmcnt(1)
	v_add_f64 v[146:147], v[136:137], v[140:141]
	ds_read_b128 v[136:139], v164 offset:224
	v_add_f64 v[144:145], v[144:145], v[142:143]
	ds_read_b128 v[140:143], v165
	s_waitcnt lgkmcnt(2)
	v_add_f64 v[132:133], v[146:147], v[132:133]
	v_add_f64 v[134:135], v[144:145], v[134:135]
	s_waitcnt lgkmcnt(1)
	v_add_f64 v[132:133], v[132:133], v[136:137]
	v_add_f64 v[134:135], v[134:135], v[138:139]
	;; [unrolled: 3-line block ×3, first 2 shown]
	v_lshl_add_u64 v[136:137], v[154:155], 4, s[6:7]
	global_store_dwordx4 v[136:137], v[132:135], off
	s_branch .LBB192_97
.LBB192_102:
	s_movk_i32 s2, 0x430
	v_mad_u32_u24 v4, v158, s2, v150
	s_nor_b64 s[0:1], s[0:1], vcc
	ds_write_b128 v4, v[0:3]
	s_waitcnt lgkmcnt(0)
	s_barrier
	s_and_saveexec_b64 s[2:3], s[0:1]
	s_cbranch_execz .LBB192_104
; %bb.103:
	ds_read_b128 v[0:3], v150 offset:1072
	ds_read_b128 v[4:7], v150
	ds_read_b128 v[8:11], v150 offset:2144
	ds_read_b128 v[12:15], v150 offset:3216
	s_waitcnt lgkmcnt(2)
	v_add_f64 v[0:1], v[0:1], v[4:5]
	v_add_f64 v[2:3], v[2:3], v[6:7]
	s_waitcnt lgkmcnt(1)
	v_add_f64 v[0:1], v[0:1], v[8:9]
	v_add_f64 v[2:3], v[2:3], v[10:11]
	s_waitcnt lgkmcnt(0)
	v_add_f64 v[0:1], v[0:1], v[12:13]
	v_add_f64 v[2:3], v[2:3], v[14:15]
	v_lshl_add_u64 v[4:5], v[148:149], 4, s[6:7]
	global_store_dwordx4 v[4:5], v[0:3], off
.LBB192_104:
	s_endpgm
	.section	.rodata,"a",@progbits
	.p2align	6, 0x0
	.amdhsa_kernel _ZL26rocblas_hemvn_kernel_lowerILb0ELi64ELi4ELi33ELi32ELi16ElPK19rocblas_complex_numIdEPKS3_PS1_EviT6_lT7_lT5_lS8_lS9_lS7_lT8_i
		.amdhsa_group_segment_fixed_size 19200
		.amdhsa_private_segment_fixed_size 0
		.amdhsa_kernarg_size 376
		.amdhsa_user_sgpr_count 2
		.amdhsa_user_sgpr_dispatch_ptr 0
		.amdhsa_user_sgpr_queue_ptr 0
		.amdhsa_user_sgpr_kernarg_segment_ptr 1
		.amdhsa_user_sgpr_dispatch_id 0
		.amdhsa_user_sgpr_kernarg_preload_length 0
		.amdhsa_user_sgpr_kernarg_preload_offset 0
		.amdhsa_user_sgpr_private_segment_size 0
		.amdhsa_uses_dynamic_stack 0
		.amdhsa_enable_private_segment 0
		.amdhsa_system_sgpr_workgroup_id_x 1
		.amdhsa_system_sgpr_workgroup_id_y 0
		.amdhsa_system_sgpr_workgroup_id_z 1
		.amdhsa_system_sgpr_workgroup_info 0
		.amdhsa_system_vgpr_workitem_id 1
		.amdhsa_next_free_vgpr 188
		.amdhsa_next_free_sgpr 42
		.amdhsa_accum_offset 188
		.amdhsa_reserve_vcc 1
		.amdhsa_float_round_mode_32 0
		.amdhsa_float_round_mode_16_64 0
		.amdhsa_float_denorm_mode_32 3
		.amdhsa_float_denorm_mode_16_64 3
		.amdhsa_dx10_clamp 1
		.amdhsa_ieee_mode 1
		.amdhsa_fp16_overflow 0
		.amdhsa_tg_split 0
		.amdhsa_exception_fp_ieee_invalid_op 0
		.amdhsa_exception_fp_denorm_src 0
		.amdhsa_exception_fp_ieee_div_zero 0
		.amdhsa_exception_fp_ieee_overflow 0
		.amdhsa_exception_fp_ieee_underflow 0
		.amdhsa_exception_fp_ieee_inexact 0
		.amdhsa_exception_int_div_zero 0
	.end_amdhsa_kernel
	.section	.text._ZL26rocblas_hemvn_kernel_lowerILb0ELi64ELi4ELi33ELi32ELi16ElPK19rocblas_complex_numIdEPKS3_PS1_EviT6_lT7_lT5_lS8_lS9_lS7_lT8_i,"axG",@progbits,_ZL26rocblas_hemvn_kernel_lowerILb0ELi64ELi4ELi33ELi32ELi16ElPK19rocblas_complex_numIdEPKS3_PS1_EviT6_lT7_lT5_lS8_lS9_lS7_lT8_i,comdat
.Lfunc_end192:
	.size	_ZL26rocblas_hemvn_kernel_lowerILb0ELi64ELi4ELi33ELi32ELi16ElPK19rocblas_complex_numIdEPKS3_PS1_EviT6_lT7_lT5_lS8_lS9_lS7_lT8_i, .Lfunc_end192-_ZL26rocblas_hemvn_kernel_lowerILb0ELi64ELi4ELi33ELi32ELi16ElPK19rocblas_complex_numIdEPKS3_PS1_EviT6_lT7_lT5_lS8_lS9_lS7_lT8_i
                                        ; -- End function
	.set _ZL26rocblas_hemvn_kernel_lowerILb0ELi64ELi4ELi33ELi32ELi16ElPK19rocblas_complex_numIdEPKS3_PS1_EviT6_lT7_lT5_lS8_lS9_lS7_lT8_i.num_vgpr, 188
	.set _ZL26rocblas_hemvn_kernel_lowerILb0ELi64ELi4ELi33ELi32ELi16ElPK19rocblas_complex_numIdEPKS3_PS1_EviT6_lT7_lT5_lS8_lS9_lS7_lT8_i.num_agpr, 0
	.set _ZL26rocblas_hemvn_kernel_lowerILb0ELi64ELi4ELi33ELi32ELi16ElPK19rocblas_complex_numIdEPKS3_PS1_EviT6_lT7_lT5_lS8_lS9_lS7_lT8_i.numbered_sgpr, 42
	.set _ZL26rocblas_hemvn_kernel_lowerILb0ELi64ELi4ELi33ELi32ELi16ElPK19rocblas_complex_numIdEPKS3_PS1_EviT6_lT7_lT5_lS8_lS9_lS7_lT8_i.num_named_barrier, 0
	.set _ZL26rocblas_hemvn_kernel_lowerILb0ELi64ELi4ELi33ELi32ELi16ElPK19rocblas_complex_numIdEPKS3_PS1_EviT6_lT7_lT5_lS8_lS9_lS7_lT8_i.private_seg_size, 0
	.set _ZL26rocblas_hemvn_kernel_lowerILb0ELi64ELi4ELi33ELi32ELi16ElPK19rocblas_complex_numIdEPKS3_PS1_EviT6_lT7_lT5_lS8_lS9_lS7_lT8_i.uses_vcc, 1
	.set _ZL26rocblas_hemvn_kernel_lowerILb0ELi64ELi4ELi33ELi32ELi16ElPK19rocblas_complex_numIdEPKS3_PS1_EviT6_lT7_lT5_lS8_lS9_lS7_lT8_i.uses_flat_scratch, 0
	.set _ZL26rocblas_hemvn_kernel_lowerILb0ELi64ELi4ELi33ELi32ELi16ElPK19rocblas_complex_numIdEPKS3_PS1_EviT6_lT7_lT5_lS8_lS9_lS7_lT8_i.has_dyn_sized_stack, 0
	.set _ZL26rocblas_hemvn_kernel_lowerILb0ELi64ELi4ELi33ELi32ELi16ElPK19rocblas_complex_numIdEPKS3_PS1_EviT6_lT7_lT5_lS8_lS9_lS7_lT8_i.has_recursion, 0
	.set _ZL26rocblas_hemvn_kernel_lowerILb0ELi64ELi4ELi33ELi32ELi16ElPK19rocblas_complex_numIdEPKS3_PS1_EviT6_lT7_lT5_lS8_lS9_lS7_lT8_i.has_indirect_call, 0
	.section	.AMDGPU.csdata,"",@progbits
; Kernel info:
; codeLenInByte = 9016
; TotalNumSgprs: 48
; NumVgprs: 188
; NumAgprs: 0
; TotalNumVgprs: 188
; ScratchSize: 0
; MemoryBound: 0
; FloatMode: 240
; IeeeMode: 1
; LDSByteSize: 19200 bytes/workgroup (compile time only)
; SGPRBlocks: 5
; VGPRBlocks: 23
; NumSGPRsForWavesPerEU: 48
; NumVGPRsForWavesPerEU: 188
; AccumOffset: 188
; Occupancy: 2
; WaveLimiterHint : 1
; COMPUTE_PGM_RSRC2:SCRATCH_EN: 0
; COMPUTE_PGM_RSRC2:USER_SGPR: 2
; COMPUTE_PGM_RSRC2:TRAP_HANDLER: 0
; COMPUTE_PGM_RSRC2:TGID_X_EN: 1
; COMPUTE_PGM_RSRC2:TGID_Y_EN: 0
; COMPUTE_PGM_RSRC2:TGID_Z_EN: 1
; COMPUTE_PGM_RSRC2:TIDIG_COMP_CNT: 1
; COMPUTE_PGM_RSRC3_GFX90A:ACCUM_OFFSET: 46
; COMPUTE_PGM_RSRC3_GFX90A:TG_SPLIT: 0
	.section	.text._ZL26rocblas_hemvn_kernel_lowerILb0ELi64ELi4ELi33ELi32ELi16EiPK19rocblas_complex_numIdEPKS3_PS1_EviT6_lT7_lT5_lS8_lS9_lS7_lT8_i,"axG",@progbits,_ZL26rocblas_hemvn_kernel_lowerILb0ELi64ELi4ELi33ELi32ELi16EiPK19rocblas_complex_numIdEPKS3_PS1_EviT6_lT7_lT5_lS8_lS9_lS7_lT8_i,comdat
	.globl	_ZL26rocblas_hemvn_kernel_lowerILb0ELi64ELi4ELi33ELi32ELi16EiPK19rocblas_complex_numIdEPKS3_PS1_EviT6_lT7_lT5_lS8_lS9_lS7_lT8_i ; -- Begin function _ZL26rocblas_hemvn_kernel_lowerILb0ELi64ELi4ELi33ELi32ELi16EiPK19rocblas_complex_numIdEPKS3_PS1_EviT6_lT7_lT5_lS8_lS9_lS7_lT8_i
	.p2align	8
	.type	_ZL26rocblas_hemvn_kernel_lowerILb0ELi64ELi4ELi33ELi32ELi16EiPK19rocblas_complex_numIdEPKS3_PS1_EviT6_lT7_lT5_lS8_lS9_lS7_lT8_i,@function
_ZL26rocblas_hemvn_kernel_lowerILb0ELi64ELi4ELi33ELi32ELi16EiPK19rocblas_complex_numIdEPKS3_PS1_EviT6_lT7_lT5_lS8_lS9_lS7_lT8_i: ; @_ZL26rocblas_hemvn_kernel_lowerILb0ELi64ELi4ELi33ELi32ELi16EiPK19rocblas_complex_numIdEPKS3_PS1_EviT6_lT7_lT5_lS8_lS9_lS7_lT8_i
; %bb.0:
	s_load_dwordx2 s[4:5], s[0:1], 0x84
	s_add_u32 s12, s0, 0x78
	s_mov_b32 s20, s3
	s_addc_u32 s13, s1, 0
	s_waitcnt lgkmcnt(0)
	s_and_b32 s3, s5, 0xffff
	s_lshr_b32 s5, s4, 16
	s_and_b32 s4, s4, 0xffff
	s_mul_i32 s4, s5, s4
	s_mul_i32 s4, s4, s3
	s_cmpk_lg_i32 s4, 0x100
	s_cbranch_scc1 .LBB193_104
; %bb.1:
	s_load_dwordx8 s[4:11], s[0:1], 0x8
	s_mov_b32 s21, 0
	s_waitcnt lgkmcnt(0)
	s_mul_i32 s3, s7, s20
	s_mul_hi_u32 s7, s6, s20
	s_mul_i32 s6, s6, s20
	s_add_i32 s7, s7, s3
	s_lshl_b64 s[6:7], s[6:7], 4
	s_add_u32 s14, s4, s6
	s_addc_u32 s15, s5, s7
	s_load_dwordx4 s[16:19], s[14:15], 0x0
	s_load_dwordx2 s[22:23], s[0:1], 0x68
	s_load_dwordx4 s[4:7], s[0:1], 0x58
	s_waitcnt lgkmcnt(0)
	v_cmp_neq_f64_e64 s[14:15], s[16:17], 0
	v_cmp_neq_f64_e64 s[16:17], s[18:19], 0
	s_or_b64 s[16:17], s[14:15], s[16:17]
	s_mov_b64 s[14:15], -1
	s_and_b64 vcc, exec, s[16:17]
	s_cbranch_vccnz .LBB193_3
; %bb.2:
	s_mul_i32 s3, s7, s20
	s_mul_hi_u32 s7, s6, s20
	s_add_i32 s7, s7, s3
	s_mul_i32 s6, s6, s20
	s_lshl_b64 s[6:7], s[6:7], 4
	s_add_u32 s14, s4, s6
	s_addc_u32 s15, s5, s7
	s_load_dwordx4 s[4:7], s[14:15], 0x0
	s_mov_b64 s[14:15], 0
	s_waitcnt lgkmcnt(0)
	v_cmp_eq_f64_e64 s[4:5], s[4:5], 1.0
	v_cmp_eq_f64_e64 s[6:7], s[6:7], 0
	s_and_b64 s[4:5], s[4:5], s[6:7]
	s_andn2_b64 vcc, exec, s[4:5]
.LBB193_3:
	s_andn2_b64 vcc, exec, s[14:15]
	s_cbranch_vccnz .LBB193_104
; %bb.4:
	s_load_dwordx4 s[4:7], s[0:1], 0x38
	s_load_dword s3, s[0:1], 0x48
	s_lshl_b64 s[14:15], s[20:21], 3
	s_add_u32 s8, s8, s14
	s_addc_u32 s9, s9, s15
	s_waitcnt lgkmcnt(0)
	s_add_u32 s14, s4, s14
	s_addc_u32 s15, s5, s15
	s_load_dwordx2 s[16:17], s[14:15], 0x0
	s_load_dword s21, s[0:1], 0x0
	s_load_dword s33, s[12:13], 0x0
	s_load_dwordx2 s[4:5], s[8:9], 0x0
	s_lshl_b64 s[6:7], s[6:7], 4
	s_waitcnt lgkmcnt(0)
	s_add_u32 s6, s16, s6
	s_addc_u32 s7, s17, s7
	s_ashr_i32 s40, s21, 31
	s_lshr_b32 s9, s40, 26
	v_and_b32_e32 v150, 0x3ff, v0
	s_lshl_b32 s28, s2, 6
	s_add_i32 s9, s21, s9
	s_andn2_b32 s9, s9, 63
	v_add_u32_e32 v148, s28, v150
	v_bfe_u32 v149, v0, 10, 10
	s_add_i32 s8, s33, -1
	s_sub_i32 s9, s21, s9
	v_mul_lo_u32 v0, s3, v148
	s_cmp_eq_u32 s2, s8
	v_ashrrev_i32_e32 v1, 31, v0
	s_cselect_b32 s24, s9, 0
	v_lshl_add_u64 v[36:37], v[0:1], 4, s[6:7]
	v_cmp_ne_u32_e64 s[16:17], 0, v149
	v_cmp_eq_u32_e64 s[18:19], 0, v149
	s_and_saveexec_b64 s[6:7], s[18:19]
	s_cbranch_execz .LBB193_9
; %bb.5:
	s_cmp_lg_u32 s24, 0
	s_cselect_b64 s[8:9], -1, 0
	v_cmp_le_i32_e32 vcc, s24, v150
	v_mov_b32_e32 v0, 0x4700
	s_and_b64 s[8:9], s[8:9], vcc
	v_lshl_add_u32 v0, v150, 4, v0
	s_and_saveexec_b64 s[12:13], s[8:9]
	s_xor_b64 s[8:9], exec, s[12:13]
; %bb.6:
	v_mov_b32_e32 v2, 0
	v_mov_b32_e32 v3, v2
	;; [unrolled: 1-line block ×4, first 2 shown]
	ds_write_b128 v0, v[2:5]
                                        ; implicit-def: $vgpr0
; %bb.7:
	s_andn2_saveexec_b64 s[8:9], s[8:9]
	s_cbranch_execz .LBB193_9
; %bb.8:
	flat_load_dwordx4 v[2:5], v[36:37]
	s_waitcnt vmcnt(0) lgkmcnt(0)
	ds_write2_b64 v0, v[2:3], v[4:5] offset1:1
.LBB193_9:
	s_or_b64 exec, exec, s[6:7]
	s_load_dword s26, s[0:1], 0x28
	s_lshl_b64 s[6:7], s[10:11], 4
	s_add_u32 s4, s4, s6
	s_addc_u32 s5, s5, s7
	s_ashr_i32 s29, s28, 31
	v_lshl_add_u32 v42, v149, 6, v150
	s_lshl_b64 s[0:1], s[28:29], 4
	v_and_b32_e32 v6, 31, v150
	v_lshrrev_b32_e32 v12, 5, v42
	s_add_u32 s0, s4, s0
	s_waitcnt lgkmcnt(0)
	s_mul_i32 s30, s26, s28
	s_addc_u32 s1, s5, s1
	v_mad_u64_u32 v[38:39], s[4:5], s26, v12, v[6:7]
	s_ashr_i32 s31, s30, 31
	v_ashrrev_i32_e32 v39, 31, v38
	s_cmp_lg_u32 s24, 0
	v_lshl_add_u64 v[0:1], v[38:39], 4, s[0:1]
	s_cselect_b64 s[34:35], -1, 0
	s_cmp_eq_u32 s24, 0
	v_lshl_add_u64 v[8:9], s[30:31], 4, v[0:1]
	s_cselect_b64 s[36:37], -1, 0
	s_mov_b64 s[0:1], -1
	s_and_b64 vcc, exec, s[34:35]
	s_cbranch_vccnz .LBB193_11
; %bb.10:
	flat_load_dwordx4 v[0:3], v[8:9]
	v_mul_u32_u24_e32 v4, 0x210, v12
	s_lshl_b32 s0, s26, 3
	v_lshl_add_u32 v7, v6, 4, v4
	s_ashr_i32 s1, s0, 31
	v_lshl_add_u64 v[4:5], s[0:1], 4, v[8:9]
	s_ashr_i32 s27, s26, 31
	s_lshl_b64 s[0:1], s[26:27], 7
	v_add_u32_e32 v10, 0x1080, v7
	s_waitcnt vmcnt(0) lgkmcnt(0)
	ds_write2_b64 v7, v[0:1], v[2:3] offset1:1
	flat_load_dwordx4 v[0:3], v[4:5]
	v_lshl_add_u64 v[4:5], v[4:5], 0, s[0:1]
	s_waitcnt vmcnt(0) lgkmcnt(0)
	ds_write2_b64 v10, v[0:1], v[2:3] offset1:1
	flat_load_dwordx4 v[0:3], v[4:5]
	v_add_u32_e32 v10, 0x2100, v7
	v_lshl_add_u64 v[4:5], v[4:5], 0, s[0:1]
	s_mov_b64 s[0:1], 0
	s_waitcnt vmcnt(0) lgkmcnt(0)
	ds_write2_b64 v10, v[0:1], v[2:3] offset1:1
	flat_load_dwordx4 v[0:3], v[4:5]
	v_add_u32_e32 v4, 0x3180, v7
	s_waitcnt vmcnt(0) lgkmcnt(0)
	ds_write2_b64 v4, v[0:1], v[2:3] offset1:1
.LBB193_11:
	s_andn2_b64 vcc, exec, s[0:1]
	v_lshlrev_b32_e32 v4, 4, v6
	s_cbranch_vccnz .LBB193_29
; %bb.12:
	v_sub_co_u32_e32 v0, vcc, v8, v4
	s_ashr_i32 s25, s24, 31
	s_nop 0
	v_subbrev_co_u32_e32 v1, vcc, 0, v9, vcc
	v_lshl_add_u64 v[0:1], s[24:25], 4, v[0:1]
	v_lshl_add_u64 v[0:1], v[0:1], 0, -16
	v_cmp_gt_i32_e32 vcc, s24, v6
	s_movk_i32 s4, 0x210
	v_cmp_le_i32_e64 s[0:1], s24, v12
	v_cndmask_b32_e32 v1, v1, v9, vcc
	v_cndmask_b32_e32 v0, v0, v8, vcc
	v_mad_u32_u24 v2, v12, s4, v4
	s_and_saveexec_b64 s[4:5], s[0:1]
	s_xor_b64 s[0:1], exec, s[4:5]
; %bb.13:
	v_mov_b32_e32 v14, 0
	v_mov_b32_e32 v15, v14
	;; [unrolled: 1-line block ×4, first 2 shown]
	ds_write_b128 v2, v[14:17]
                                        ; implicit-def: $vgpr2
; %bb.14:
	s_andn2_saveexec_b64 s[0:1], s[0:1]
	s_cbranch_execz .LBB193_16
; %bb.15:
	flat_load_dwordx4 v[14:17], v[0:1]
	s_waitcnt vmcnt(0) lgkmcnt(0)
	ds_write2_b64 v2, v[14:15], v[16:17] offset1:1
.LBB193_16:
	s_or_b64 exec, exec, s[0:1]
	v_add_u32_e32 v3, 8, v12
	v_mul_u32_u24_e32 v2, 0x210, v12
	v_cmp_le_i32_e64 s[0:1], s24, v3
	s_and_saveexec_b64 s[4:5], s[0:1]
	s_xor_b64 s[0:1], exec, s[4:5]
	s_cbranch_execz .LBB193_18
; %bb.17:
	v_mov_b32_e32 v14, 0
	v_add_u32_e32 v3, v2, v4
	v_mov_b32_e32 v15, v14
	v_mov_b32_e32 v16, v14
	;; [unrolled: 1-line block ×3, first 2 shown]
	ds_write_b128 v3, v[14:17] offset:4224
.LBB193_18:
	s_andn2_saveexec_b64 s[0:1], s[0:1]
	s_cbranch_execz .LBB193_20
; %bb.19:
	s_lshl_b32 s4, s26, 3
	s_ashr_i32 s5, s4, 31
	v_lshl_add_u64 v[10:11], s[4:5], 4, v[0:1]
	flat_load_dwordx4 v[14:17], v[10:11]
	s_movk_i32 s4, 0x1080
	v_add3_u32 v3, v2, v4, s4
	s_waitcnt vmcnt(0) lgkmcnt(0)
	ds_write2_b64 v3, v[14:15], v[16:17] offset1:1
.LBB193_20:
	s_or_b64 exec, exec, s[0:1]
	v_add_u32_e32 v3, 16, v12
	v_cmp_le_i32_e64 s[0:1], s24, v3
	s_and_saveexec_b64 s[4:5], s[0:1]
	s_xor_b64 s[0:1], exec, s[4:5]
	s_cbranch_execz .LBB193_22
; %bb.21:
	v_mov_b32_e32 v14, 0
	v_add_u32_e32 v3, v2, v4
	v_mov_b32_e32 v15, v14
	v_mov_b32_e32 v16, v14
	;; [unrolled: 1-line block ×3, first 2 shown]
	ds_write_b128 v3, v[14:17] offset:8448
.LBB193_22:
	s_andn2_saveexec_b64 s[0:1], s[0:1]
	s_cbranch_execz .LBB193_24
; %bb.23:
	s_lshl_b32 s4, s26, 4
	s_ashr_i32 s5, s4, 31
	v_lshl_add_u64 v[10:11], s[4:5], 4, v[0:1]
	flat_load_dwordx4 v[14:17], v[10:11]
	s_movk_i32 s4, 0x2100
	v_add3_u32 v3, v2, v4, s4
	s_waitcnt vmcnt(0) lgkmcnt(0)
	ds_write2_b64 v3, v[14:15], v[16:17] offset1:1
.LBB193_24:
	s_or_b64 exec, exec, s[0:1]
	v_add_u32_e32 v3, 24, v12
	v_cmp_le_i32_e64 s[0:1], s24, v3
	s_and_saveexec_b64 s[4:5], s[0:1]
	s_xor_b64 s[0:1], exec, s[4:5]
	s_cbranch_execz .LBB193_26
; %bb.25:
	v_mov_b32_e32 v14, 0
	v_add_u32_e32 v2, v2, v4
	v_mov_b32_e32 v15, v14
	v_mov_b32_e32 v16, v14
	;; [unrolled: 1-line block ×3, first 2 shown]
	ds_write_b128 v2, v[14:17] offset:12672
                                        ; implicit-def: $vgpr2
.LBB193_26:
	s_andn2_saveexec_b64 s[0:1], s[0:1]
	s_cbranch_execz .LBB193_28
; %bb.27:
	s_mul_i32 s4, s26, 24
	s_ashr_i32 s5, s4, 31
	v_lshl_add_u64 v[10:11], s[4:5], 4, v[0:1]
	flat_load_dwordx4 v[14:17], v[10:11]
	s_movk_i32 s4, 0x3180
	v_add3_u32 v2, v2, v4, s4
	s_waitcnt vmcnt(0) lgkmcnt(0)
	ds_write2_b64 v2, v[14:15], v[16:17] offset1:1
.LBB193_28:
	s_or_b64 exec, exec, s[0:1]
	v_mov_b32_e32 v5, 0
	v_lshl_add_u64 v[0:1], v[0:1], 0, v[4:5]
	s_lshl_b64 s[0:1], s[24:25], 4
	v_mov_b32_e32 v2, s1
	v_subrev_co_u32_e64 v0, s[0:1], s0, v0
	s_nop 1
	v_subb_co_u32_e64 v1, s[0:1], v1, v2, s[0:1]
	v_lshl_add_u64 v[0:1], v[0:1], 0, 16
	v_cndmask_b32_e32 v9, v1, v9, vcc
	v_cndmask_b32_e32 v8, v0, v8, vcc
.LBB193_29:
	v_lshlrev_b32_e32 v13, 2, v12
	v_lshl_or_b32 v1, v6, 9, v4
	v_cmp_lt_u32_e64 s[6:7], v13, v6
	s_waitcnt lgkmcnt(0)
	s_barrier
	s_and_saveexec_b64 s[0:1], s[6:7]
	s_cbranch_execz .LBB193_31
; %bb.30:
	s_movk_i32 s4, 0x840
	v_mad_u32_u24 v0, v12, s4, v4
	ds_read_b128 v[14:17], v0
	v_lshl_add_u32 v0, v13, 4, v1
	s_waitcnt lgkmcnt(0)
	ds_write_b128 v0, v[14:17]
.LBB193_31:
	s_or_b64 exec, exec, s[0:1]
	v_or_b32_e32 v0, 1, v13
	v_cmp_lt_u32_e64 s[8:9], v0, v6
	s_and_saveexec_b64 s[0:1], s[8:9]
	s_cbranch_execz .LBB193_33
; %bb.32:
	s_movk_i32 s4, 0x210
	v_mad_u32_u24 v2, v0, s4, v4
	ds_read_b128 v[14:17], v2
	v_lshl_add_u32 v2, v13, 4, v1
	s_waitcnt lgkmcnt(0)
	ds_write_b128 v2, v[14:17] offset:16
.LBB193_33:
	s_or_b64 exec, exec, s[0:1]
	v_or_b32_e32 v2, 2, v13
	v_cmp_lt_u32_e64 s[10:11], v2, v6
	s_and_saveexec_b64 s[0:1], s[10:11]
	s_cbranch_execz .LBB193_35
; %bb.34:
	s_movk_i32 s4, 0x210
	v_mad_u32_u24 v2, v2, s4, v4
	ds_read_b128 v[14:17], v2
	v_lshl_add_u32 v2, v13, 4, v1
	s_waitcnt lgkmcnt(0)
	ds_write_b128 v2, v[14:17] offset:32
.LBB193_35:
	s_or_b64 exec, exec, s[0:1]
	v_or_b32_e32 v3, 3, v13
	v_cmp_lt_u32_e64 s[12:13], v3, v6
	v_cmp_ge_u32_e32 vcc, v3, v6
                                        ; implicit-def: $vgpr2
	s_and_saveexec_b64 s[0:1], vcc
	s_xor_b64 s[0:1], exec, s[0:1]
; %bb.36:
	v_mul_u32_u24_e32 v2, 0x210, v3
                                        ; implicit-def: $vgpr1
                                        ; implicit-def: $vgpr3
; %bb.37:
	s_andn2_saveexec_b64 s[0:1], s[0:1]
	s_cbranch_execz .LBB193_39
; %bb.38:
	s_movk_i32 s4, 0x210
	v_mad_u32_u24 v2, v3, s4, v4
	ds_read_b128 v[14:17], v2
	v_lshl_add_u32 v1, v13, 4, v1
	v_mul_u32_u24_e32 v2, 0x210, v3
	s_waitcnt lgkmcnt(0)
	ds_write_b128 v1, v[14:17] offset:48
.LBB193_39:
	s_or_b64 exec, exec, s[0:1]
	s_movk_i32 s0, 0x840
	v_mad_u32_u24 v7, v12, s0, v4
	s_movk_i32 s0, 0x210
	v_lshlrev_b32_e32 v14, 4, v13
	v_mad_u32_u24 v15, v0, s0, v4
	s_waitcnt lgkmcnt(0)
	s_barrier
	ds_read_b128 v[16:19], v14 offset:18176
	ds_read_b128 v[20:23], v14 offset:18192
	ds_read_b128 v[24:27], v7
	ds_read_b128 v[28:31], v14 offset:18208
	ds_read_b128 v[32:35], v14 offset:18224
	ds_read_b128 v[44:47], v15
	v_cmp_gt_u32_e64 s[4:5], 32, v42
	s_waitcnt lgkmcnt(3)
	v_mul_f64 v[0:1], v[18:19], v[26:27]
	v_fma_f64 v[10:11], v[16:17], v[24:25], -v[0:1]
	v_mul_f64 v[16:17], v[16:17], v[26:27]
	v_fmac_f64_e32 v[16:17], v[18:19], v[24:25]
	s_waitcnt lgkmcnt(0)
	v_mul_f64 v[26:27], v[20:21], v[46:47]
	v_add_f64 v[16:17], v[16:17], 0
	v_mul_f64 v[18:19], v[22:23], v[46:47]
	v_fmac_f64_e32 v[26:27], v[22:23], v[44:45]
	v_add_f64 v[10:11], v[10:11], 0
	v_fma_f64 v[24:25], v[20:21], v[44:45], -v[18:19]
	ds_read_b128 v[18:21], v15 offset:528
	v_add_f64 v[26:27], v[16:17], v[26:27]
	v_add_u32_e32 v16, v4, v2
	v_add_f64 v[10:11], v[10:11], v[24:25]
	ds_read_b128 v[22:25], v16
	s_waitcnt lgkmcnt(1)
	v_mul_f64 v[2:3], v[30:31], v[20:21]
	v_mul_f64 v[20:21], v[28:29], v[20:21]
	v_fma_f64 v[2:3], v[28:29], v[18:19], -v[2:3]
	v_fmac_f64_e32 v[20:21], v[30:31], v[18:19]
	s_waitcnt lgkmcnt(0)
	v_mul_f64 v[18:19], v[34:35], v[24:25]
	v_add_f64 v[2:3], v[10:11], v[2:3]
	v_fma_f64 v[18:19], v[32:33], v[22:23], -v[18:19]
	v_add_f64 v[10:11], v[26:27], v[20:21]
	v_mul_f64 v[20:21], v[32:33], v[24:25]
	v_add_f64 v[18:19], v[2:3], v[18:19]
	v_mul_u32_u24_e32 v2, 33, v6
	v_fmac_f64_e32 v[20:21], v[34:35], v[22:23]
	v_lshlrev_b32_e32 v43, 4, v2
	v_mov_b64_e32 v[0:1], 0
	v_add_f64 v[20:21], v[10:11], v[20:21]
	v_lshl_add_u32 v44, v12, 4, v43
	v_mov_b64_e32 v[2:3], 0
	s_barrier
	ds_write_b128 v44, v[18:21]
	s_waitcnt lgkmcnt(0)
	s_barrier
	s_and_saveexec_b64 s[0:1], s[4:5]
	s_cbranch_execz .LBB193_41
; %bb.40:
	ds_read_b128 v[0:3], v43
	ds_read_b128 v[18:21], v43 offset:16
	ds_read_b128 v[22:25], v43 offset:32
	;; [unrolled: 1-line block ×3, first 2 shown]
	s_waitcnt lgkmcnt(2)
	v_add_f64 v[0:1], v[18:19], v[0:1]
	v_add_f64 v[10:11], v[20:21], v[2:3]
	s_waitcnt lgkmcnt(1)
	v_add_f64 v[18:19], v[0:1], v[22:23]
	ds_read_b128 v[0:3], v43 offset:64
	v_add_f64 v[10:11], v[10:11], v[24:25]
	s_waitcnt lgkmcnt(1)
	v_add_f64 v[22:23], v[18:19], v[26:27]
	ds_read_b128 v[18:21], v43 offset:80
	;; [unrolled: 4-line block ×3, first 2 shown]
	v_add_f64 v[10:11], v[10:11], v[2:3]
	ds_read_b128 v[0:3], v43 offset:112
	s_waitcnt lgkmcnt(2)
	v_add_f64 v[18:19], v[26:27], v[18:19]
	v_add_f64 v[10:11], v[10:11], v[20:21]
	s_waitcnt lgkmcnt(1)
	v_add_f64 v[18:19], v[18:19], v[22:23]
	v_add_f64 v[10:11], v[10:11], v[24:25]
	;; [unrolled: 3-line block ×3, first 2 shown]
.LBB193_41:
	s_or_b64 exec, exec, s[0:1]
	s_lshl_b32 s38, s26, 5
	s_ashr_i32 s39, s38, 31
	v_lshl_add_u64 v[10:11], s[38:39], 4, v[8:9]
	s_mov_b64 s[0:1], 0x200
	v_cndmask_b32_e64 v5, 0, 1, s[36:37]
	v_lshl_add_u64 v[8:9], v[10:11], 0, s[0:1]
	v_cmp_ne_u32_e64 s[14:15], 1, v5
	s_andn2_b64 vcc, exec, s[36:37]
	s_mov_b64 s[0:1], -1
	s_barrier
	s_cbranch_vccnz .LBB193_43
; %bb.42:
	flat_load_dwordx4 v[18:21], v[8:9]
	s_movk_i32 s1, 0x210
	s_lshl_b32 s0, s26, 3
	v_mad_u32_u24 v5, v12, s1, v4
	s_ashr_i32 s1, s0, 31
	v_lshl_add_u64 v[22:23], s[0:1], 4, v[10:11]
	s_ashr_i32 s27, s26, 31
	s_lshl_b64 s[0:1], s[26:27], 7
	v_add_u32_e32 v17, 0x1080, v5
	s_waitcnt vmcnt(0) lgkmcnt(0)
	ds_write2_b64 v5, v[18:19], v[20:21] offset1:1
	flat_load_dwordx4 v[18:21], v[22:23] offset:512
	v_lshl_add_u64 v[22:23], v[22:23], 0, s[0:1]
	s_waitcnt vmcnt(0) lgkmcnt(0)
	ds_write2_b64 v17, v[18:19], v[20:21] offset1:1
	flat_load_dwordx4 v[18:21], v[22:23] offset:512
	v_add_u32_e32 v17, 0x2100, v5
	v_lshl_add_u64 v[22:23], v[22:23], 0, s[0:1]
	v_add_u32_e32 v5, 0x3180, v5
	s_mov_b64 s[0:1], 0
	s_waitcnt vmcnt(0) lgkmcnt(0)
	ds_write2_b64 v17, v[18:19], v[20:21] offset1:1
	flat_load_dwordx4 v[18:21], v[22:23] offset:512
	s_waitcnt vmcnt(0) lgkmcnt(0)
	ds_write2_b64 v5, v[18:19], v[20:21] offset1:1
.LBB193_43:
	s_andn2_b64 vcc, exec, s[0:1]
	s_cbranch_vccnz .LBB193_61
; %bb.44:
	v_sub_co_u32_e32 v10, vcc, v10, v4
	s_ashr_i32 s25, s24, 31
	s_nop 0
	v_subbrev_co_u32_e32 v11, vcc, 0, v11, vcc
	v_or_b32_e32 v5, 32, v6
	v_lshl_add_u64 v[10:11], s[24:25], 4, v[10:11]
	v_lshl_add_u64 v[10:11], v[10:11], 0, -16
	v_cmp_gt_i32_e32 vcc, s24, v5
	s_sub_i32 s27, s24, 32
	s_movk_i32 s29, 0x210
	v_cndmask_b32_e32 v11, v11, v9, vcc
	v_cndmask_b32_e32 v10, v10, v8, vcc
	v_cmp_le_i32_e64 s[0:1], s27, v12
	v_mad_u32_u24 v5, v12, s29, v4
	s_and_saveexec_b64 s[36:37], s[0:1]
	s_xor_b64 s[0:1], exec, s[36:37]
; %bb.45:
	v_mov_b32_e32 v18, 0
	v_mov_b32_e32 v19, v18
	;; [unrolled: 1-line block ×4, first 2 shown]
	ds_write_b128 v5, v[18:21]
                                        ; implicit-def: $vgpr5
; %bb.46:
	s_andn2_saveexec_b64 s[0:1], s[0:1]
	s_cbranch_execz .LBB193_48
; %bb.47:
	flat_load_dwordx4 v[18:21], v[10:11]
	s_waitcnt vmcnt(0) lgkmcnt(0)
	ds_write2_b64 v5, v[18:19], v[20:21] offset1:1
.LBB193_48:
	s_or_b64 exec, exec, s[0:1]
	v_add_u32_e32 v17, 8, v12
	v_mul_u32_u24_e32 v5, 0x210, v12
	v_cmp_le_i32_e64 s[0:1], s27, v17
	s_and_saveexec_b64 s[36:37], s[0:1]
	s_xor_b64 s[0:1], exec, s[36:37]
	s_cbranch_execz .LBB193_50
; %bb.49:
	v_mov_b32_e32 v18, 0
	v_add_u32_e32 v17, v5, v4
	v_mov_b32_e32 v19, v18
	v_mov_b32_e32 v20, v18
	;; [unrolled: 1-line block ×3, first 2 shown]
	ds_write_b128 v17, v[18:21] offset:4224
.LBB193_50:
	s_andn2_saveexec_b64 s[0:1], s[0:1]
	s_cbranch_execz .LBB193_52
; %bb.51:
	s_lshl_b32 s36, s26, 3
	s_ashr_i32 s37, s36, 31
	v_lshl_add_u64 v[18:19], s[36:37], 4, v[10:11]
	flat_load_dwordx4 v[18:21], v[18:19]
	s_movk_i32 s29, 0x1080
	v_add3_u32 v17, v5, v4, s29
	s_waitcnt vmcnt(0) lgkmcnt(0)
	ds_write2_b64 v17, v[18:19], v[20:21] offset1:1
.LBB193_52:
	s_or_b64 exec, exec, s[0:1]
	v_add_u32_e32 v17, 16, v12
	v_cmp_le_i32_e64 s[0:1], s27, v17
	s_and_saveexec_b64 s[36:37], s[0:1]
	s_xor_b64 s[0:1], exec, s[36:37]
	s_cbranch_execz .LBB193_54
; %bb.53:
	v_mov_b32_e32 v18, 0
	v_add_u32_e32 v17, v5, v4
	v_mov_b32_e32 v19, v18
	v_mov_b32_e32 v20, v18
	;; [unrolled: 1-line block ×3, first 2 shown]
	ds_write_b128 v17, v[18:21] offset:8448
.LBB193_54:
	s_andn2_saveexec_b64 s[0:1], s[0:1]
	s_cbranch_execz .LBB193_56
; %bb.55:
	s_lshl_b32 s36, s26, 4
	s_ashr_i32 s37, s36, 31
	v_lshl_add_u64 v[18:19], s[36:37], 4, v[10:11]
	flat_load_dwordx4 v[18:21], v[18:19]
	s_movk_i32 s29, 0x2100
	v_add3_u32 v17, v5, v4, s29
	s_waitcnt vmcnt(0) lgkmcnt(0)
	ds_write2_b64 v17, v[18:19], v[20:21] offset1:1
.LBB193_56:
	s_or_b64 exec, exec, s[0:1]
	v_add_u32_e32 v17, 24, v12
	v_cmp_le_i32_e64 s[0:1], s27, v17
	s_and_saveexec_b64 s[36:37], s[0:1]
	s_xor_b64 s[0:1], exec, s[36:37]
	s_cbranch_execz .LBB193_58
; %bb.57:
	v_mov_b32_e32 v18, 0
	v_add_u32_e32 v5, v5, v4
	v_mov_b32_e32 v19, v18
	v_mov_b32_e32 v20, v18
	;; [unrolled: 1-line block ×3, first 2 shown]
	ds_write_b128 v5, v[18:21] offset:12672
                                        ; implicit-def: $vgpr5
.LBB193_58:
	s_andn2_saveexec_b64 s[0:1], s[0:1]
	s_cbranch_execz .LBB193_60
; %bb.59:
	s_mul_i32 s36, s26, 24
	s_ashr_i32 s37, s36, 31
	v_lshl_add_u64 v[18:19], s[36:37], 4, v[10:11]
	flat_load_dwordx4 v[18:21], v[18:19]
	s_movk_i32 s27, 0x3180
	v_add3_u32 v5, v5, v4, s27
	s_waitcnt vmcnt(0) lgkmcnt(0)
	ds_write2_b64 v5, v[18:19], v[20:21] offset1:1
.LBB193_60:
	s_or_b64 exec, exec, s[0:1]
	v_mov_b32_e32 v5, 0
	v_lshl_add_u64 v[10:11], v[10:11], 0, v[4:5]
	s_lshl_b64 s[0:1], s[24:25], 4
	v_mov_b32_e32 v5, s1
	v_subrev_co_u32_e64 v10, s[0:1], s0, v10
	s_nop 1
	v_subb_co_u32_e64 v11, s[0:1], v11, v5, s[0:1]
	s_mov_b64 s[0:1], 0x210
	s_nop 0
	v_lshl_add_u64 v[10:11], v[10:11], 0, s[0:1]
	v_cndmask_b32_e32 v9, v11, v9, vcc
	v_cndmask_b32_e32 v8, v10, v8, vcc
.LBB193_61:
	v_add_u32_e32 v14, 0x4700, v14
	v_add_u32_e32 v5, 0x210, v15
	s_waitcnt lgkmcnt(0)
	s_barrier
	s_and_saveexec_b64 s[0:1], s[6:7]
	s_cbranch_execnz .LBB193_70
; %bb.62:
	s_or_b64 exec, exec, s[0:1]
	s_and_saveexec_b64 s[0:1], s[8:9]
	s_cbranch_execnz .LBB193_71
.LBB193_63:
	s_or_b64 exec, exec, s[0:1]
	s_and_saveexec_b64 s[0:1], s[10:11]
	s_cbranch_execnz .LBB193_72
.LBB193_64:
	s_or_b64 exec, exec, s[0:1]
	s_and_saveexec_b64 s[0:1], s[12:13]
	s_cbranch_execz .LBB193_66
.LBB193_65:
	ds_read_b128 v[18:21], v16
	v_lshl_add_u32 v10, v13, 4, v43
	s_waitcnt lgkmcnt(0)
	ds_write_b128 v10, v[18:21] offset:48
.LBB193_66:
	s_or_b64 exec, exec, s[0:1]
	s_waitcnt lgkmcnt(0)
	s_barrier
	ds_read_b128 v[18:21], v14 offset:512
	ds_read_b128 v[22:25], v7
	ds_read_b128 v[26:29], v14 offset:528
	ds_read_b128 v[30:33], v14 offset:544
	;; [unrolled: 1-line block ×3, first 2 shown]
	ds_read_b128 v[50:53], v15
	v_cmp_eq_u32_e64 s[6:7], 1, v12
	s_waitcnt lgkmcnt(4)
	v_mul_f64 v[10:11], v[20:21], v[24:25]
	v_fma_f64 v[10:11], v[18:19], v[22:23], -v[10:11]
	v_mul_f64 v[18:19], v[18:19], v[24:25]
	v_fmac_f64_e32 v[18:19], v[20:21], v[22:23]
	v_add_f64 v[22:23], v[18:19], 0
	s_waitcnt lgkmcnt(0)
	v_mul_f64 v[18:19], v[28:29], v[52:53]
	v_fma_f64 v[24:25], v[26:27], v[50:51], -v[18:19]
	v_mul_f64 v[26:27], v[26:27], v[52:53]
	ds_read_b128 v[18:21], v5
	v_add_f64 v[10:11], v[10:11], 0
	v_fmac_f64_e32 v[26:27], v[28:29], v[50:51]
	v_add_f64 v[10:11], v[10:11], v[24:25]
	v_add_f64 v[26:27], v[22:23], v[26:27]
	ds_read_b128 v[22:25], v16
	s_waitcnt lgkmcnt(1)
	v_mul_f64 v[16:17], v[32:33], v[20:21]
	v_mul_f64 v[20:21], v[30:31], v[20:21]
	v_fma_f64 v[16:17], v[30:31], v[18:19], -v[16:17]
	v_fmac_f64_e32 v[20:21], v[32:33], v[18:19]
	v_add_f64 v[10:11], v[10:11], v[16:17]
	v_add_f64 v[18:19], v[26:27], v[20:21]
	s_waitcnt lgkmcnt(0)
	v_mul_f64 v[16:17], v[48:49], v[24:25]
	v_mul_f64 v[20:21], v[46:47], v[24:25]
	v_fma_f64 v[16:17], v[46:47], v[22:23], -v[16:17]
	v_fmac_f64_e32 v[20:21], v[48:49], v[22:23]
	v_add_f64 v[16:17], v[10:11], v[16:17]
	v_add_f64 v[18:19], v[18:19], v[20:21]
	s_barrier
	ds_write_b128 v44, v[16:19]
	s_waitcnt lgkmcnt(0)
	s_barrier
	s_and_saveexec_b64 s[0:1], s[6:7]
	s_cbranch_execz .LBB193_68
; %bb.67:
	ds_read_b128 v[0:3], v43
	ds_read_b128 v[16:19], v43 offset:16
	ds_read_b128 v[20:23], v43 offset:32
	;; [unrolled: 1-line block ×3, first 2 shown]
	s_waitcnt lgkmcnt(2)
	v_add_f64 v[0:1], v[16:17], v[0:1]
	v_add_f64 v[10:11], v[18:19], v[2:3]
	s_waitcnt lgkmcnt(1)
	v_add_f64 v[16:17], v[0:1], v[20:21]
	ds_read_b128 v[0:3], v43 offset:64
	v_add_f64 v[10:11], v[10:11], v[22:23]
	s_waitcnt lgkmcnt(1)
	v_add_f64 v[20:21], v[16:17], v[24:25]
	ds_read_b128 v[16:19], v43 offset:80
	;; [unrolled: 4-line block ×3, first 2 shown]
	v_add_f64 v[10:11], v[10:11], v[2:3]
	ds_read_b128 v[0:3], v43 offset:112
	s_waitcnt lgkmcnt(2)
	v_add_f64 v[16:17], v[24:25], v[16:17]
	v_add_f64 v[10:11], v[10:11], v[18:19]
	s_waitcnt lgkmcnt(1)
	v_add_f64 v[16:17], v[16:17], v[20:21]
	v_add_f64 v[10:11], v[10:11], v[22:23]
	;; [unrolled: 3-line block ×3, first 2 shown]
.LBB193_68:
	s_or_b64 exec, exec, s[0:1]
	s_lshl_b64 s[0:1], s[38:39], 4
	v_mov_b32_e32 v5, s1
	v_subrev_co_u32_e64 v40, s[0:1], s0, v8
	s_and_b64 vcc, exec, s[14:15]
	s_nop 0
	v_subb_co_u32_e64 v41, s[0:1], v9, v5, s[0:1]
	s_barrier
	s_cbranch_vccnz .LBB193_73
; %bb.69:
	flat_load_dwordx4 v[8:11], v[40:41]
	s_movk_i32 s8, 0x210
	s_lshl_b32 s0, s26, 3
	v_mad_u32_u24 v5, v12, s8, v4
	s_ashr_i32 s1, s0, 31
	v_lshl_add_u64 v[16:17], s[0:1], 4, v[40:41]
	s_ashr_i32 s27, s26, 31
	s_lshl_b64 s[0:1], s[26:27], 7
	s_waitcnt vmcnt(0) lgkmcnt(0)
	ds_write2_b64 v5, v[8:9], v[10:11] offset1:1
	flat_load_dwordx4 v[8:11], v[16:17]
	v_mov_b32_e32 v5, 0x1080
	v_mad_u32_u24 v7, v12, s8, v5
	v_add_u32_e32 v5, v4, v7
	v_lshl_add_u64 v[16:17], v[16:17], 0, s[0:1]
	s_waitcnt vmcnt(0) lgkmcnt(0)
	ds_write2_b64 v5, v[8:9], v[10:11] offset1:1
	flat_load_dwordx4 v[8:11], v[16:17]
	v_mov_b32_e32 v5, 0x2100
	v_mad_u32_u24 v5, v12, s8, v5
	v_add_u32_e32 v15, v4, v5
	v_lshl_add_u64 v[16:17], v[16:17], 0, s[0:1]
	s_waitcnt vmcnt(0) lgkmcnt(0)
	ds_write2_b64 v15, v[8:9], v[10:11] offset1:1
	flat_load_dwordx4 v[16:19], v[16:17]
	v_mov_b32_e32 v15, 0x3180
	v_mad_u32_u24 v15, v12, s8, v15
	v_mul_u32_u24_e32 v9, 0x210, v12
	v_add_u32_e32 v8, 8, v12
	v_add_u32_e32 v10, 16, v12
	;; [unrolled: 1-line block ×4, first 2 shown]
	s_waitcnt vmcnt(0) lgkmcnt(0)
	ds_write2_b64 v20, v[16:17], v[18:19] offset1:1
	s_cbranch_execz .LBB193_74
	s_branch .LBB193_91
.LBB193_70:
	ds_read_b128 v[18:21], v7
	v_lshl_add_u32 v10, v13, 4, v43
	s_waitcnt lgkmcnt(0)
	ds_write_b128 v10, v[18:21]
	s_or_b64 exec, exec, s[0:1]
	s_and_saveexec_b64 s[0:1], s[8:9]
	s_cbranch_execz .LBB193_63
.LBB193_71:
	ds_read_b128 v[18:21], v15
	v_lshl_add_u32 v10, v13, 4, v43
	s_waitcnt lgkmcnt(0)
	ds_write_b128 v10, v[18:21] offset:16
	s_or_b64 exec, exec, s[0:1]
	s_and_saveexec_b64 s[0:1], s[10:11]
	s_cbranch_execz .LBB193_64
.LBB193_72:
	ds_read_b128 v[18:21], v5
	v_lshl_add_u32 v10, v13, 4, v43
	s_waitcnt lgkmcnt(0)
	ds_write_b128 v10, v[18:21] offset:32
	s_or_b64 exec, exec, s[0:1]
	s_and_saveexec_b64 s[0:1], s[12:13]
	s_cbranch_execnz .LBB193_65
	s_branch .LBB193_66
.LBB193_73:
                                        ; implicit-def: $vgpr9
                                        ; implicit-def: $vgpr8
                                        ; implicit-def: $vgpr7
                                        ; implicit-def: $vgpr10
                                        ; implicit-def: $vgpr5
                                        ; implicit-def: $vgpr11
                                        ; implicit-def: $vgpr15
.LBB193_74:
	v_or_b32_e32 v5, 32, v6
	v_lshlrev_b32_e32 v6, 4, v5
	v_sub_co_u32_e32 v6, vcc, v40, v6
	s_ashr_i32 s25, s24, 31
	s_nop 0
	v_subbrev_co_u32_e32 v7, vcc, 0, v41, vcc
	v_lshl_add_u64 v[6:7], s[24:25], 4, v[6:7]
	v_lshl_add_u64 v[6:7], v[6:7], 0, -16
	v_cmp_gt_i32_e32 vcc, s24, v5
	s_movk_i32 s8, 0x210
	v_cmp_le_i32_e64 s[0:1], s24, v12
	v_cndmask_b32_e32 v7, v7, v41, vcc
	v_cndmask_b32_e32 v6, v6, v40, vcc
	v_mad_u32_u24 v5, v12, s8, v4
	s_and_saveexec_b64 s[8:9], s[0:1]
	s_xor_b64 s[0:1], exec, s[8:9]
; %bb.75:
	v_mov_b32_e32 v8, 0
	v_mov_b32_e32 v9, v8
	;; [unrolled: 1-line block ×4, first 2 shown]
	ds_write_b128 v5, v[8:11]
                                        ; implicit-def: $vgpr5
; %bb.76:
	s_andn2_saveexec_b64 s[0:1], s[0:1]
	s_cbranch_execz .LBB193_78
; %bb.77:
	flat_load_dwordx4 v[8:11], v[6:7]
	s_waitcnt vmcnt(0) lgkmcnt(0)
	ds_write2_b64 v5, v[8:9], v[10:11] offset1:1
.LBB193_78:
	s_or_b64 exec, exec, s[0:1]
	v_add_u32_e32 v8, 8, v12
	v_mul_u32_u24_e32 v9, 0x210, v12
	v_cmp_le_i32_e64 s[0:1], s24, v8
	s_and_saveexec_b64 s[8:9], s[0:1]
	s_xor_b64 s[0:1], exec, s[8:9]
	s_cbranch_execz .LBB193_80
; %bb.79:
	v_mov_b32_e32 v16, 0
	v_add_u32_e32 v5, v9, v4
	v_mov_b32_e32 v17, v16
	v_mov_b32_e32 v18, v16
	;; [unrolled: 1-line block ×3, first 2 shown]
	ds_write_b128 v5, v[16:19] offset:4224
.LBB193_80:
	s_andn2_saveexec_b64 s[0:1], s[0:1]
	s_cbranch_execz .LBB193_82
; %bb.81:
	s_lshl_b32 s8, s26, 3
	s_ashr_i32 s9, s8, 31
	v_lshl_add_u64 v[10:11], s[8:9], 4, v[6:7]
	flat_load_dwordx4 v[16:19], v[10:11]
	s_movk_i32 s8, 0x1080
	v_add3_u32 v5, v9, v4, s8
	s_waitcnt vmcnt(0) lgkmcnt(0)
	ds_write2_b64 v5, v[16:17], v[18:19] offset1:1
.LBB193_82:
	s_or_b64 exec, exec, s[0:1]
	v_add_u32_e32 v10, 16, v12
	v_cmp_le_i32_e64 s[0:1], s24, v10
	s_and_saveexec_b64 s[8:9], s[0:1]
	s_xor_b64 s[0:1], exec, s[8:9]
	s_cbranch_execz .LBB193_84
; %bb.83:
	v_mov_b32_e32 v16, 0
	v_add_u32_e32 v5, v9, v4
	v_mov_b32_e32 v17, v16
	v_mov_b32_e32 v18, v16
	;; [unrolled: 1-line block ×3, first 2 shown]
	ds_write_b128 v5, v[16:19] offset:8448
.LBB193_84:
	s_andn2_saveexec_b64 s[0:1], s[0:1]
	s_cbranch_execz .LBB193_86
; %bb.85:
	s_lshl_b32 s8, s26, 4
	s_ashr_i32 s9, s8, 31
	v_lshl_add_u64 v[16:17], s[8:9], 4, v[6:7]
	flat_load_dwordx4 v[16:19], v[16:17]
	s_movk_i32 s8, 0x2100
	v_add3_u32 v5, v9, v4, s8
	s_waitcnt vmcnt(0) lgkmcnt(0)
	ds_write2_b64 v5, v[16:17], v[18:19] offset1:1
.LBB193_86:
	s_or_b64 exec, exec, s[0:1]
	v_add_u32_e32 v11, 24, v12
	v_cmp_le_i32_e64 s[0:1], s24, v11
                                        ; implicit-def: $vgpr15
	s_and_saveexec_b64 s[8:9], s[0:1]
	s_xor_b64 s[0:1], exec, s[8:9]
	s_cbranch_execz .LBB193_88
; %bb.87:
	v_add_u32_e32 v15, 0x3180, v9
	v_mov_b32_e32 v16, 0
	v_add_u32_e32 v5, v4, v15
	v_mov_b32_e32 v17, v16
	v_mov_b32_e32 v18, v16
	;; [unrolled: 1-line block ×3, first 2 shown]
	ds_write_b128 v5, v[16:19]
.LBB193_88:
	s_andn2_saveexec_b64 s[0:1], s[0:1]
	s_cbranch_execz .LBB193_90
; %bb.89:
	s_mul_i32 s8, s26, 24
	s_ashr_i32 s9, s8, 31
	v_lshl_add_u64 v[16:17], s[8:9], 4, v[6:7]
	flat_load_dwordx4 v[16:19], v[16:17]
	v_add_u32_e32 v15, 0x3180, v9
	v_add_u32_e32 v5, v4, v15
	s_waitcnt vmcnt(0) lgkmcnt(0)
	ds_write2_b64 v5, v[16:17], v[18:19] offset1:1
.LBB193_90:
	s_or_b64 exec, exec, s[0:1]
	v_mov_b32_e32 v5, 0
	v_lshl_add_u64 v[6:7], v[6:7], 0, v[4:5]
	s_lshl_b64 s[0:1], s[24:25], 4
	v_mov_b32_e32 v5, s1
	v_subrev_co_u32_e64 v6, s[0:1], s0, v6
	s_nop 1
	v_subb_co_u32_e64 v7, s[0:1], v7, v5, s[0:1]
	s_mov_b64 s[0:1], 0x210
	s_nop 0
	v_lshl_add_u64 v[6:7], v[6:7], 0, s[0:1]
	v_cndmask_b32_e32 v41, v7, v41, vcc
	v_cndmask_b32_e32 v40, v6, v40, vcc
	v_add_u32_e32 v7, 0x1080, v9
	v_add_u32_e32 v5, 0x2100, v9
.LBB193_91:
	v_add_u32_e32 v6, v4, v9
	v_lshlrev_b32_e32 v9, 4, v12
	s_waitcnt lgkmcnt(0)
	s_barrier
	ds_read_b128 v[20:23], v9 offset:18176
	ds_read_b128 v[24:27], v6
	v_add_u32_e32 v6, v4, v7
	v_lshlrev_b32_e32 v7, 4, v8
	ds_read_b128 v[46:49], v7 offset:18176
	ds_read_b128 v[50:53], v6
	v_lshlrev_b32_e32 v10, 4, v10
	v_add_u32_e32 v5, v4, v5
	ds_read_b128 v[54:57], v10 offset:18176
	ds_read_b128 v[58:61], v5
	v_lshlrev_b32_e32 v5, 4, v11
	s_waitcnt lgkmcnt(4)
	v_mul_f64 v[6:7], v[22:23], v[26:27]
	v_add_u32_e32 v4, v4, v15
	ds_read_b128 v[62:65], v5 offset:18176
	ds_read2_b64 v[66:69], v4 offset1:1
	v_fma_f64 v[6:7], v[20:21], v[24:25], -v[6:7]
	s_waitcnt lgkmcnt(4)
	v_mul_f64 v[8:9], v[48:49], v[52:53]
	v_add_f64 v[6:7], v[6:7], 0
	v_fma_f64 v[8:9], v[46:47], v[50:51], -v[8:9]
	v_add_f64 v[4:5], v[6:7], v[8:9]
	s_waitcnt lgkmcnt(2)
	v_mul_f64 v[6:7], v[56:57], v[60:61]
	v_fma_f64 v[6:7], v[54:55], v[58:59], -v[6:7]
	v_add_f64 v[4:5], v[4:5], v[6:7]
	s_waitcnt lgkmcnt(0)
	v_mul_f64 v[6:7], v[64:65], v[68:69]
	v_fma_f64 v[6:7], v[62:63], v[66:67], -v[6:7]
	v_add_f64 v[70:71], v[4:5], v[6:7]
	v_lshl_add_u32 v4, v13, 4, v43
	v_mul_f64 v[72:73], v[20:21], v[26:27]
	ds_read_b128 v[28:31], v4
	ds_read_b128 v[16:19], v4 offset:16
	ds_read_b128 v[8:11], v4 offset:32
	;; [unrolled: 1-line block ×3, first 2 shown]
	v_fmac_f64_e32 v[72:73], v[22:23], v[24:25]
	v_mul_f64 v[46:47], v[46:47], v[52:53]
	v_fmac_f64_e32 v[46:47], v[48:49], v[50:51]
	v_add_f64 v[48:49], v[72:73], 0
	ds_read_b128 v[32:35], v14 offset:512
	ds_read_b128 v[24:27], v14 offset:528
	;; [unrolled: 1-line block ×4, first 2 shown]
	v_add_f64 v[46:47], v[48:49], v[46:47]
	v_mul_f64 v[48:49], v[54:55], v[60:61]
	v_fmac_f64_e32 v[48:49], v[56:57], v[58:59]
	v_add_f64 v[46:47], v[46:47], v[48:49]
	v_mul_f64 v[48:49], v[62:63], v[68:69]
	v_fmac_f64_e32 v[48:49], v[64:65], v[66:67]
	v_add_f64 v[72:73], v[46:47], v[48:49]
	s_waitcnt lgkmcnt(0)
	s_barrier
	ds_write_b128 v44, v[70:73]
	s_waitcnt lgkmcnt(0)
	s_barrier
	s_and_saveexec_b64 s[0:1], s[6:7]
	s_cbranch_execz .LBB193_93
; %bb.92:
	ds_read_b128 v[46:49], v43
	ds_read_b128 v[50:53], v43 offset:16
	ds_read_b128 v[54:57], v43 offset:32
	;; [unrolled: 1-line block ×3, first 2 shown]
	s_waitcnt lgkmcnt(3)
	v_add_f64 v[0:1], v[0:1], v[46:47]
	v_add_f64 v[2:3], v[2:3], v[48:49]
	s_waitcnt lgkmcnt(2)
	v_add_f64 v[0:1], v[0:1], v[50:51]
	v_add_f64 v[46:47], v[2:3], v[52:53]
	s_waitcnt lgkmcnt(1)
	v_add_f64 v[48:49], v[0:1], v[54:55]
	ds_read_b128 v[0:3], v43 offset:64
	v_add_f64 v[46:47], v[46:47], v[56:57]
	s_waitcnt lgkmcnt(1)
	v_add_f64 v[50:51], v[48:49], v[58:59]
	v_add_f64 v[54:55], v[46:47], v[60:61]
	ds_read_b128 v[46:49], v43 offset:80
	s_waitcnt lgkmcnt(1)
	v_add_f64 v[56:57], v[50:51], v[0:1]
	ds_read_b128 v[50:53], v43 offset:96
	v_add_f64 v[54:55], v[54:55], v[2:3]
	ds_read_b128 v[0:3], v43 offset:112
	s_waitcnt lgkmcnt(2)
	v_add_f64 v[46:47], v[56:57], v[46:47]
	v_add_f64 v[48:49], v[54:55], v[48:49]
	s_waitcnt lgkmcnt(1)
	v_add_f64 v[46:47], v[46:47], v[50:51]
	v_add_f64 v[48:49], v[48:49], v[52:53]
	;; [unrolled: 3-line block ×3, first 2 shown]
.LBB193_93:
	s_or_b64 exec, exec, s[0:1]
	v_mul_f64 v[46:47], v[30:31], v[34:35]
	v_fma_f64 v[46:47], v[28:29], v[32:33], -v[46:47]
	v_mul_f64 v[28:29], v[28:29], v[34:35]
	v_fmac_f64_e32 v[28:29], v[30:31], v[32:33]
	v_mul_f64 v[32:33], v[18:19], v[26:27]
	v_fma_f64 v[32:33], v[16:17], v[24:25], -v[32:33]
	v_mul_f64 v[16:17], v[16:17], v[26:27]
	v_fmac_f64_e32 v[16:17], v[18:19], v[24:25]
	v_mul_f64 v[24:25], v[10:11], v[22:23]
	v_add_f64 v[28:29], v[28:29], 0
	v_fma_f64 v[24:25], v[8:9], v[20:21], -v[24:25]
	v_mul_f64 v[8:9], v[8:9], v[22:23]
	v_add_f64 v[30:31], v[46:47], 0
	v_add_f64 v[16:17], v[28:29], v[16:17]
	v_fmac_f64_e32 v[8:9], v[10:11], v[20:21]
	v_add_f64 v[18:19], v[30:31], v[32:33]
	v_add_f64 v[8:9], v[16:17], v[8:9]
	v_mul_f64 v[16:17], v[6:7], v[14:15]
	v_mul_f64 v[14:15], v[4:5], v[14:15]
	v_add_f64 v[10:11], v[18:19], v[24:25]
	v_fma_f64 v[16:17], v[4:5], v[12:13], -v[16:17]
	v_fmac_f64_e32 v[14:15], v[6:7], v[12:13]
	v_add_f64 v[4:5], v[10:11], v[16:17]
	v_add_f64 v[6:7], v[8:9], v[14:15]
	s_barrier
	ds_write_b128 v44, v[4:7]
	s_waitcnt lgkmcnt(0)
	s_barrier
	s_and_saveexec_b64 s[0:1], s[4:5]
	s_cbranch_execz .LBB193_95
; %bb.94:
	ds_read_b128 v[4:7], v43
	ds_read_b128 v[8:11], v43 offset:16
	ds_read_b128 v[12:15], v43 offset:32
	;; [unrolled: 1-line block ×3, first 2 shown]
	s_waitcnt lgkmcnt(3)
	v_add_f64 v[0:1], v[0:1], v[4:5]
	v_add_f64 v[2:3], v[2:3], v[6:7]
	s_waitcnt lgkmcnt(2)
	v_add_f64 v[0:1], v[0:1], v[8:9]
	v_add_f64 v[4:5], v[2:3], v[10:11]
	s_waitcnt lgkmcnt(1)
	v_add_f64 v[6:7], v[0:1], v[12:13]
	ds_read_b128 v[0:3], v43 offset:64
	v_add_f64 v[4:5], v[4:5], v[14:15]
	s_waitcnt lgkmcnt(1)
	v_add_f64 v[8:9], v[6:7], v[16:17]
	v_add_f64 v[12:13], v[4:5], v[18:19]
	ds_read_b128 v[4:7], v43 offset:80
	s_waitcnt lgkmcnt(1)
	v_add_f64 v[14:15], v[8:9], v[0:1]
	ds_read_b128 v[8:11], v43 offset:96
	v_add_f64 v[12:13], v[12:13], v[2:3]
	ds_read_b128 v[0:3], v43 offset:112
	s_waitcnt lgkmcnt(2)
	v_add_f64 v[4:5], v[14:15], v[4:5]
	v_add_f64 v[6:7], v[12:13], v[6:7]
	s_waitcnt lgkmcnt(1)
	v_add_f64 v[4:5], v[4:5], v[8:9]
	v_add_f64 v[6:7], v[6:7], v[10:11]
	;; [unrolled: 3-line block ×3, first 2 shown]
.LBB193_95:
	s_or_b64 exec, exec, s[0:1]
	s_mul_hi_u32 s0, s21, s20
	s_mul_i32 s40, s40, s20
	s_add_i32 s0, s0, s40
	s_mul_i32 s4, s21, s20
	s_mul_i32 s0, s0, s33
	s_mul_hi_u32 s1, s4, s33
	s_add_i32 s1, s1, s0
	s_mul_i32 s0, s4, s33
	s_lshl_b64 s[0:1], s[0:1], 4
	s_add_u32 s4, s22, s0
	s_mul_i32 s0, s21, s2
	s_addc_u32 s5, s23, s1
	s_ashr_i32 s1, s0, 31
	s_lshl_b64 s[0:1], s[0:1], 4
	s_add_u32 s6, s4, s0
	v_cmp_le_i32_e32 vcc, s24, v150
	s_addc_u32 s7, s5, s1
	s_and_b64 vcc, s[34:35], vcc
	s_cmp_lt_i32 s2, 1
	v_lshlrev_b32_e32 v156, 4, v150
	s_barrier
	s_cbranch_scc1 .LBB193_102
; %bb.96:
	s_mul_i32 s0, s3, s28
	s_ashr_i32 s1, s0, 31
	s_lshl_b64 s[0:1], s[0:1], 4
	v_mov_b32_e32 v4, s1
	v_subrev_co_u32_e64 v152, s[0:1], s0, v36
	v_lshlrev_b64 v[6:7], 4, v[38:39]
	s_nop 0
	v_subb_co_u32_e64 v153, s[0:1], v37, v4, s[0:1]
	s_lshl_b64 s[0:1], s[30:31], 4
	s_nop 0
	v_mov_b32_e32 v5, s1
	v_subrev_co_u32_e64 v4, s[0:1], s0, v40
	s_ashr_i32 s25, s24, 31
	s_nop 0
	v_subb_co_u32_e64 v5, s[0:1], v41, v5, s[0:1]
	s_movk_i32 s0, 0xfe00
	s_mov_b32 s1, -1
	v_lshl_add_u64 v[4:5], v[4:5], 0, s[0:1]
	v_sub_co_u32_e64 v4, s[0:1], v4, v6
	v_mul_lo_u32 v6, v149, s26
	v_lshl_add_u32 v6, v6, 2, v150
	v_subb_co_u32_e64 v5, s[0:1], v5, v7, s[0:1]
	v_ashrrev_i32_e32 v7, 31, v6
	v_lshl_add_u64 v[4:5], v[6:7], 4, v[4:5]
	v_sub_co_u32_e64 v6, s[0:1], v4, v156
	v_lshrrev_b32_e32 v10, 4, v42
	s_nop 0
	v_subbrev_co_u32_e64 v7, s[0:1], 0, v5, s[0:1]
	v_lshl_add_u64 v[6:7], s[24:25], 4, v[6:7]
	v_lshl_add_u64 v[6:7], v[6:7], 0, -16
	v_cndmask_b32_e32 v9, v5, v7, vcc
	v_cndmask_b32_e32 v8, v4, v6, vcc
	v_mov_b32_e32 v4, 0x4300
	s_movk_i32 s0, 0x10c0
	v_and_b32_e32 v5, 48, v150
	v_and_b32_e32 v11, 15, v150
	v_lshl_add_u32 v158, v149, 6, v4
	v_mad_u32_u24 v160, v149, s0, v156
	v_lshlrev_b32_e32 v4, 6, v10
	s_movk_i32 s0, 0x430
	v_lshlrev_b32_e32 v5, 4, v5
	v_mad_u32_u24 v161, v11, s0, v4
	v_mul_i32_i24_e32 v4, 0xffffffd0, v10
	v_mad_u32_u24 v162, v11, s0, v5
	v_or_b32_e32 v5, 0xf0, v156
	s_ashr_i32 s27, s26, 31
	v_mov_b32_e32 v151, 0
	s_lshl_b32 s3, s3, 6
	v_add_u32_e32 v157, 0x4300, v156
	v_add_u32_e32 v159, 0x4700, v156
	v_cmp_gt_u32_e64 s[4:5], 64, v42
	v_mad_u32_u24 v163, v11, s0, v5
	s_lshl_b64 s[0:1], s[26:27], 4
	s_mul_hi_i32 s9, s26, 0xd0
	s_mul_i32 s8, s26, 0xd0
	s_mov_b32 s10, 0
	v_add_u32_e32 v164, v161, v4
	s_branch .LBB193_98
.LBB193_97:                             ;   in Loop: Header=BB193_98 Depth=1
	s_or_b64 exec, exec, s[12:13]
	v_mul_f64 v[132:133], v[6:7], v[34:35]
	v_fma_f64 v[132:133], v[4:5], v[32:33], -v[132:133]
	v_mul_f64 v[4:5], v[4:5], v[34:35]
	v_mul_f64 v[34:35], v[10:11], v[30:31]
	v_add_f64 v[0:1], v[0:1], v[132:133]
	v_fma_f64 v[34:35], v[8:9], v[28:29], -v[34:35]
	v_mul_f64 v[8:9], v[8:9], v[30:31]
	v_mul_f64 v[30:31], v[14:15], v[26:27]
	v_add_f64 v[0:1], v[0:1], v[34:35]
	v_fma_f64 v[30:31], v[12:13], v[24:25], -v[30:31]
	v_mul_f64 v[12:13], v[12:13], v[26:27]
	v_mul_f64 v[26:27], v[18:19], v[22:23]
	v_fmac_f64_e32 v[4:5], v[6:7], v[32:33]
	v_add_f64 v[0:1], v[0:1], v[30:31]
	v_fma_f64 v[26:27], v[16:17], v[20:21], -v[26:27]
	v_add_f64 v[2:3], v[2:3], v[4:5]
	v_mul_f64 v[4:5], v[38:39], v[70:71]
	v_add_f64 v[0:1], v[0:1], v[26:27]
	v_fma_f64 v[4:5], v[36:37], v[68:69], -v[4:5]
	v_add_f64 v[0:1], v[0:1], v[4:5]
	v_mul_f64 v[4:5], v[42:43], v[66:67]
	v_fma_f64 v[4:5], v[40:41], v[64:65], -v[4:5]
	v_add_f64 v[0:1], v[0:1], v[4:5]
	v_mul_f64 v[4:5], v[46:47], v[58:59]
	;; [unrolled: 3-line block ×4, first 2 shown]
	v_fmac_f64_e32 v[8:9], v[10:11], v[28:29]
	v_fma_f64 v[4:5], v[60:61], v[108:109], -v[4:5]
	v_mul_f64 v[16:17], v[16:17], v[22:23]
	v_add_f64 v[2:3], v[2:3], v[8:9]
	v_fmac_f64_e32 v[12:13], v[14:15], v[24:25]
	v_add_f64 v[0:1], v[0:1], v[4:5]
	v_mul_f64 v[4:5], v[74:75], v[106:107]
	v_add_f64 v[2:3], v[2:3], v[12:13]
	v_fmac_f64_e32 v[16:17], v[18:19], v[20:21]
	v_mul_f64 v[6:7], v[36:37], v[70:71]
	v_fma_f64 v[4:5], v[72:73], v[104:105], -v[4:5]
	v_add_f64 v[2:3], v[2:3], v[16:17]
	v_mul_f64 v[8:9], v[40:41], v[66:67]
	v_fmac_f64_e32 v[6:7], v[38:39], v[68:69]
	v_add_f64 v[0:1], v[0:1], v[4:5]
	v_mul_f64 v[4:5], v[78:79], v[98:99]
	v_mul_f64 v[10:11], v[44:45], v[58:59]
	v_add_f64 v[2:3], v[2:3], v[6:7]
	v_fmac_f64_e32 v[8:9], v[42:43], v[64:65]
	v_fma_f64 v[4:5], v[76:77], v[96:97], -v[4:5]
	v_mul_f64 v[12:13], v[48:49], v[54:55]
	v_add_f64 v[2:3], v[2:3], v[8:9]
	v_fmac_f64_e32 v[10:11], v[46:47], v[56:57]
	v_add_f64 v[0:1], v[0:1], v[4:5]
	v_mul_f64 v[4:5], v[82:83], v[86:87]
	v_add_f64 v[2:3], v[2:3], v[10:11]
	v_fmac_f64_e32 v[12:13], v[50:51], v[52:53]
	v_mul_f64 v[6:7], v[60:61], v[110:111]
	v_fma_f64 v[4:5], v[80:81], v[84:85], -v[4:5]
	v_add_f64 v[2:3], v[2:3], v[12:13]
	v_mul_f64 v[8:9], v[72:73], v[106:107]
	v_add_f64 v[0:1], v[0:1], v[4:5]
	v_fmac_f64_e32 v[6:7], v[62:63], v[108:109]
	v_mul_f64 v[4:5], v[90:91], v[118:119]
	v_mul_f64 v[10:11], v[76:77], v[98:99]
	v_add_f64 v[2:3], v[2:3], v[6:7]
	v_fmac_f64_e32 v[8:9], v[74:75], v[104:105]
	v_fma_f64 v[4:5], v[88:89], v[116:117], -v[4:5]
	v_mul_f64 v[12:13], v[80:81], v[86:87]
	v_add_f64 v[2:3], v[2:3], v[8:9]
	v_fmac_f64_e32 v[10:11], v[78:79], v[96:97]
	v_add_f64 v[0:1], v[0:1], v[4:5]
	v_mul_f64 v[4:5], v[94:95], v[122:123]
	v_add_f64 v[2:3], v[2:3], v[10:11]
	v_fmac_f64_e32 v[12:13], v[82:83], v[84:85]
	v_mul_f64 v[6:7], v[88:89], v[118:119]
	v_fma_f64 v[4:5], v[92:93], v[120:121], -v[4:5]
	v_add_f64 v[2:3], v[2:3], v[12:13]
	v_mul_f64 v[8:9], v[92:93], v[122:123]
	v_add_f64 v[0:1], v[0:1], v[4:5]
	v_mul_f64 v[4:5], v[102:103], v[126:127]
	v_fmac_f64_e32 v[6:7], v[90:91], v[116:117]
	v_fma_f64 v[4:5], v[100:101], v[124:125], -v[4:5]
	v_mul_f64 v[10:11], v[100:101], v[126:127]
	v_fmac_f64_e32 v[8:9], v[94:95], v[120:121]
	v_add_f64 v[2:3], v[2:3], v[6:7]
	v_add_f64 v[0:1], v[0:1], v[4:5]
	v_mul_f64 v[4:5], v[114:115], v[130:131]
	v_mul_f64 v[12:13], v[112:113], v[130:131]
	v_fmac_f64_e32 v[10:11], v[102:103], v[124:125]
	v_add_f64 v[2:3], v[2:3], v[8:9]
	v_fma_f64 v[4:5], v[112:113], v[128:129], -v[4:5]
	v_fmac_f64_e32 v[12:13], v[114:115], v[128:129]
	v_add_f64 v[2:3], v[2:3], v[10:11]
	s_add_i32 s2, s2, -1
	s_add_i32 s10, s10, s3
	v_add_f64 v[0:1], v[0:1], v[4:5]
	v_add_f64 v[2:3], v[2:3], v[12:13]
	v_add_u32_e32 v150, 64, v150
	s_cmp_eq_u32 s2, 0
	v_lshl_add_u64 v[8:9], v[154:155], 0, s[8:9]
	s_barrier
	s_cbranch_scc1 .LBB193_102
.LBB193_98:                             ; =>This Inner Loop Header: Depth=1
	s_and_saveexec_b64 s[12:13], s[18:19]
	s_cbranch_execz .LBB193_100
; %bb.99:                               ;   in Loop: Header=BB193_98 Depth=1
	s_ashr_i32 s11, s10, 31
	v_lshl_add_u64 v[4:5], s[10:11], 4, v[152:153]
	flat_load_dwordx4 v[4:7], v[4:5]
	s_waitcnt vmcnt(0) lgkmcnt(0)
	ds_write2_b64 v157, v[4:5], v[6:7] offset1:1
.LBB193_100:                            ;   in Loop: Header=BB193_98 Depth=1
	s_or_b64 exec, exec, s[12:13]
	s_waitcnt lgkmcnt(0)
	s_barrier
	flat_load_dwordx4 v[4:7], v[8:9]
	v_lshl_add_u64 v[12:13], v[8:9], 0, s[0:1]
	flat_load_dwordx4 v[8:11], v[12:13]
	v_lshl_add_u64 v[16:17], v[12:13], 0, s[0:1]
	;; [unrolled: 2-line block ×3, first 2 shown]
	flat_load_dwordx4 v[16:19], v[40:41]
	ds_read_b128 v[36:39], v159
	ds_read_b128 v[32:35], v158
	ds_read_b128 v[28:31], v158 offset:16
	ds_read_b128 v[24:27], v158 offset:32
	;; [unrolled: 1-line block ×3, first 2 shown]
	v_lshl_add_u64 v[48:49], v[40:41], 0, s[8:9]
	s_waitcnt vmcnt(0) lgkmcnt(0)
	v_mul_f64 v[40:41], v[6:7], v[38:39]
	v_mul_f64 v[42:43], v[4:5], v[38:39]
	v_fma_f64 v[40:41], v[4:5], v[36:37], -v[40:41]
	v_fmac_f64_e32 v[42:43], v[6:7], v[36:37]
	v_mul_f64 v[46:47], v[10:11], v[38:39]
	v_mul_f64 v[44:45], v[8:9], v[38:39]
	ds_write_b128 v160, v[40:43]
	v_fma_f64 v[42:43], v[8:9], v[36:37], -v[46:47]
	v_fmac_f64_e32 v[44:45], v[10:11], v[36:37]
	v_mul_f64 v[40:41], v[14:15], v[38:39]
	v_mul_f64 v[46:47], v[12:13], v[38:39]
	ds_write_b128 v160, v[42:45] offset:1072
	v_fma_f64 v[44:45], v[12:13], v[36:37], -v[40:41]
	v_fmac_f64_e32 v[46:47], v[14:15], v[36:37]
	v_mul_f64 v[42:43], v[18:19], v[38:39]
	v_mul_f64 v[40:41], v[16:17], v[38:39]
	ds_write_b128 v160, v[44:47] offset:2144
	v_fma_f64 v[38:39], v[16:17], v[36:37], -v[42:43]
	v_fmac_f64_e32 v[40:41], v[18:19], v[36:37]
	v_lshl_add_u64 v[44:45], v[48:49], 0, s[0:1]
	ds_write_b128 v160, v[38:41] offset:3216
	s_waitcnt lgkmcnt(0)
	s_barrier
	ds_read_b128 v[128:131], v161
	ds_read_b128 v[124:127], v161 offset:16
	ds_read_b128 v[120:123], v161 offset:32
	;; [unrolled: 1-line block ×3, first 2 shown]
	s_waitcnt lgkmcnt(0)
	s_barrier
	flat_load_dwordx4 v[36:39], v[48:49]
	flat_load_dwordx4 v[40:43], v[44:45]
	v_lshl_add_u64 v[48:49], v[44:45], 0, s[0:1]
	v_lshl_add_u64 v[52:53], v[48:49], 0, s[0:1]
	flat_load_dwordx4 v[44:47], v[48:49]
	v_lshl_add_u64 v[88:89], v[52:53], 0, s[8:9]
	flat_load_dwordx4 v[48:51], v[52:53]
	ds_read_b128 v[60:63], v159
	ds_read_b128 v[68:71], v158 offset:256
	ds_read_b128 v[64:67], v158 offset:272
	;; [unrolled: 1-line block ×4, first 2 shown]
	v_add_f64 v[128:129], v[128:129], 0
	v_add_f64 v[130:131], v[130:131], 0
	;; [unrolled: 1-line block ×8, first 2 shown]
	s_waitcnt vmcnt(0) lgkmcnt(0)
	v_mul_f64 v[72:73], v[38:39], v[62:63]
	v_mul_f64 v[74:75], v[36:37], v[62:63]
	;; [unrolled: 1-line block ×8, first 2 shown]
	v_fma_f64 v[72:73], v[36:37], v[60:61], -v[72:73]
	v_fma_f64 v[76:77], v[40:41], v[60:61], -v[76:77]
	v_fmac_f64_e32 v[74:75], v[38:39], v[60:61]
	v_fma_f64 v[80:81], v[44:45], v[60:61], -v[80:81]
	v_fma_f64 v[84:85], v[48:49], v[60:61], -v[84:85]
	v_fmac_f64_e32 v[78:79], v[42:43], v[60:61]
	v_fmac_f64_e32 v[82:83], v[46:47], v[60:61]
	;; [unrolled: 1-line block ×3, first 2 shown]
	ds_write_b128 v160, v[72:75]
	ds_write_b128 v160, v[76:79] offset:1072
	ds_write_b128 v160, v[80:83] offset:2144
	;; [unrolled: 1-line block ×3, first 2 shown]
	v_lshl_add_u64 v[76:77], v[88:89], 0, s[0:1]
	v_lshl_add_u64 v[80:81], v[76:77], 0, s[0:1]
	s_waitcnt lgkmcnt(0)
	s_barrier
	ds_read_b128 v[144:147], v161
	ds_read_b128 v[140:143], v161 offset:16
	ds_read_b128 v[136:139], v161 offset:32
	;; [unrolled: 1-line block ×3, first 2 shown]
	s_waitcnt lgkmcnt(0)
	s_barrier
	flat_load_dwordx4 v[60:63], v[88:89]
	flat_load_dwordx4 v[72:75], v[76:77]
	v_lshl_add_u64 v[84:85], v[80:81], 0, s[0:1]
	flat_load_dwordx4 v[76:79], v[80:81]
	v_lshl_add_u64 v[94:95], v[84:85], 0, s[8:9]
	flat_load_dwordx4 v[80:83], v[84:85]
	ds_read_b128 v[88:91], v159
	ds_read_b128 v[108:111], v158 offset:512
	ds_read_b128 v[104:107], v158 offset:528
	ds_read_b128 v[96:99], v158 offset:544
	ds_read_b128 v[84:87], v158 offset:560
	v_add_f64 v[116:117], v[144:145], 0
	v_add_f64 v[118:119], v[146:147], 0
	;; [unrolled: 1-line block ×8, first 2 shown]
	s_waitcnt vmcnt(0) lgkmcnt(0)
	v_mul_f64 v[100:101], v[62:63], v[90:91]
	v_mul_f64 v[92:93], v[60:61], v[90:91]
	v_mul_f64 v[112:113], v[74:75], v[90:91]
	v_mul_f64 v[102:103], v[72:73], v[90:91]
	v_mul_f64 v[154:155], v[78:79], v[90:91]
	v_mul_f64 v[114:115], v[76:77], v[90:91]
	v_mul_f64 v[166:167], v[82:83], v[90:91]
	v_mul_f64 v[168:169], v[80:81], v[90:91]
	v_fma_f64 v[90:91], v[60:61], v[88:89], -v[100:101]
	v_fma_f64 v[100:101], v[72:73], v[88:89], -v[112:113]
	v_fmac_f64_e32 v[92:93], v[62:63], v[88:89]
	v_fma_f64 v[112:113], v[76:77], v[88:89], -v[154:155]
	v_fma_f64 v[166:167], v[80:81], v[88:89], -v[166:167]
	v_fmac_f64_e32 v[102:103], v[74:75], v[88:89]
	v_fmac_f64_e32 v[114:115], v[78:79], v[88:89]
	;; [unrolled: 1-line block ×3, first 2 shown]
	ds_write_b128 v160, v[90:93]
	ds_write_b128 v160, v[100:103] offset:1072
	ds_write_b128 v160, v[112:115] offset:2144
	;; [unrolled: 1-line block ×3, first 2 shown]
	v_lshl_add_u64 v[100:101], v[94:95], 0, s[0:1]
	v_lshl_add_u64 v[112:113], v[100:101], 0, s[0:1]
	s_waitcnt lgkmcnt(0)
	s_barrier
	ds_read_b128 v[166:169], v161
	ds_read_b128 v[170:173], v161 offset:16
	ds_read_b128 v[174:177], v161 offset:32
	;; [unrolled: 1-line block ×3, first 2 shown]
	s_waitcnt lgkmcnt(0)
	s_barrier
	flat_load_dwordx4 v[88:91], v[94:95]
	v_lshl_add_u64 v[154:155], v[112:113], 0, s[0:1]
	flat_load_dwordx4 v[92:95], v[100:101]
	v_add_f64 v[140:141], v[166:167], 0
	flat_load_dwordx4 v[100:103], v[112:113]
	v_add_f64 v[142:143], v[168:169], 0
	flat_load_dwordx4 v[112:115], v[154:155]
	ds_read_b128 v[136:139], v159
	ds_read_b128 v[116:119], v158 offset:768
	ds_read_b128 v[120:123], v158 offset:784
	;; [unrolled: 1-line block ×4, first 2 shown]
	v_add_f64 v[140:141], v[140:141], v[170:171]
	v_add_f64 v[142:143], v[142:143], v[172:173]
	;; [unrolled: 1-line block ×6, first 2 shown]
	s_waitcnt vmcnt(0) lgkmcnt(0)
	v_mul_f64 v[144:145], v[90:91], v[138:139]
	v_mul_f64 v[146:147], v[88:89], v[138:139]
	;; [unrolled: 1-line block ×8, first 2 shown]
	v_fma_f64 v[144:145], v[88:89], v[136:137], -v[144:145]
	v_fma_f64 v[166:167], v[92:93], v[136:137], -v[166:167]
	;; [unrolled: 1-line block ×3, first 2 shown]
	v_fmac_f64_e32 v[146:147], v[90:91], v[136:137]
	v_fmac_f64_e32 v[168:169], v[94:95], v[136:137]
	;; [unrolled: 1-line block ×3, first 2 shown]
	v_fma_f64 v[174:175], v[112:113], v[136:137], -v[174:175]
	v_fmac_f64_e32 v[176:177], v[114:115], v[136:137]
	ds_write_b128 v160, v[144:147]
	ds_write_b128 v160, v[166:169] offset:1072
	ds_write_b128 v160, v[170:173] offset:2144
	ds_write_b128 v160, v[174:177] offset:3216
	s_waitcnt lgkmcnt(0)
	s_barrier
	ds_read_b128 v[136:139], v161
	ds_read_b128 v[144:147], v161 offset:16
	ds_read_b128 v[166:169], v161 offset:32
	ds_read_b128 v[170:173], v161 offset:48
	s_waitcnt lgkmcnt(0)
	s_barrier
	ds_write_b128 v164, v[182:185]
	ds_write_b128 v164, v[132:135] offset:256
	ds_write_b128 v164, v[140:143] offset:512
	v_add_f64 v[132:133], v[136:137], 0
	v_add_f64 v[134:135], v[138:139], 0
	;; [unrolled: 1-line block ×8, first 2 shown]
	ds_write_b128 v164, v[132:135] offset:768
	s_waitcnt lgkmcnt(0)
	s_barrier
	s_and_saveexec_b64 s[12:13], s[4:5]
	s_cbranch_execz .LBB193_97
; %bb.101:                              ;   in Loop: Header=BB193_98 Depth=1
	ds_read_b128 v[132:135], v162
	ds_read_b128 v[136:139], v162 offset:16
	ds_read_b128 v[140:143], v162 offset:32
	;; [unrolled: 1-line block ×3, first 2 shown]
	s_waitcnt lgkmcnt(2)
	v_add_f64 v[132:133], v[136:137], v[132:133]
	v_add_f64 v[136:137], v[138:139], v[134:135]
	s_waitcnt lgkmcnt(1)
	v_add_f64 v[138:139], v[132:133], v[140:141]
	ds_read_b128 v[132:135], v162 offset:64
	v_add_f64 v[140:141], v[136:137], v[142:143]
	s_waitcnt lgkmcnt(1)
	v_add_f64 v[142:143], v[138:139], v[144:145]
	ds_read_b128 v[136:139], v162 offset:80
	;; [unrolled: 4-line block ×9, first 2 shown]
	v_add_f64 v[134:135], v[144:145], v[134:135]
	s_waitcnt lgkmcnt(1)
	v_add_f64 v[136:137], v[132:133], v[136:137]
	v_add_f64 v[144:145], v[134:135], v[138:139]
	ds_read_b128 v[132:135], v162 offset:208
	s_waitcnt lgkmcnt(1)
	v_add_f64 v[146:147], v[136:137], v[140:141]
	ds_read_b128 v[136:139], v162 offset:224
	v_add_f64 v[144:145], v[144:145], v[142:143]
	ds_read_b128 v[140:143], v163
	s_waitcnt lgkmcnt(2)
	v_add_f64 v[132:133], v[146:147], v[132:133]
	v_add_f64 v[134:135], v[144:145], v[134:135]
	s_waitcnt lgkmcnt(1)
	v_add_f64 v[132:133], v[132:133], v[136:137]
	v_add_f64 v[134:135], v[134:135], v[138:139]
	;; [unrolled: 3-line block ×3, first 2 shown]
	v_lshl_add_u64 v[136:137], v[150:151], 4, s[6:7]
	global_store_dwordx4 v[136:137], v[132:135], off
	s_branch .LBB193_97
.LBB193_102:
	s_movk_i32 s0, 0x430
	v_mad_u32_u24 v4, v149, s0, v156
	s_nor_b64 s[0:1], s[16:17], vcc
	ds_write_b128 v4, v[0:3]
	s_waitcnt lgkmcnt(0)
	s_barrier
	s_and_saveexec_b64 s[2:3], s[0:1]
	s_cbranch_execz .LBB193_104
; %bb.103:
	ds_read_b128 v[0:3], v156 offset:1072
	ds_read_b128 v[4:7], v156
	ds_read_b128 v[8:11], v156 offset:2144
	ds_read_b128 v[12:15], v156 offset:3216
	v_ashrrev_i32_e32 v149, 31, v148
	s_waitcnt lgkmcnt(2)
	v_add_f64 v[0:1], v[0:1], v[4:5]
	v_add_f64 v[2:3], v[2:3], v[6:7]
	s_waitcnt lgkmcnt(1)
	v_add_f64 v[0:1], v[0:1], v[8:9]
	v_add_f64 v[2:3], v[2:3], v[10:11]
	;; [unrolled: 3-line block ×3, first 2 shown]
	v_lshl_add_u64 v[4:5], v[148:149], 4, s[6:7]
	global_store_dwordx4 v[4:5], v[0:3], off
.LBB193_104:
	s_endpgm
	.section	.rodata,"a",@progbits
	.p2align	6, 0x0
	.amdhsa_kernel _ZL26rocblas_hemvn_kernel_lowerILb0ELi64ELi4ELi33ELi32ELi16EiPK19rocblas_complex_numIdEPKS3_PS1_EviT6_lT7_lT5_lS8_lS9_lS7_lT8_i
		.amdhsa_group_segment_fixed_size 19200
		.amdhsa_private_segment_fixed_size 0
		.amdhsa_kernarg_size 376
		.amdhsa_user_sgpr_count 2
		.amdhsa_user_sgpr_dispatch_ptr 0
		.amdhsa_user_sgpr_queue_ptr 0
		.amdhsa_user_sgpr_kernarg_segment_ptr 1
		.amdhsa_user_sgpr_dispatch_id 0
		.amdhsa_user_sgpr_kernarg_preload_length 0
		.amdhsa_user_sgpr_kernarg_preload_offset 0
		.amdhsa_user_sgpr_private_segment_size 0
		.amdhsa_uses_dynamic_stack 0
		.amdhsa_enable_private_segment 0
		.amdhsa_system_sgpr_workgroup_id_x 1
		.amdhsa_system_sgpr_workgroup_id_y 0
		.amdhsa_system_sgpr_workgroup_id_z 1
		.amdhsa_system_sgpr_workgroup_info 0
		.amdhsa_system_vgpr_workitem_id 1
		.amdhsa_next_free_vgpr 186
		.amdhsa_next_free_sgpr 41
		.amdhsa_accum_offset 188
		.amdhsa_reserve_vcc 1
		.amdhsa_float_round_mode_32 0
		.amdhsa_float_round_mode_16_64 0
		.amdhsa_float_denorm_mode_32 3
		.amdhsa_float_denorm_mode_16_64 3
		.amdhsa_dx10_clamp 1
		.amdhsa_ieee_mode 1
		.amdhsa_fp16_overflow 0
		.amdhsa_tg_split 0
		.amdhsa_exception_fp_ieee_invalid_op 0
		.amdhsa_exception_fp_denorm_src 0
		.amdhsa_exception_fp_ieee_div_zero 0
		.amdhsa_exception_fp_ieee_overflow 0
		.amdhsa_exception_fp_ieee_underflow 0
		.amdhsa_exception_fp_ieee_inexact 0
		.amdhsa_exception_int_div_zero 0
	.end_amdhsa_kernel
	.section	.text._ZL26rocblas_hemvn_kernel_lowerILb0ELi64ELi4ELi33ELi32ELi16EiPK19rocblas_complex_numIdEPKS3_PS1_EviT6_lT7_lT5_lS8_lS9_lS7_lT8_i,"axG",@progbits,_ZL26rocblas_hemvn_kernel_lowerILb0ELi64ELi4ELi33ELi32ELi16EiPK19rocblas_complex_numIdEPKS3_PS1_EviT6_lT7_lT5_lS8_lS9_lS7_lT8_i,comdat
.Lfunc_end193:
	.size	_ZL26rocblas_hemvn_kernel_lowerILb0ELi64ELi4ELi33ELi32ELi16EiPK19rocblas_complex_numIdEPKS3_PS1_EviT6_lT7_lT5_lS8_lS9_lS7_lT8_i, .Lfunc_end193-_ZL26rocblas_hemvn_kernel_lowerILb0ELi64ELi4ELi33ELi32ELi16EiPK19rocblas_complex_numIdEPKS3_PS1_EviT6_lT7_lT5_lS8_lS9_lS7_lT8_i
                                        ; -- End function
	.set _ZL26rocblas_hemvn_kernel_lowerILb0ELi64ELi4ELi33ELi32ELi16EiPK19rocblas_complex_numIdEPKS3_PS1_EviT6_lT7_lT5_lS8_lS9_lS7_lT8_i.num_vgpr, 186
	.set _ZL26rocblas_hemvn_kernel_lowerILb0ELi64ELi4ELi33ELi32ELi16EiPK19rocblas_complex_numIdEPKS3_PS1_EviT6_lT7_lT5_lS8_lS9_lS7_lT8_i.num_agpr, 0
	.set _ZL26rocblas_hemvn_kernel_lowerILb0ELi64ELi4ELi33ELi32ELi16EiPK19rocblas_complex_numIdEPKS3_PS1_EviT6_lT7_lT5_lS8_lS9_lS7_lT8_i.numbered_sgpr, 41
	.set _ZL26rocblas_hemvn_kernel_lowerILb0ELi64ELi4ELi33ELi32ELi16EiPK19rocblas_complex_numIdEPKS3_PS1_EviT6_lT7_lT5_lS8_lS9_lS7_lT8_i.num_named_barrier, 0
	.set _ZL26rocblas_hemvn_kernel_lowerILb0ELi64ELi4ELi33ELi32ELi16EiPK19rocblas_complex_numIdEPKS3_PS1_EviT6_lT7_lT5_lS8_lS9_lS7_lT8_i.private_seg_size, 0
	.set _ZL26rocblas_hemvn_kernel_lowerILb0ELi64ELi4ELi33ELi32ELi16EiPK19rocblas_complex_numIdEPKS3_PS1_EviT6_lT7_lT5_lS8_lS9_lS7_lT8_i.uses_vcc, 1
	.set _ZL26rocblas_hemvn_kernel_lowerILb0ELi64ELi4ELi33ELi32ELi16EiPK19rocblas_complex_numIdEPKS3_PS1_EviT6_lT7_lT5_lS8_lS9_lS7_lT8_i.uses_flat_scratch, 0
	.set _ZL26rocblas_hemvn_kernel_lowerILb0ELi64ELi4ELi33ELi32ELi16EiPK19rocblas_complex_numIdEPKS3_PS1_EviT6_lT7_lT5_lS8_lS9_lS7_lT8_i.has_dyn_sized_stack, 0
	.set _ZL26rocblas_hemvn_kernel_lowerILb0ELi64ELi4ELi33ELi32ELi16EiPK19rocblas_complex_numIdEPKS3_PS1_EviT6_lT7_lT5_lS8_lS9_lS7_lT8_i.has_recursion, 0
	.set _ZL26rocblas_hemvn_kernel_lowerILb0ELi64ELi4ELi33ELi32ELi16EiPK19rocblas_complex_numIdEPKS3_PS1_EviT6_lT7_lT5_lS8_lS9_lS7_lT8_i.has_indirect_call, 0
	.section	.AMDGPU.csdata,"",@progbits
; Kernel info:
; codeLenInByte = 8944
; TotalNumSgprs: 47
; NumVgprs: 186
; NumAgprs: 0
; TotalNumVgprs: 186
; ScratchSize: 0
; MemoryBound: 0
; FloatMode: 240
; IeeeMode: 1
; LDSByteSize: 19200 bytes/workgroup (compile time only)
; SGPRBlocks: 5
; VGPRBlocks: 23
; NumSGPRsForWavesPerEU: 47
; NumVGPRsForWavesPerEU: 186
; AccumOffset: 188
; Occupancy: 2
; WaveLimiterHint : 1
; COMPUTE_PGM_RSRC2:SCRATCH_EN: 0
; COMPUTE_PGM_RSRC2:USER_SGPR: 2
; COMPUTE_PGM_RSRC2:TRAP_HANDLER: 0
; COMPUTE_PGM_RSRC2:TGID_X_EN: 1
; COMPUTE_PGM_RSRC2:TGID_Y_EN: 0
; COMPUTE_PGM_RSRC2:TGID_Z_EN: 1
; COMPUTE_PGM_RSRC2:TIDIG_COMP_CNT: 1
; COMPUTE_PGM_RSRC3_GFX90A:ACCUM_OFFSET: 46
; COMPUTE_PGM_RSRC3_GFX90A:TG_SPLIT: 0
	.section	.text._ZL26rocblas_hemvn_kernel_lowerILb0ELi64ELi4ELi33ELi32ELi16El19rocblas_complex_numIdEPKPKS1_PS1_EviT6_lT7_lT5_lS8_lS9_lS7_lT8_i,"axG",@progbits,_ZL26rocblas_hemvn_kernel_lowerILb0ELi64ELi4ELi33ELi32ELi16El19rocblas_complex_numIdEPKPKS1_PS1_EviT6_lT7_lT5_lS8_lS9_lS7_lT8_i,comdat
	.globl	_ZL26rocblas_hemvn_kernel_lowerILb0ELi64ELi4ELi33ELi32ELi16El19rocblas_complex_numIdEPKPKS1_PS1_EviT6_lT7_lT5_lS8_lS9_lS7_lT8_i ; -- Begin function _ZL26rocblas_hemvn_kernel_lowerILb0ELi64ELi4ELi33ELi32ELi16El19rocblas_complex_numIdEPKPKS1_PS1_EviT6_lT7_lT5_lS8_lS9_lS7_lT8_i
	.p2align	8
	.type	_ZL26rocblas_hemvn_kernel_lowerILb0ELi64ELi4ELi33ELi32ELi16El19rocblas_complex_numIdEPKPKS1_PS1_EviT6_lT7_lT5_lS8_lS9_lS7_lT8_i,@function
_ZL26rocblas_hemvn_kernel_lowerILb0ELi64ELi4ELi33ELi32ELi16El19rocblas_complex_numIdEPKPKS1_PS1_EviT6_lT7_lT5_lS8_lS9_lS7_lT8_i: ; @_ZL26rocblas_hemvn_kernel_lowerILb0ELi64ELi4ELi33ELi32ELi16El19rocblas_complex_numIdEPKPKS1_PS1_EviT6_lT7_lT5_lS8_lS9_lS7_lT8_i
; %bb.0:
	s_load_dwordx2 s[4:5], s[0:1], 0x94
	s_add_u32 s8, s0, 0x88
	s_mov_b32 s26, s3
	s_addc_u32 s9, s1, 0
	s_waitcnt lgkmcnt(0)
	s_and_b32 s3, s5, 0xffff
	s_lshr_b32 s5, s4, 16
	s_and_b32 s4, s4, 0xffff
	s_mul_i32 s4, s5, s4
	s_mul_i32 s4, s4, s3
	s_cmpk_lg_i32 s4, 0x100
	s_cbranch_scc1 .LBB194_104
; %bb.1:
	s_load_dwordx4 s[4:7], s[0:1], 0x8
	s_waitcnt lgkmcnt(0)
	v_cmp_neq_f64_e64 s[4:5], s[4:5], 0
	v_cmp_neq_f64_e64 s[6:7], s[6:7], 0
	s_or_b64 s[6:7], s[4:5], s[6:7]
	s_mov_b64 s[4:5], -1
	s_and_b64 vcc, exec, s[6:7]
	s_cbranch_vccnz .LBB194_3
; %bb.2:
	s_load_dwordx4 s[4:7], s[0:1], 0x60
	s_waitcnt lgkmcnt(0)
	v_cmp_eq_f64_e64 s[4:5], s[4:5], 1.0
	v_cmp_eq_f64_e64 s[6:7], s[6:7], 0
	s_and_b64 s[4:5], s[4:5], s[6:7]
	s_andn2_b64 vcc, exec, s[4:5]
	s_mov_b64 s[4:5], 0
.LBB194_3:
	s_andn2_b64 vcc, exec, s[4:5]
	s_cbranch_vccnz .LBB194_104
; %bb.4:
	s_load_dword s3, s[0:1], 0x0
	s_load_dwordx4 s[4:7], s[0:1], 0x20
	s_load_dwordx2 s[24:25], s[0:1], 0x30
	s_load_dwordx4 s[12:15], s[0:1], 0x40
	s_mov_b32 s27, 0
	s_lshl_b64 s[10:11], s[26:27], 3
	s_waitcnt lgkmcnt(0)
	s_add_u32 s4, s4, s10
	s_addc_u32 s5, s5, s11
	s_add_u32 s12, s12, s10
	s_addc_u32 s13, s13, s11
	s_load_dwordx2 s[16:17], s[12:13], 0x0
	s_load_dword s27, s[8:9], 0x0
	s_load_dwordx2 s[22:23], s[0:1], 0x50
	s_load_dwordx2 s[10:11], s[4:5], 0x0
	s_lshl_b64 s[4:5], s[14:15], 4
	s_waitcnt lgkmcnt(0)
	s_add_u32 s4, s16, s4
	s_addc_u32 s5, s17, s5
	s_ashr_i32 s33, s3, 31
	s_lshr_b32 s9, s33, 26
	s_add_i32 s9, s3, s9
	v_and_b32_e32 v159, 0x3ff, v0
	s_lshl_b32 s30, s2, 6
	s_andn2_b32 s9, s9, 63
	s_add_i32 s8, s27, -1
	s_sub_i32 s9, s3, s9
	v_add_u32_e32 v148, s30, v159
	s_cmp_eq_u32 s2, s8
	v_ashrrev_i32_e32 v149, 31, v148
	v_bfe_u32 v158, v0, 10, 10
	s_cselect_b32 s28, s9, 0
	v_mul_lo_u32 v2, s22, v149
	v_mul_lo_u32 v3, s23, v148
	v_mad_u64_u32 v[0:1], s[8:9], s22, v148, 0
	v_add3_u32 v1, v1, v2, v3
	v_lshl_add_u64 v[36:37], v[0:1], 4, s[4:5]
	v_cmp_ne_u32_e64 s[4:5], 0, v158
	v_cmp_eq_u32_e64 s[18:19], 0, v158
	s_and_saveexec_b64 s[8:9], s[18:19]
	s_cbranch_execz .LBB194_9
; %bb.5:
	s_cmp_lg_u32 s28, 0
	s_cselect_b64 s[12:13], -1, 0
	v_cmp_le_i32_e32 vcc, s28, v159
	v_mov_b32_e32 v0, 0x4700
	s_and_b64 s[12:13], s[12:13], vcc
	v_lshl_add_u32 v0, v159, 4, v0
	s_and_saveexec_b64 s[14:15], s[12:13]
	s_xor_b64 s[12:13], exec, s[14:15]
; %bb.6:
	v_mov_b32_e32 v2, 0
	v_mov_b32_e32 v3, v2
	;; [unrolled: 1-line block ×4, first 2 shown]
	ds_write_b128 v0, v[2:5]
                                        ; implicit-def: $vgpr0
; %bb.7:
	s_andn2_saveexec_b64 s[12:13], s[12:13]
	s_cbranch_execz .LBB194_9
; %bb.8:
	flat_load_dwordx4 v[2:5], v[36:37]
	s_waitcnt vmcnt(0) lgkmcnt(0)
	ds_write2_b64 v0, v[2:3], v[4:5] offset1:1
.LBB194_9:
	s_or_b64 exec, exec, s[8:9]
	s_lshl_b64 s[6:7], s[6:7], 4
	s_add_u32 s8, s10, s6
	s_addc_u32 s9, s11, s7
	s_ashr_i32 s31, s30, 31
	v_lshl_add_u32 v42, v158, 6, v159
	s_lshl_b64 s[6:7], s[30:31], 4
	v_and_b32_e32 v4, 31, v159
	v_lshrrev_b32_e32 v12, 5, v42
	s_add_u32 s6, s8, s6
	v_mov_b32_e32 v5, 0
	s_addc_u32 s7, s9, s7
	v_mad_u64_u32 v[38:39], s[8:9], s24, v12, v[4:5]
	v_mov_b32_e32 v0, v39
	v_mad_u64_u32 v[0:1], s[8:9], s25, v12, v[0:1]
	v_mov_b32_e32 v39, v0
	v_lshl_add_u64 v[0:1], v[38:39], 4, s[6:7]
	s_mul_hi_u32 s6, s24, s30
	s_mul_i32 s7, s24, s31
	s_add_i32 s6, s6, s7
	s_mul_i32 s7, s25, s30
	s_add_i32 s35, s6, s7
	s_cmp_lg_u32 s28, 0
	s_mul_i32 s34, s24, s30
	s_cselect_b64 s[36:37], -1, 0
	s_cmp_eq_u32 s28, 0
	v_lshl_add_u64 v[6:7], s[34:35], 4, v[0:1]
	s_cselect_b64 s[20:21], -1, 0
	s_mov_b64 s[6:7], -1
	s_and_b64 vcc, exec, s[36:37]
	s_cbranch_vccnz .LBB194_11
; %bb.10:
	flat_load_dwordx4 v[0:3], v[6:7]
	v_mul_u32_u24_e32 v5, 0x210, v12
	s_lshl_b64 s[6:7], s[24:25], 7
	v_lshl_add_u32 v5, v4, 4, v5
	v_lshl_add_u64 v[8:9], v[6:7], 0, s[6:7]
	v_add_u32_e32 v10, 0x1080, v5
	s_waitcnt vmcnt(0) lgkmcnt(0)
	ds_write2_b64 v5, v[0:1], v[2:3] offset1:1
	flat_load_dwordx4 v[0:3], v[8:9]
	v_lshl_add_u64 v[8:9], v[8:9], 0, s[6:7]
	s_waitcnt vmcnt(0) lgkmcnt(0)
	ds_write2_b64 v10, v[0:1], v[2:3] offset1:1
	flat_load_dwordx4 v[0:3], v[8:9]
	v_add_u32_e32 v10, 0x2100, v5
	v_lshl_add_u64 v[8:9], v[8:9], 0, s[6:7]
	v_add_u32_e32 v5, 0x3180, v5
	s_mov_b64 s[6:7], 0
	s_waitcnt vmcnt(0) lgkmcnt(0)
	ds_write2_b64 v10, v[0:1], v[2:3] offset1:1
	flat_load_dwordx4 v[0:3], v[8:9]
	s_waitcnt vmcnt(0) lgkmcnt(0)
	ds_write2_b64 v5, v[0:1], v[2:3] offset1:1
.LBB194_11:
	s_andn2_b64 vcc, exec, s[6:7]
	v_lshlrev_b32_e32 v5, 4, v4
	s_cbranch_vccnz .LBB194_29
; %bb.12:
	v_lshlrev_b32_e32 v0, 4, v4
	v_sub_co_u32_e32 v2, vcc, v6, v0
	s_ashr_i32 s29, s28, 31
	s_nop 0
	v_subbrev_co_u32_e32 v3, vcc, 0, v7, vcc
	v_lshl_add_u64 v[2:3], s[28:29], 4, v[2:3]
	v_lshl_add_u64 v[2:3], v[2:3], 0, -16
	v_cmp_gt_i32_e32 vcc, s28, v4
	s_movk_i32 s8, 0x210
	v_cmp_le_i32_e64 s[6:7], s28, v12
	v_cndmask_b32_e32 v3, v3, v7, vcc
	v_cndmask_b32_e32 v2, v2, v6, vcc
	v_mad_u32_u24 v1, v12, s8, v5
	s_and_saveexec_b64 s[8:9], s[6:7]
	s_xor_b64 s[6:7], exec, s[8:9]
; %bb.13:
	v_mov_b32_e32 v8, 0
	v_mov_b32_e32 v9, v8
	;; [unrolled: 1-line block ×4, first 2 shown]
	ds_write_b128 v1, v[8:11]
                                        ; implicit-def: $vgpr1
; %bb.14:
	s_andn2_saveexec_b64 s[6:7], s[6:7]
	s_cbranch_execz .LBB194_16
; %bb.15:
	flat_load_dwordx4 v[8:11], v[2:3]
	s_waitcnt vmcnt(0) lgkmcnt(0)
	ds_write2_b64 v1, v[8:9], v[10:11] offset1:1
.LBB194_16:
	s_or_b64 exec, exec, s[6:7]
	v_add_u32_e32 v8, 8, v12
	v_mul_u32_u24_e32 v1, 0x210, v12
	v_cmp_le_i32_e64 s[6:7], s28, v8
	s_and_saveexec_b64 s[8:9], s[6:7]
	s_xor_b64 s[6:7], exec, s[8:9]
	s_cbranch_execz .LBB194_18
; %bb.17:
	v_mov_b32_e32 v14, 0
	v_add_u32_e32 v8, v1, v5
	v_mov_b32_e32 v15, v14
	v_mov_b32_e32 v16, v14
	;; [unrolled: 1-line block ×3, first 2 shown]
	ds_write_b128 v8, v[14:17] offset:4224
.LBB194_18:
	s_andn2_saveexec_b64 s[6:7], s[6:7]
	s_cbranch_execz .LBB194_20
; %bb.19:
	s_lshl_b64 s[8:9], s[24:25], 7
	v_lshl_add_u64 v[8:9], v[2:3], 0, s[8:9]
	flat_load_dwordx4 v[8:11], v[8:9]
	s_movk_i32 s8, 0x1080
	v_add3_u32 v13, v1, v5, s8
	s_waitcnt vmcnt(0) lgkmcnt(0)
	ds_write2_b64 v13, v[8:9], v[10:11] offset1:1
.LBB194_20:
	s_or_b64 exec, exec, s[6:7]
	v_add_u32_e32 v8, 16, v12
	v_cmp_le_i32_e64 s[6:7], s28, v8
	s_and_saveexec_b64 s[8:9], s[6:7]
	s_xor_b64 s[6:7], exec, s[8:9]
	s_cbranch_execz .LBB194_22
; %bb.21:
	v_mov_b32_e32 v14, 0
	v_add_u32_e32 v8, v1, v5
	v_mov_b32_e32 v15, v14
	v_mov_b32_e32 v16, v14
	;; [unrolled: 1-line block ×3, first 2 shown]
	ds_write_b128 v8, v[14:17] offset:8448
.LBB194_22:
	s_andn2_saveexec_b64 s[6:7], s[6:7]
	s_cbranch_execz .LBB194_24
; %bb.23:
	s_lshl_b64 s[8:9], s[24:25], 8
	v_lshl_add_u64 v[8:9], v[2:3], 0, s[8:9]
	flat_load_dwordx4 v[8:11], v[8:9]
	s_movk_i32 s8, 0x2100
	v_add3_u32 v13, v1, v5, s8
	s_waitcnt vmcnt(0) lgkmcnt(0)
	ds_write2_b64 v13, v[8:9], v[10:11] offset1:1
.LBB194_24:
	s_or_b64 exec, exec, s[6:7]
	v_add_u32_e32 v8, 24, v12
	v_cmp_le_i32_e64 s[6:7], s28, v8
	s_and_saveexec_b64 s[8:9], s[6:7]
	s_xor_b64 s[6:7], exec, s[8:9]
	s_cbranch_execz .LBB194_26
; %bb.25:
	v_mov_b32_e32 v8, 0
	v_add_u32_e32 v1, v1, v5
	v_mov_b32_e32 v9, v8
	v_mov_b32_e32 v10, v8
	;; [unrolled: 1-line block ×3, first 2 shown]
	ds_write_b128 v1, v[8:11] offset:12672
                                        ; implicit-def: $vgpr1
.LBB194_26:
	s_andn2_saveexec_b64 s[6:7], s[6:7]
	s_cbranch_execz .LBB194_28
; %bb.27:
	v_mov_b32_e32 v8, 0x180
	v_mad_u64_u32 v[8:9], s[8:9], s24, v8, v[2:3]
	s_mul_i32 s8, s25, 0x180
	s_nop 0
	v_add_u32_e32 v9, s8, v9
	flat_load_dwordx4 v[8:11], v[8:9]
	s_movk_i32 s8, 0x3180
	v_add3_u32 v1, v1, v5, s8
	s_waitcnt vmcnt(0) lgkmcnt(0)
	ds_write2_b64 v1, v[8:9], v[10:11] offset1:1
.LBB194_28:
	s_or_b64 exec, exec, s[6:7]
	v_mov_b32_e32 v1, 0
	v_lshl_add_u64 v[0:1], v[2:3], 0, v[0:1]
	s_lshl_b64 s[6:7], s[28:29], 4
	v_mov_b32_e32 v2, s7
	v_subrev_co_u32_e64 v0, s[6:7], s6, v0
	s_nop 1
	v_subb_co_u32_e64 v1, s[6:7], v1, v2, s[6:7]
	v_lshl_add_u64 v[0:1], v[0:1], 0, 16
	v_cndmask_b32_e32 v7, v1, v7, vcc
	v_cndmask_b32_e32 v6, v0, v6, vcc
.LBB194_29:
	v_lshlrev_b32_e32 v13, 2, v12
	v_lshl_or_b32 v1, v4, 9, v5
	v_cmp_lt_u32_e64 s[8:9], v13, v4
	s_waitcnt lgkmcnt(0)
	s_barrier
	s_and_saveexec_b64 s[6:7], s[8:9]
	s_cbranch_execz .LBB194_31
; %bb.30:
	s_movk_i32 s10, 0x840
	v_mad_u32_u24 v0, v12, s10, v5
	ds_read_b128 v[8:11], v0
	v_lshl_add_u32 v0, v13, 4, v1
	s_waitcnt lgkmcnt(0)
	ds_write_b128 v0, v[8:11]
.LBB194_31:
	s_or_b64 exec, exec, s[6:7]
	v_or_b32_e32 v0, 1, v13
	v_cmp_lt_u32_e64 s[10:11], v0, v4
	s_and_saveexec_b64 s[6:7], s[10:11]
	s_cbranch_execz .LBB194_33
; %bb.32:
	s_movk_i32 s12, 0x210
	v_mad_u32_u24 v2, v0, s12, v5
	ds_read_b128 v[8:11], v2
	v_lshl_add_u32 v2, v13, 4, v1
	s_waitcnt lgkmcnt(0)
	ds_write_b128 v2, v[8:11] offset:16
.LBB194_33:
	s_or_b64 exec, exec, s[6:7]
	v_or_b32_e32 v2, 2, v13
	v_cmp_lt_u32_e64 s[12:13], v2, v4
	s_and_saveexec_b64 s[6:7], s[12:13]
	s_cbranch_execz .LBB194_35
; %bb.34:
	s_movk_i32 s14, 0x210
	v_mad_u32_u24 v2, v2, s14, v5
	ds_read_b128 v[8:11], v2
	v_lshl_add_u32 v2, v13, 4, v1
	s_waitcnt lgkmcnt(0)
	ds_write_b128 v2, v[8:11] offset:32
.LBB194_35:
	s_or_b64 exec, exec, s[6:7]
	v_or_b32_e32 v3, 3, v13
	v_cmp_lt_u32_e64 s[14:15], v3, v4
	v_cmp_ge_u32_e32 vcc, v3, v4
                                        ; implicit-def: $vgpr2
	s_and_saveexec_b64 s[6:7], vcc
	s_xor_b64 s[6:7], exec, s[6:7]
; %bb.36:
	v_mul_u32_u24_e32 v2, 0x210, v3
                                        ; implicit-def: $vgpr1
                                        ; implicit-def: $vgpr3
; %bb.37:
	s_andn2_saveexec_b64 s[6:7], s[6:7]
	s_cbranch_execz .LBB194_39
; %bb.38:
	s_movk_i32 s16, 0x210
	v_mad_u32_u24 v2, v3, s16, v5
	ds_read_b128 v[8:11], v2
	v_lshl_add_u32 v1, v13, 4, v1
	v_mul_u32_u24_e32 v2, 0x210, v3
	s_waitcnt lgkmcnt(0)
	ds_write_b128 v1, v[8:11] offset:48
.LBB194_39:
	s_or_b64 exec, exec, s[6:7]
	s_movk_i32 s6, 0x840
	v_lshlrev_b32_e32 v15, 4, v13
	s_movk_i32 s29, 0x210
	s_waitcnt lgkmcnt(0)
	s_barrier
	v_mad_u32_u24 v16, v12, s6, v5
	ds_read_b128 v[8:11], v15 offset:18176
	ds_read_b128 v[18:21], v15 offset:18192
	ds_read_b128 v[22:25], v16
	ds_read_b128 v[26:29], v15 offset:18208
	ds_read_b128 v[30:33], v15 offset:18224
	v_mad_u32_u24 v17, v0, s29, v5
	ds_read_b128 v[44:47], v17
	s_waitcnt lgkmcnt(3)
	v_mul_f64 v[0:1], v[10:11], v[24:25]
	v_fma_f64 v[34:35], v[8:9], v[22:23], -v[0:1]
	v_mul_f64 v[8:9], v[8:9], v[24:25]
	v_fmac_f64_e32 v[8:9], v[10:11], v[22:23]
	v_add_f64 v[24:25], v[8:9], 0
	s_waitcnt lgkmcnt(0)
	v_mul_f64 v[8:9], v[20:21], v[46:47]
	v_add_f64 v[22:23], v[34:35], 0
	v_fma_f64 v[34:35], v[18:19], v[44:45], -v[8:9]
	v_mul_f64 v[18:19], v[18:19], v[46:47]
	v_fmac_f64_e32 v[18:19], v[20:21], v[44:45]
	ds_read_b128 v[8:11], v17 offset:528
	v_add_f64 v[24:25], v[24:25], v[18:19]
	v_add_u32_e32 v18, v5, v2
	v_add_f64 v[34:35], v[22:23], v[34:35]
	ds_read_b128 v[20:23], v18
	s_waitcnt lgkmcnt(1)
	v_mul_f64 v[2:3], v[28:29], v[10:11]
	v_mul_f64 v[10:11], v[26:27], v[10:11]
	v_fma_f64 v[2:3], v[26:27], v[8:9], -v[2:3]
	v_fmac_f64_e32 v[10:11], v[28:29], v[8:9]
	s_waitcnt lgkmcnt(0)
	v_mul_f64 v[8:9], v[32:33], v[22:23]
	v_add_f64 v[2:3], v[34:35], v[2:3]
	v_fma_f64 v[8:9], v[30:31], v[20:21], -v[8:9]
	v_mul_f64 v[22:23], v[30:31], v[22:23]
	v_add_f64 v[8:9], v[2:3], v[8:9]
	v_mul_u32_u24_e32 v2, 33, v4
	v_add_f64 v[10:11], v[24:25], v[10:11]
	v_fmac_f64_e32 v[22:23], v[32:33], v[20:21]
	v_lshlrev_b32_e32 v43, 4, v2
	v_mov_b64_e32 v[0:1], 0
	v_add_f64 v[10:11], v[10:11], v[22:23]
	v_lshl_add_u32 v44, v12, 4, v43
	v_cmp_gt_u32_e64 s[6:7], 32, v42
	v_mov_b64_e32 v[2:3], 0
	s_barrier
	ds_write_b128 v44, v[8:11]
	s_waitcnt lgkmcnt(0)
	s_barrier
	s_and_saveexec_b64 s[16:17], s[6:7]
	s_cbranch_execz .LBB194_41
; %bb.40:
	ds_read_b128 v[0:3], v43
	ds_read_b128 v[8:11], v43 offset:16
	ds_read_b128 v[20:23], v43 offset:32
	;; [unrolled: 1-line block ×3, first 2 shown]
	s_waitcnt lgkmcnt(2)
	v_add_f64 v[0:1], v[8:9], v[0:1]
	v_add_f64 v[8:9], v[10:11], v[2:3]
	s_waitcnt lgkmcnt(1)
	v_add_f64 v[10:11], v[0:1], v[20:21]
	ds_read_b128 v[0:3], v43 offset:64
	v_add_f64 v[8:9], v[8:9], v[22:23]
	s_waitcnt lgkmcnt(1)
	v_add_f64 v[20:21], v[10:11], v[24:25]
	v_add_f64 v[24:25], v[8:9], v[26:27]
	ds_read_b128 v[8:11], v43 offset:80
	s_waitcnt lgkmcnt(1)
	v_add_f64 v[26:27], v[20:21], v[0:1]
	ds_read_b128 v[20:23], v43 offset:96
	v_add_f64 v[24:25], v[24:25], v[2:3]
	ds_read_b128 v[0:3], v43 offset:112
	s_waitcnt lgkmcnt(2)
	v_add_f64 v[8:9], v[26:27], v[8:9]
	v_add_f64 v[10:11], v[24:25], v[10:11]
	s_waitcnt lgkmcnt(1)
	v_add_f64 v[8:9], v[8:9], v[20:21]
	v_add_f64 v[10:11], v[10:11], v[22:23]
	;; [unrolled: 3-line block ×3, first 2 shown]
.LBB194_41:
	s_or_b64 exec, exec, s[16:17]
	s_lshl_b64 s[16:17], s[24:25], 9
	v_lshl_add_u64 v[10:11], v[6:7], 0, s[16:17]
	s_mov_b64 s[16:17], 0x200
	v_cndmask_b32_e64 v8, 0, 1, s[20:21]
	v_lshl_add_u64 v[6:7], v[10:11], 0, s[16:17]
	v_mad_u32_u24 v14, v12, s29, v5
	v_cmp_ne_u32_e64 s[16:17], 1, v8
	s_andn2_b64 vcc, exec, s[20:21]
	s_mov_b64 s[20:21], -1
	s_barrier
	s_cbranch_vccnz .LBB194_43
; %bb.42:
	flat_load_dwordx4 v[20:23], v[6:7]
	s_lshl_b64 s[20:21], s[24:25], 7
	v_lshl_add_u64 v[8:9], v[10:11], 0, s[20:21]
	v_add_u32_e32 v19, 0x1080, v14
	s_waitcnt vmcnt(0) lgkmcnt(0)
	ds_write2_b64 v14, v[20:21], v[22:23] offset1:1
	flat_load_dwordx4 v[20:23], v[8:9] offset:512
	v_lshl_add_u64 v[8:9], v[8:9], 0, s[20:21]
	s_waitcnt vmcnt(0) lgkmcnt(0)
	ds_write2_b64 v19, v[20:21], v[22:23] offset1:1
	flat_load_dwordx4 v[20:23], v[8:9] offset:512
	v_add_u32_e32 v19, 0x2100, v14
	v_lshl_add_u64 v[8:9], v[8:9], 0, s[20:21]
	s_mov_b64 s[20:21], 0
	s_waitcnt vmcnt(0) lgkmcnt(0)
	ds_write2_b64 v19, v[20:21], v[22:23] offset1:1
	flat_load_dwordx4 v[20:23], v[8:9] offset:512
	v_add_u32_e32 v8, 0x3180, v14
	s_waitcnt vmcnt(0) lgkmcnt(0)
	ds_write2_b64 v8, v[20:21], v[22:23] offset1:1
.LBB194_43:
	s_andn2_b64 vcc, exec, s[20:21]
	s_cbranch_vccnz .LBB194_61
; %bb.44:
	v_lshlrev_b32_e32 v8, 4, v4
	v_sub_co_u32_e32 v10, vcc, v10, v8
	s_ashr_i32 s29, s28, 31
	s_nop 0
	v_subbrev_co_u32_e32 v11, vcc, 0, v11, vcc
	v_or_b32_e32 v9, 32, v4
	v_lshl_add_u64 v[10:11], s[28:29], 4, v[10:11]
	v_lshl_add_u64 v[10:11], v[10:11], 0, -16
	v_cmp_gt_i32_e32 vcc, s28, v9
	s_sub_i32 s38, s28, 32
	v_cmp_le_i32_e64 s[20:21], s38, v12
	v_cndmask_b32_e32 v11, v11, v7, vcc
	v_cndmask_b32_e32 v10, v10, v6, vcc
	s_and_saveexec_b64 s[40:41], s[20:21]
	s_xor_b64 s[20:21], exec, s[40:41]
; %bb.45:
	v_mov_b32_e32 v20, 0
	v_mov_b32_e32 v21, v20
	;; [unrolled: 1-line block ×4, first 2 shown]
	ds_write_b128 v14, v[20:23]
; %bb.46:
	s_andn2_saveexec_b64 s[20:21], s[20:21]
	s_cbranch_execz .LBB194_48
; %bb.47:
	flat_load_dwordx4 v[20:23], v[10:11]
	s_waitcnt vmcnt(0) lgkmcnt(0)
	ds_write2_b64 v14, v[20:21], v[22:23] offset1:1
.LBB194_48:
	s_or_b64 exec, exec, s[20:21]
	v_add_u32_e32 v19, 8, v12
	v_mul_u32_u24_e32 v9, 0x210, v12
	v_cmp_le_i32_e64 s[20:21], s38, v19
	s_and_saveexec_b64 s[40:41], s[20:21]
	s_xor_b64 s[20:21], exec, s[40:41]
	s_cbranch_execz .LBB194_50
; %bb.49:
	v_mov_b32_e32 v20, 0
	v_add_u32_e32 v19, v9, v5
	v_mov_b32_e32 v21, v20
	v_mov_b32_e32 v22, v20
	;; [unrolled: 1-line block ×3, first 2 shown]
	ds_write_b128 v19, v[20:23] offset:4224
.LBB194_50:
	s_andn2_saveexec_b64 s[20:21], s[20:21]
	s_cbranch_execz .LBB194_52
; %bb.51:
	s_lshl_b64 s[40:41], s[24:25], 7
	v_lshl_add_u64 v[20:21], v[10:11], 0, s[40:41]
	flat_load_dwordx4 v[20:23], v[20:21]
	s_movk_i32 s39, 0x1080
	v_add3_u32 v19, v9, v5, s39
	s_waitcnt vmcnt(0) lgkmcnt(0)
	ds_write2_b64 v19, v[20:21], v[22:23] offset1:1
.LBB194_52:
	s_or_b64 exec, exec, s[20:21]
	v_add_u32_e32 v19, 16, v12
	v_cmp_le_i32_e64 s[20:21], s38, v19
	s_and_saveexec_b64 s[40:41], s[20:21]
	s_xor_b64 s[20:21], exec, s[40:41]
	s_cbranch_execz .LBB194_54
; %bb.53:
	v_mov_b32_e32 v20, 0
	v_add_u32_e32 v19, v9, v5
	v_mov_b32_e32 v21, v20
	v_mov_b32_e32 v22, v20
	;; [unrolled: 1-line block ×3, first 2 shown]
	ds_write_b128 v19, v[20:23] offset:8448
.LBB194_54:
	s_andn2_saveexec_b64 s[20:21], s[20:21]
	s_cbranch_execz .LBB194_56
; %bb.55:
	s_lshl_b64 s[40:41], s[24:25], 8
	v_lshl_add_u64 v[20:21], v[10:11], 0, s[40:41]
	flat_load_dwordx4 v[20:23], v[20:21]
	s_movk_i32 s39, 0x2100
	v_add3_u32 v19, v9, v5, s39
	s_waitcnt vmcnt(0) lgkmcnt(0)
	ds_write2_b64 v19, v[20:21], v[22:23] offset1:1
.LBB194_56:
	s_or_b64 exec, exec, s[20:21]
	v_add_u32_e32 v19, 24, v12
	v_cmp_le_i32_e64 s[20:21], s38, v19
	s_and_saveexec_b64 s[38:39], s[20:21]
	s_xor_b64 s[20:21], exec, s[38:39]
	s_cbranch_execz .LBB194_58
; %bb.57:
	v_mov_b32_e32 v20, 0
	v_add_u32_e32 v9, v9, v5
	v_mov_b32_e32 v21, v20
	v_mov_b32_e32 v22, v20
	v_mov_b32_e32 v23, v20
	ds_write_b128 v9, v[20:23] offset:12672
                                        ; implicit-def: $vgpr9
.LBB194_58:
	s_andn2_saveexec_b64 s[20:21], s[20:21]
	s_cbranch_execz .LBB194_60
; %bb.59:
	v_mov_b32_e32 v19, 0x180
	v_mad_u64_u32 v[20:21], s[38:39], s24, v19, v[10:11]
	s_mul_i32 s38, s25, 0x180
	s_nop 0
	v_add_u32_e32 v21, s38, v21
	flat_load_dwordx4 v[20:23], v[20:21]
	s_movk_i32 s38, 0x3180
	v_add3_u32 v9, v9, v5, s38
	s_waitcnt vmcnt(0) lgkmcnt(0)
	ds_write2_b64 v9, v[20:21], v[22:23] offset1:1
.LBB194_60:
	s_or_b64 exec, exec, s[20:21]
	v_mov_b32_e32 v9, 0
	v_lshl_add_u64 v[8:9], v[10:11], 0, v[8:9]
	s_lshl_b64 s[20:21], s[28:29], 4
	v_mov_b32_e32 v10, s21
	v_subrev_co_u32_e64 v8, s[20:21], s20, v8
	s_nop 1
	v_subb_co_u32_e64 v9, s[20:21], v9, v10, s[20:21]
	s_mov_b64 s[20:21], 0x210
	s_nop 0
	v_lshl_add_u64 v[8:9], v[8:9], 0, s[20:21]
	v_cndmask_b32_e32 v7, v9, v7, vcc
	v_cndmask_b32_e32 v6, v8, v6, vcc
.LBB194_61:
	v_add_u32_e32 v15, 0x4700, v15
	v_add_u32_e32 v8, 0x210, v17
	s_lshl_b64 s[20:21], s[24:25], 5
	s_waitcnt lgkmcnt(0)
	s_barrier
	s_and_saveexec_b64 s[38:39], s[8:9]
	s_cbranch_execnz .LBB194_70
; %bb.62:
	s_or_b64 exec, exec, s[38:39]
	s_and_saveexec_b64 s[8:9], s[10:11]
	s_cbranch_execnz .LBB194_71
.LBB194_63:
	s_or_b64 exec, exec, s[8:9]
	s_and_saveexec_b64 s[8:9], s[12:13]
	s_cbranch_execnz .LBB194_72
.LBB194_64:
	s_or_b64 exec, exec, s[8:9]
	s_and_saveexec_b64 s[8:9], s[14:15]
	s_cbranch_execz .LBB194_66
.LBB194_65:
	ds_read_b128 v[20:23], v18
	v_lshl_add_u32 v9, v13, 4, v43
	s_waitcnt lgkmcnt(0)
	ds_write_b128 v9, v[20:23] offset:48
.LBB194_66:
	s_or_b64 exec, exec, s[8:9]
	s_waitcnt lgkmcnt(0)
	s_barrier
	ds_read_b128 v[20:23], v15 offset:512
	ds_read_b128 v[24:27], v16
	ds_read_b128 v[28:31], v15 offset:528
	ds_read_b128 v[32:35], v15 offset:544
	;; [unrolled: 1-line block ×3, first 2 shown]
	ds_read_b128 v[50:53], v17
	v_cmp_eq_u32_e64 s[8:9], 1, v12
	s_waitcnt lgkmcnt(4)
	v_mul_f64 v[10:11], v[22:23], v[26:27]
	v_fma_f64 v[10:11], v[20:21], v[24:25], -v[10:11]
	v_mul_f64 v[16:17], v[20:21], v[26:27]
	v_add_f64 v[20:21], v[10:11], 0
	s_waitcnt lgkmcnt(0)
	v_mul_f64 v[10:11], v[30:31], v[52:53]
	v_fmac_f64_e32 v[16:17], v[22:23], v[24:25]
	v_fma_f64 v[22:23], v[28:29], v[50:51], -v[10:11]
	v_mul_f64 v[24:25], v[28:29], v[52:53]
	ds_read_b128 v[8:11], v8
	v_add_f64 v[16:17], v[16:17], 0
	v_fmac_f64_e32 v[24:25], v[30:31], v[50:51]
	v_add_f64 v[20:21], v[20:21], v[22:23]
	v_add_f64 v[22:23], v[16:17], v[24:25]
	ds_read_b128 v[16:19], v18
	s_waitcnt lgkmcnt(1)
	v_mul_f64 v[24:25], v[34:35], v[10:11]
	v_fma_f64 v[24:25], v[32:33], v[8:9], -v[24:25]
	v_mul_f64 v[10:11], v[32:33], v[10:11]
	v_fmac_f64_e32 v[10:11], v[34:35], v[8:9]
	v_add_f64 v[8:9], v[20:21], v[24:25]
	s_waitcnt lgkmcnt(0)
	v_mul_f64 v[20:21], v[48:49], v[18:19]
	v_mul_f64 v[18:19], v[46:47], v[18:19]
	v_add_f64 v[10:11], v[22:23], v[10:11]
	v_fma_f64 v[20:21], v[46:47], v[16:17], -v[20:21]
	v_fmac_f64_e32 v[18:19], v[48:49], v[16:17]
	v_add_f64 v[8:9], v[8:9], v[20:21]
	v_add_f64 v[10:11], v[10:11], v[18:19]
	s_barrier
	ds_write_b128 v44, v[8:11]
	s_waitcnt lgkmcnt(0)
	s_barrier
	s_and_saveexec_b64 s[10:11], s[8:9]
	s_cbranch_execz .LBB194_68
; %bb.67:
	ds_read_b128 v[0:3], v43
	ds_read_b128 v[8:11], v43 offset:16
	ds_read_b128 v[16:19], v43 offset:32
	ds_read_b128 v[20:23], v43 offset:48
	s_waitcnt lgkmcnt(2)
	v_add_f64 v[0:1], v[8:9], v[0:1]
	v_add_f64 v[8:9], v[10:11], v[2:3]
	s_waitcnt lgkmcnt(1)
	v_add_f64 v[10:11], v[0:1], v[16:17]
	ds_read_b128 v[0:3], v43 offset:64
	v_add_f64 v[8:9], v[8:9], v[18:19]
	s_waitcnt lgkmcnt(1)
	v_add_f64 v[16:17], v[10:11], v[20:21]
	v_add_f64 v[20:21], v[8:9], v[22:23]
	ds_read_b128 v[8:11], v43 offset:80
	s_waitcnt lgkmcnt(1)
	v_add_f64 v[22:23], v[16:17], v[0:1]
	ds_read_b128 v[16:19], v43 offset:96
	v_add_f64 v[20:21], v[20:21], v[2:3]
	ds_read_b128 v[0:3], v43 offset:112
	s_waitcnt lgkmcnt(2)
	v_add_f64 v[8:9], v[22:23], v[8:9]
	v_add_f64 v[10:11], v[20:21], v[10:11]
	s_waitcnt lgkmcnt(1)
	v_add_f64 v[8:9], v[8:9], v[16:17]
	v_add_f64 v[10:11], v[10:11], v[18:19]
	;; [unrolled: 3-line block ×3, first 2 shown]
.LBB194_68:
	s_or_b64 exec, exec, s[10:11]
	s_lshl_b64 s[10:11], s[20:21], 4
	v_mov_b32_e32 v8, s11
	v_subrev_co_u32_e64 v40, s[10:11], s10, v6
	s_and_b64 vcc, exec, s[16:17]
	s_nop 0
	v_subb_co_u32_e64 v41, s[10:11], v7, v8, s[10:11]
	s_barrier
	s_cbranch_vccnz .LBB194_73
; %bb.69:
	flat_load_dwordx4 v[6:9], v[40:41]
	s_lshl_b64 s[10:11], s[24:25], 7
	v_lshl_add_u64 v[10:11], v[40:41], 0, s[10:11]
	s_movk_i32 s12, 0x210
	s_waitcnt vmcnt(0) lgkmcnt(0)
	ds_write2_b64 v14, v[6:7], v[8:9] offset1:1
	flat_load_dwordx4 v[16:19], v[10:11]
	v_add_u32_e32 v8, 8, v12
	v_mad_u32_u24 v6, v8, s12, v5
	v_lshl_add_u64 v[10:11], v[10:11], 0, s[10:11]
	v_add_u32_e32 v9, 16, v12
	s_waitcnt vmcnt(0) lgkmcnt(0)
	ds_write2_b64 v6, v[16:17], v[18:19] offset1:1
	flat_load_dwordx4 v[16:19], v[10:11]
	v_mov_b32_e32 v6, 0x1080
	v_mad_u32_u24 v6, v8, s12, v6
	v_add_u32_e32 v7, v5, v6
	v_lshl_add_u64 v[10:11], v[10:11], 0, s[10:11]
	s_waitcnt vmcnt(0) lgkmcnt(0)
	ds_write2_b64 v7, v[16:17], v[18:19] offset1:1
	flat_load_dwordx4 v[16:19], v[10:11]
	v_mov_b32_e32 v11, 0x2100
	v_mad_u32_u24 v11, v8, s12, v11
	v_add_u32_e32 v10, 24, v12
	v_mul_u32_u24_e32 v7, 0x210, v8
	v_add_u32_e32 v20, v5, v11
	s_waitcnt vmcnt(0) lgkmcnt(0)
	ds_write2_b64 v20, v[16:17], v[18:19] offset1:1
	s_cbranch_execz .LBB194_74
	s_branch .LBB194_91
.LBB194_70:
	ds_read_b128 v[20:23], v16
	v_lshl_add_u32 v9, v13, 4, v43
	s_waitcnt lgkmcnt(0)
	ds_write_b128 v9, v[20:23]
	s_or_b64 exec, exec, s[38:39]
	s_and_saveexec_b64 s[8:9], s[10:11]
	s_cbranch_execz .LBB194_63
.LBB194_71:
	ds_read_b128 v[20:23], v17
	v_lshl_add_u32 v9, v13, 4, v43
	s_waitcnt lgkmcnt(0)
	ds_write_b128 v9, v[20:23] offset:16
	s_or_b64 exec, exec, s[8:9]
	s_and_saveexec_b64 s[8:9], s[12:13]
	s_cbranch_execz .LBB194_64
.LBB194_72:
	ds_read_b128 v[20:23], v8
	v_lshl_add_u32 v9, v13, 4, v43
	s_waitcnt lgkmcnt(0)
	ds_write_b128 v9, v[20:23] offset:32
	s_or_b64 exec, exec, s[8:9]
	s_and_saveexec_b64 s[8:9], s[14:15]
	s_cbranch_execnz .LBB194_65
	s_branch .LBB194_66
.LBB194_73:
                                        ; implicit-def: $vgpr8
                                        ; implicit-def: $vgpr7
                                        ; implicit-def: $vgpr9
                                        ; implicit-def: $vgpr6
                                        ; implicit-def: $vgpr10
                                        ; implicit-def: $vgpr11
.LBB194_74:
	v_or_b32_e32 v8, 32, v4
	v_lshlrev_b32_e32 v6, 4, v8
	v_sub_co_u32_e32 v6, vcc, v40, v6
	s_ashr_i32 s29, s28, 31
	s_nop 0
	v_subbrev_co_u32_e32 v7, vcc, 0, v41, vcc
	v_lshl_add_u64 v[6:7], s[28:29], 4, v[6:7]
	v_lshl_add_u64 v[6:7], v[6:7], 0, -16
	v_cmp_gt_i32_e32 vcc, s28, v8
	v_cmp_le_i32_e64 s[10:11], s28, v12
	s_nop 0
	v_cndmask_b32_e32 v7, v7, v41, vcc
	v_cndmask_b32_e32 v6, v6, v40, vcc
	s_and_saveexec_b64 s[12:13], s[10:11]
	s_xor_b64 s[10:11], exec, s[12:13]
; %bb.75:
	v_mov_b32_e32 v8, 0
	v_mov_b32_e32 v9, v8
	;; [unrolled: 1-line block ×4, first 2 shown]
	ds_write_b128 v14, v[8:11]
; %bb.76:
	s_andn2_saveexec_b64 s[10:11], s[10:11]
	s_cbranch_execz .LBB194_78
; %bb.77:
	flat_load_dwordx4 v[8:11], v[6:7]
	s_waitcnt vmcnt(0) lgkmcnt(0)
	ds_write2_b64 v14, v[8:9], v[10:11] offset1:1
.LBB194_78:
	s_or_b64 exec, exec, s[10:11]
	v_add_u32_e32 v8, 8, v12
	v_cmp_le_i32_e64 s[10:11], s28, v8
	s_and_saveexec_b64 s[12:13], s[10:11]
	s_xor_b64 s[10:11], exec, s[12:13]
	s_cbranch_execz .LBB194_80
; %bb.79:
	s_movk_i32 s12, 0x210
	v_mov_b32_e32 v16, 0
	v_mad_u32_u24 v9, v8, s12, v5
	v_mov_b32_e32 v17, v16
	v_mov_b32_e32 v18, v16
	;; [unrolled: 1-line block ×3, first 2 shown]
	ds_write_b128 v9, v[16:19]
.LBB194_80:
	s_andn2_saveexec_b64 s[10:11], s[10:11]
	s_cbranch_execz .LBB194_82
; %bb.81:
	s_lshl_b64 s[12:13], s[24:25], 7
	v_lshl_add_u64 v[10:11], v[6:7], 0, s[12:13]
	flat_load_dwordx4 v[16:19], v[10:11]
	s_movk_i32 s12, 0x210
	v_mad_u32_u24 v9, v8, s12, v5
	s_waitcnt vmcnt(0) lgkmcnt(0)
	ds_write2_b64 v9, v[16:17], v[18:19] offset1:1
.LBB194_82:
	s_or_b64 exec, exec, s[10:11]
	v_add_u32_e32 v9, 16, v12
	v_cmp_le_i32_e64 s[10:11], s28, v9
	s_and_saveexec_b64 s[12:13], s[10:11]
	s_xor_b64 s[10:11], exec, s[12:13]
	s_cbranch_execz .LBB194_84
; %bb.83:
	s_movk_i32 s12, 0x210
	v_mov_b32_e32 v16, 0
	v_mad_u32_u24 v10, v9, s12, v5
	v_mov_b32_e32 v17, v16
	v_mov_b32_e32 v18, v16
	;; [unrolled: 1-line block ×3, first 2 shown]
	ds_write_b128 v10, v[16:19]
.LBB194_84:
	s_andn2_saveexec_b64 s[10:11], s[10:11]
	s_cbranch_execz .LBB194_86
; %bb.85:
	s_lshl_b64 s[12:13], s[24:25], 8
	v_lshl_add_u64 v[10:11], v[6:7], 0, s[12:13]
	flat_load_dwordx4 v[16:19], v[10:11]
	s_movk_i32 s12, 0x210
	v_mad_u32_u24 v10, v9, s12, v5
	s_waitcnt vmcnt(0) lgkmcnt(0)
	ds_write2_b64 v10, v[16:17], v[18:19] offset1:1
.LBB194_86:
	s_or_b64 exec, exec, s[10:11]
	v_add_u32_e32 v10, 24, v12
	v_cmp_le_i32_e64 s[10:11], s28, v10
                                        ; implicit-def: $vgpr11
	s_and_saveexec_b64 s[12:13], s[10:11]
	s_xor_b64 s[10:11], exec, s[12:13]
	s_cbranch_execz .LBB194_88
; %bb.87:
	s_movk_i32 s12, 0x210
	v_mov_b32_e32 v18, 0
	v_mul_u32_u24_e32 v11, 0x210, v10
	v_mad_u32_u24 v16, v10, s12, v5
	v_mov_b32_e32 v19, v18
	v_mov_b32_e32 v20, v18
	v_mov_b32_e32 v21, v18
	ds_write_b128 v16, v[18:21]
.LBB194_88:
	s_andn2_saveexec_b64 s[10:11], s[10:11]
	s_cbranch_execz .LBB194_90
; %bb.89:
	v_mov_b32_e32 v11, 0x180
	v_mad_u64_u32 v[16:17], s[12:13], s24, v11, v[6:7]
	s_mul_i32 s12, s25, 0x180
	s_nop 0
	v_add_u32_e32 v17, s12, v17
	flat_load_dwordx4 v[16:19], v[16:17]
	s_movk_i32 s12, 0x210
	v_mul_u32_u24_e32 v11, 0x210, v10
	v_mad_u32_u24 v20, v10, s12, v5
	s_waitcnt vmcnt(0) lgkmcnt(0)
	ds_write2_b64 v20, v[16:17], v[18:19] offset1:1
.LBB194_90:
	s_or_b64 exec, exec, s[10:11]
	v_lshlrev_b32_e32 v16, 4, v4
	v_mov_b32_e32 v17, 0
	v_lshl_add_u64 v[6:7], v[6:7], 0, v[16:17]
	s_lshl_b64 s[10:11], s[28:29], 4
	v_mov_b32_e32 v4, s11
	v_subrev_co_u32_e64 v6, s[10:11], s10, v6
	s_nop 1
	v_subb_co_u32_e64 v7, s[10:11], v7, v4, s[10:11]
	s_mov_b64 s[10:11], 0x210
	s_nop 0
	v_lshl_add_u64 v[6:7], v[6:7], 0, s[10:11]
	s_movk_i32 s10, 0x210
	v_mov_b32_e32 v4, 0x1080
	v_cndmask_b32_e32 v41, v7, v41, vcc
	v_cndmask_b32_e32 v40, v6, v40, vcc
	v_mul_u32_u24_e32 v7, 0x210, v8
	v_mad_u32_u24 v6, v8, s10, v4
.LBB194_91:
	v_lshlrev_b32_e32 v4, 4, v12
	s_waitcnt lgkmcnt(0)
	s_barrier
	ds_read_b128 v[20:23], v4 offset:18176
	ds_read_b128 v[24:27], v14
	v_add_u32_e32 v4, v5, v7
	v_lshlrev_b32_e32 v7, 4, v8
	ds_read_b128 v[46:49], v7 offset:18176
	ds_read_b128 v[50:53], v4
	v_add_u32_e32 v4, v5, v6
	v_lshlrev_b32_e32 v6, 4, v9
	;; [unrolled: 4-line block ×3, first 2 shown]
	ds_read_b128 v[62:65], v5 offset:18176
	ds_read2_b64 v[66:69], v4 offset1:1
	s_waitcnt lgkmcnt(6)
	v_mul_f64 v[16:17], v[22:23], v[26:27]
	v_fma_f64 v[16:17], v[20:21], v[24:25], -v[16:17]
	s_waitcnt lgkmcnt(4)
	v_mul_f64 v[18:19], v[48:49], v[52:53]
	v_add_f64 v[16:17], v[16:17], 0
	v_fma_f64 v[18:19], v[46:47], v[50:51], -v[18:19]
	s_waitcnt lgkmcnt(2)
	v_mul_f64 v[6:7], v[56:57], v[60:61]
	v_add_f64 v[4:5], v[16:17], v[18:19]
	v_fma_f64 v[6:7], v[54:55], v[58:59], -v[6:7]
	v_add_f64 v[4:5], v[4:5], v[6:7]
	s_waitcnt lgkmcnt(0)
	v_mul_f64 v[6:7], v[64:65], v[68:69]
	v_fma_f64 v[6:7], v[62:63], v[66:67], -v[6:7]
	v_add_f64 v[70:71], v[4:5], v[6:7]
	v_lshl_add_u32 v4, v13, 4, v43
	v_mul_f64 v[72:73], v[20:21], v[26:27]
	ds_read_b128 v[28:31], v4
	ds_read_b128 v[16:19], v4 offset:16
	ds_read_b128 v[8:11], v4 offset:32
	;; [unrolled: 1-line block ×3, first 2 shown]
	v_fmac_f64_e32 v[72:73], v[22:23], v[24:25]
	v_mul_f64 v[46:47], v[46:47], v[52:53]
	v_fmac_f64_e32 v[46:47], v[48:49], v[50:51]
	v_add_f64 v[48:49], v[72:73], 0
	ds_read_b128 v[32:35], v15 offset:512
	ds_read_b128 v[24:27], v15 offset:528
	;; [unrolled: 1-line block ×4, first 2 shown]
	v_add_f64 v[46:47], v[48:49], v[46:47]
	v_mul_f64 v[48:49], v[54:55], v[60:61]
	v_fmac_f64_e32 v[48:49], v[56:57], v[58:59]
	v_add_f64 v[46:47], v[46:47], v[48:49]
	v_mul_f64 v[48:49], v[62:63], v[68:69]
	v_fmac_f64_e32 v[48:49], v[64:65], v[66:67]
	v_add_f64 v[72:73], v[46:47], v[48:49]
	s_waitcnt lgkmcnt(0)
	s_barrier
	ds_write_b128 v44, v[70:73]
	s_waitcnt lgkmcnt(0)
	s_barrier
	s_and_saveexec_b64 s[10:11], s[8:9]
	s_cbranch_execz .LBB194_93
; %bb.92:
	ds_read_b128 v[46:49], v43
	ds_read_b128 v[50:53], v43 offset:16
	ds_read_b128 v[54:57], v43 offset:32
	;; [unrolled: 1-line block ×3, first 2 shown]
	s_waitcnt lgkmcnt(3)
	v_add_f64 v[0:1], v[0:1], v[46:47]
	v_add_f64 v[2:3], v[2:3], v[48:49]
	s_waitcnt lgkmcnt(2)
	v_add_f64 v[0:1], v[0:1], v[50:51]
	v_add_f64 v[46:47], v[2:3], v[52:53]
	s_waitcnt lgkmcnt(1)
	v_add_f64 v[48:49], v[0:1], v[54:55]
	ds_read_b128 v[0:3], v43 offset:64
	v_add_f64 v[46:47], v[46:47], v[56:57]
	s_waitcnt lgkmcnt(1)
	v_add_f64 v[50:51], v[48:49], v[58:59]
	v_add_f64 v[54:55], v[46:47], v[60:61]
	ds_read_b128 v[46:49], v43 offset:80
	s_waitcnt lgkmcnt(1)
	v_add_f64 v[56:57], v[50:51], v[0:1]
	ds_read_b128 v[50:53], v43 offset:96
	v_add_f64 v[54:55], v[54:55], v[2:3]
	ds_read_b128 v[0:3], v43 offset:112
	s_waitcnt lgkmcnt(2)
	v_add_f64 v[46:47], v[56:57], v[46:47]
	v_add_f64 v[48:49], v[54:55], v[48:49]
	s_waitcnt lgkmcnt(1)
	v_add_f64 v[46:47], v[46:47], v[50:51]
	v_add_f64 v[48:49], v[48:49], v[52:53]
	;; [unrolled: 3-line block ×3, first 2 shown]
.LBB194_93:
	s_or_b64 exec, exec, s[10:11]
	v_mul_f64 v[46:47], v[30:31], v[34:35]
	v_fma_f64 v[46:47], v[28:29], v[32:33], -v[46:47]
	v_mul_f64 v[28:29], v[28:29], v[34:35]
	v_fmac_f64_e32 v[28:29], v[30:31], v[32:33]
	v_mul_f64 v[32:33], v[18:19], v[26:27]
	v_fma_f64 v[32:33], v[16:17], v[24:25], -v[32:33]
	v_mul_f64 v[16:17], v[16:17], v[26:27]
	v_fmac_f64_e32 v[16:17], v[18:19], v[24:25]
	v_mul_f64 v[24:25], v[10:11], v[22:23]
	v_add_f64 v[28:29], v[28:29], 0
	v_fma_f64 v[24:25], v[8:9], v[20:21], -v[24:25]
	v_mul_f64 v[8:9], v[8:9], v[22:23]
	v_add_f64 v[30:31], v[46:47], 0
	v_add_f64 v[16:17], v[28:29], v[16:17]
	v_fmac_f64_e32 v[8:9], v[10:11], v[20:21]
	v_add_f64 v[18:19], v[30:31], v[32:33]
	v_add_f64 v[8:9], v[16:17], v[8:9]
	v_mul_f64 v[16:17], v[6:7], v[14:15]
	v_mul_f64 v[14:15], v[4:5], v[14:15]
	v_add_f64 v[10:11], v[18:19], v[24:25]
	v_fma_f64 v[16:17], v[4:5], v[12:13], -v[16:17]
	v_fmac_f64_e32 v[14:15], v[6:7], v[12:13]
	v_add_f64 v[4:5], v[10:11], v[16:17]
	v_add_f64 v[6:7], v[8:9], v[14:15]
	s_barrier
	ds_write_b128 v44, v[4:7]
	s_waitcnt lgkmcnt(0)
	s_barrier
	s_and_saveexec_b64 s[8:9], s[6:7]
	s_cbranch_execz .LBB194_95
; %bb.94:
	ds_read_b128 v[4:7], v43
	ds_read_b128 v[8:11], v43 offset:16
	ds_read_b128 v[12:15], v43 offset:32
	;; [unrolled: 1-line block ×3, first 2 shown]
	s_waitcnt lgkmcnt(3)
	v_add_f64 v[0:1], v[0:1], v[4:5]
	v_add_f64 v[2:3], v[2:3], v[6:7]
	s_waitcnt lgkmcnt(2)
	v_add_f64 v[0:1], v[0:1], v[8:9]
	v_add_f64 v[4:5], v[2:3], v[10:11]
	s_waitcnt lgkmcnt(1)
	v_add_f64 v[6:7], v[0:1], v[12:13]
	ds_read_b128 v[0:3], v43 offset:64
	v_add_f64 v[4:5], v[4:5], v[14:15]
	s_waitcnt lgkmcnt(1)
	v_add_f64 v[8:9], v[6:7], v[16:17]
	v_add_f64 v[12:13], v[4:5], v[18:19]
	ds_read_b128 v[4:7], v43 offset:80
	s_waitcnt lgkmcnt(1)
	v_add_f64 v[14:15], v[8:9], v[0:1]
	ds_read_b128 v[8:11], v43 offset:96
	v_add_f64 v[12:13], v[12:13], v[2:3]
	ds_read_b128 v[0:3], v43 offset:112
	s_waitcnt lgkmcnt(2)
	v_add_f64 v[4:5], v[14:15], v[4:5]
	v_add_f64 v[6:7], v[12:13], v[6:7]
	s_waitcnt lgkmcnt(1)
	v_add_f64 v[4:5], v[4:5], v[8:9]
	v_add_f64 v[6:7], v[6:7], v[10:11]
	;; [unrolled: 3-line block ×3, first 2 shown]
.LBB194_95:
	s_or_b64 exec, exec, s[8:9]
	s_load_dwordx2 s[0:1], s[0:1], 0x78
	s_mul_hi_u32 s6, s3, s26
	s_mul_i32 s33, s33, s26
	s_add_i32 s6, s6, s33
	s_mul_i32 s8, s3, s26
	s_mul_i32 s6, s6, s27
	s_mul_hi_u32 s7, s8, s27
	s_add_i32 s7, s7, s6
	s_mul_i32 s6, s8, s27
	s_lshl_b64 s[6:7], s[6:7], 4
	s_waitcnt lgkmcnt(0)
	s_add_u32 s6, s0, s6
	s_mul_i32 s0, s3, s2
	s_addc_u32 s7, s1, s7
	s_ashr_i32 s1, s0, 31
	s_lshl_b64 s[0:1], s[0:1], 4
	s_add_u32 s6, s6, s0
	v_cmp_le_i32_e32 vcc, s28, v159
	s_addc_u32 s7, s7, s1
	s_and_b64 vcc, s[36:37], vcc
	s_cmp_lt_i32 s2, 1
	v_lshlrev_b32_e32 v150, 4, v159
	s_barrier
	s_cbranch_scc1 .LBB194_102
; %bb.96:
	s_mul_i32 s0, s22, s31
	s_mul_hi_u32 s1, s22, s30
	s_add_i32 s0, s1, s0
	s_mul_i32 s1, s23, s30
	s_add_i32 s1, s0, s1
	s_mul_i32 s0, s22, s30
	s_lshl_b64 s[0:1], s[0:1], 4
	v_mov_b32_e32 v4, s1
	v_subrev_co_u32_e64 v152, s[0:1], s0, v36
	v_lshlrev_b64 v[6:7], 4, v[38:39]
	s_nop 0
	v_subb_co_u32_e64 v153, s[0:1], v37, v4, s[0:1]
	s_lshl_b64 s[0:1], s[34:35], 4
	s_nop 0
	v_mov_b32_e32 v5, s1
	v_subrev_co_u32_e64 v4, s[0:1], s0, v40
	v_lshlrev_b32_e32 v9, 2, v158
	s_nop 0
	v_subb_co_u32_e64 v5, s[0:1], v41, v5, s[0:1]
	s_movk_i32 s0, 0xfe00
	s_mov_b32 s1, -1
	v_lshl_add_u64 v[4:5], v[4:5], 0, s[0:1]
	v_sub_co_u32_e64 v4, s[0:1], v4, v6
	s_ashr_i32 s29, s28, 31
	s_nop 0
	v_subb_co_u32_e64 v5, s[0:1], v5, v7, s[0:1]
	v_mad_u64_u32 v[6:7], s[0:1], s24, v9, 0
	v_mov_b32_e32 v8, v7
	v_mad_u64_u32 v[8:9], s[0:1], s25, v9, v[8:9]
	v_mov_b32_e32 v7, v8
	v_lshl_add_u64 v[4:5], v[6:7], 4, v[4:5]
	v_mov_b32_e32 v155, 0
	v_lshl_add_u64 v[6:7], s[28:29], 4, v[4:5]
	v_mov_b32_e32 v151, v155
	v_lshl_add_u64 v[6:7], v[6:7], 0, -16
	v_lshl_add_u64 v[4:5], v[4:5], 0, v[150:151]
	v_cndmask_b32_e32 v9, v5, v7, vcc
	v_and_b32_e32 v5, 48, v159
	v_lshrrev_b32_e32 v10, 4, v42
	v_and_b32_e32 v11, 15, v159
	v_cndmask_b32_e32 v8, v4, v6, vcc
	v_mov_b32_e32 v4, 0x4300
	s_movk_i32 s3, 0x430
	v_lshlrev_b32_e32 v5, 4, v5
	v_lshl_add_u32 v160, v158, 6, v4
	v_lshlrev_b32_e32 v4, 6, v10
	v_mad_u32_u24 v164, v11, s3, v5
	v_or_b32_e32 v5, 0xf0, v150
	s_movk_i32 s0, 0x10c0
	v_mad_u32_u24 v163, v11, s3, v4
	v_mul_i32_i24_e32 v4, 0xffffffd0, v10
	v_mad_u32_u24 v165, v11, s3, v5
	s_mul_i32 s3, s25, 0xd0
	s_mul_hi_u32 s10, s24, 0xd0
	v_add_u32_e32 v151, 0x4300, v150
	v_add_u32_e32 v161, 0x4700, v150
	v_mad_u32_u24 v162, v158, s0, v150
	v_cmp_gt_u32_e64 s[0:1], 64, v42
	s_lshl_b64 s[8:9], s[24:25], 4
	s_add_i32 s11, s10, s3
	s_mul_i32 s10, s24, 0xd0
	s_mov_b32 s3, 0
	v_add_u32_e32 v166, v163, v4
	s_branch .LBB194_98
.LBB194_97:                             ;   in Loop: Header=BB194_98 Depth=1
	s_or_b64 exec, exec, s[12:13]
	v_mul_f64 v[132:133], v[6:7], v[34:35]
	v_fma_f64 v[132:133], v[4:5], v[32:33], -v[132:133]
	v_mul_f64 v[4:5], v[4:5], v[34:35]
	v_mul_f64 v[34:35], v[10:11], v[30:31]
	v_add_f64 v[0:1], v[0:1], v[132:133]
	v_fma_f64 v[34:35], v[8:9], v[28:29], -v[34:35]
	v_mul_f64 v[8:9], v[8:9], v[30:31]
	v_mul_f64 v[30:31], v[14:15], v[26:27]
	v_add_f64 v[0:1], v[0:1], v[34:35]
	v_fma_f64 v[30:31], v[12:13], v[24:25], -v[30:31]
	v_mul_f64 v[12:13], v[12:13], v[26:27]
	v_mul_f64 v[26:27], v[18:19], v[22:23]
	v_fmac_f64_e32 v[4:5], v[6:7], v[32:33]
	v_add_f64 v[0:1], v[0:1], v[30:31]
	v_fma_f64 v[26:27], v[16:17], v[20:21], -v[26:27]
	v_add_f64 v[2:3], v[2:3], v[4:5]
	v_mul_f64 v[4:5], v[38:39], v[70:71]
	v_add_f64 v[0:1], v[0:1], v[26:27]
	v_fma_f64 v[4:5], v[36:37], v[68:69], -v[4:5]
	v_add_f64 v[0:1], v[0:1], v[4:5]
	v_mul_f64 v[4:5], v[42:43], v[66:67]
	v_fma_f64 v[4:5], v[40:41], v[64:65], -v[4:5]
	v_add_f64 v[0:1], v[0:1], v[4:5]
	v_mul_f64 v[4:5], v[46:47], v[58:59]
	;; [unrolled: 3-line block ×4, first 2 shown]
	v_fmac_f64_e32 v[8:9], v[10:11], v[28:29]
	v_fma_f64 v[4:5], v[60:61], v[108:109], -v[4:5]
	v_mul_f64 v[16:17], v[16:17], v[22:23]
	v_add_f64 v[2:3], v[2:3], v[8:9]
	v_fmac_f64_e32 v[12:13], v[14:15], v[24:25]
	v_add_f64 v[0:1], v[0:1], v[4:5]
	v_mul_f64 v[4:5], v[74:75], v[106:107]
	v_add_f64 v[2:3], v[2:3], v[12:13]
	v_fmac_f64_e32 v[16:17], v[18:19], v[20:21]
	v_mul_f64 v[6:7], v[36:37], v[70:71]
	v_fma_f64 v[4:5], v[72:73], v[104:105], -v[4:5]
	v_add_f64 v[2:3], v[2:3], v[16:17]
	v_mul_f64 v[8:9], v[40:41], v[66:67]
	v_fmac_f64_e32 v[6:7], v[38:39], v[68:69]
	v_add_f64 v[0:1], v[0:1], v[4:5]
	v_mul_f64 v[4:5], v[78:79], v[98:99]
	v_mul_f64 v[10:11], v[44:45], v[58:59]
	v_add_f64 v[2:3], v[2:3], v[6:7]
	v_fmac_f64_e32 v[8:9], v[42:43], v[64:65]
	v_fma_f64 v[4:5], v[76:77], v[96:97], -v[4:5]
	v_mul_f64 v[12:13], v[48:49], v[54:55]
	v_add_f64 v[2:3], v[2:3], v[8:9]
	v_fmac_f64_e32 v[10:11], v[46:47], v[56:57]
	v_add_f64 v[0:1], v[0:1], v[4:5]
	v_mul_f64 v[4:5], v[82:83], v[86:87]
	v_add_f64 v[2:3], v[2:3], v[10:11]
	v_fmac_f64_e32 v[12:13], v[50:51], v[52:53]
	v_mul_f64 v[6:7], v[60:61], v[110:111]
	v_fma_f64 v[4:5], v[80:81], v[84:85], -v[4:5]
	v_add_f64 v[2:3], v[2:3], v[12:13]
	v_mul_f64 v[8:9], v[72:73], v[106:107]
	v_add_f64 v[0:1], v[0:1], v[4:5]
	v_fmac_f64_e32 v[6:7], v[62:63], v[108:109]
	v_mul_f64 v[4:5], v[90:91], v[118:119]
	v_mul_f64 v[10:11], v[76:77], v[98:99]
	v_add_f64 v[2:3], v[2:3], v[6:7]
	v_fmac_f64_e32 v[8:9], v[74:75], v[104:105]
	v_fma_f64 v[4:5], v[88:89], v[116:117], -v[4:5]
	v_mul_f64 v[12:13], v[80:81], v[86:87]
	v_add_f64 v[2:3], v[2:3], v[8:9]
	v_fmac_f64_e32 v[10:11], v[78:79], v[96:97]
	v_add_f64 v[0:1], v[0:1], v[4:5]
	v_mul_f64 v[4:5], v[94:95], v[122:123]
	v_add_f64 v[2:3], v[2:3], v[10:11]
	v_fmac_f64_e32 v[12:13], v[82:83], v[84:85]
	v_mul_f64 v[6:7], v[88:89], v[118:119]
	v_fma_f64 v[4:5], v[92:93], v[120:121], -v[4:5]
	v_add_f64 v[2:3], v[2:3], v[12:13]
	v_mul_f64 v[8:9], v[92:93], v[122:123]
	v_add_f64 v[0:1], v[0:1], v[4:5]
	v_mul_f64 v[4:5], v[102:103], v[126:127]
	v_fmac_f64_e32 v[6:7], v[90:91], v[116:117]
	v_fma_f64 v[4:5], v[100:101], v[124:125], -v[4:5]
	v_mul_f64 v[10:11], v[100:101], v[126:127]
	v_fmac_f64_e32 v[8:9], v[94:95], v[120:121]
	v_add_f64 v[2:3], v[2:3], v[6:7]
	v_add_f64 v[0:1], v[0:1], v[4:5]
	v_mul_f64 v[4:5], v[114:115], v[130:131]
	v_mul_f64 v[12:13], v[112:113], v[130:131]
	v_fmac_f64_e32 v[10:11], v[102:103], v[124:125]
	v_add_f64 v[2:3], v[2:3], v[8:9]
	v_fma_f64 v[4:5], v[112:113], v[128:129], -v[4:5]
	v_fmac_f64_e32 v[12:13], v[114:115], v[128:129]
	v_add_f64 v[2:3], v[2:3], v[10:11]
	s_add_i32 s3, s3, 64
	s_add_i32 s2, s2, -1
	v_add_f64 v[0:1], v[0:1], v[4:5]
	v_add_f64 v[2:3], v[2:3], v[12:13]
	s_cmp_eq_u32 s2, 0
	v_lshl_add_u64 v[8:9], v[156:157], 0, s[10:11]
	s_barrier
	s_cbranch_scc1 .LBB194_102
.LBB194_98:                             ; =>This Inner Loop Header: Depth=1
	s_and_saveexec_b64 s[12:13], s[18:19]
	s_cbranch_execz .LBB194_100
; %bb.99:                               ;   in Loop: Header=BB194_98 Depth=1
	s_mul_i32 s14, s23, s3
	s_mul_hi_u32 s15, s22, s3
	s_add_i32 s15, s15, s14
	s_mul_i32 s14, s22, s3
	v_lshl_add_u64 v[4:5], s[14:15], 4, v[152:153]
	flat_load_dwordx4 v[4:7], v[4:5]
	s_waitcnt vmcnt(0) lgkmcnt(0)
	ds_write2_b64 v151, v[4:5], v[6:7] offset1:1
.LBB194_100:                            ;   in Loop: Header=BB194_98 Depth=1
	s_or_b64 exec, exec, s[12:13]
	s_waitcnt lgkmcnt(0)
	s_barrier
	flat_load_dwordx4 v[4:7], v[8:9]
	v_lshl_add_u64 v[12:13], v[8:9], 0, s[8:9]
	flat_load_dwordx4 v[8:11], v[12:13]
	v_lshl_add_u64 v[16:17], v[12:13], 0, s[8:9]
	;; [unrolled: 2-line block ×3, first 2 shown]
	flat_load_dwordx4 v[16:19], v[40:41]
	ds_read_b128 v[36:39], v161
	ds_read_b128 v[32:35], v160
	ds_read_b128 v[28:31], v160 offset:16
	ds_read_b128 v[24:27], v160 offset:32
	ds_read_b128 v[20:23], v160 offset:48
	v_lshl_add_u64 v[48:49], v[40:41], 0, s[10:11]
	s_waitcnt vmcnt(0) lgkmcnt(0)
	v_mul_f64 v[40:41], v[6:7], v[38:39]
	v_mul_f64 v[42:43], v[4:5], v[38:39]
	v_fma_f64 v[40:41], v[4:5], v[36:37], -v[40:41]
	v_fmac_f64_e32 v[42:43], v[6:7], v[36:37]
	v_mul_f64 v[46:47], v[10:11], v[38:39]
	v_mul_f64 v[44:45], v[8:9], v[38:39]
	ds_write_b128 v162, v[40:43]
	v_fma_f64 v[42:43], v[8:9], v[36:37], -v[46:47]
	v_fmac_f64_e32 v[44:45], v[10:11], v[36:37]
	v_mul_f64 v[40:41], v[14:15], v[38:39]
	v_mul_f64 v[46:47], v[12:13], v[38:39]
	ds_write_b128 v162, v[42:45] offset:1072
	v_fma_f64 v[44:45], v[12:13], v[36:37], -v[40:41]
	v_fmac_f64_e32 v[46:47], v[14:15], v[36:37]
	v_mul_f64 v[42:43], v[18:19], v[38:39]
	v_mul_f64 v[40:41], v[16:17], v[38:39]
	ds_write_b128 v162, v[44:47] offset:2144
	v_fma_f64 v[38:39], v[16:17], v[36:37], -v[42:43]
	v_fmac_f64_e32 v[40:41], v[18:19], v[36:37]
	v_lshl_add_u64 v[44:45], v[48:49], 0, s[8:9]
	ds_write_b128 v162, v[38:41] offset:3216
	s_waitcnt lgkmcnt(0)
	s_barrier
	ds_read_b128 v[128:131], v163
	ds_read_b128 v[124:127], v163 offset:16
	ds_read_b128 v[120:123], v163 offset:32
	;; [unrolled: 1-line block ×3, first 2 shown]
	s_waitcnt lgkmcnt(0)
	s_barrier
	flat_load_dwordx4 v[36:39], v[48:49]
	flat_load_dwordx4 v[40:43], v[44:45]
	v_lshl_add_u64 v[48:49], v[44:45], 0, s[8:9]
	v_lshl_add_u64 v[52:53], v[48:49], 0, s[8:9]
	flat_load_dwordx4 v[44:47], v[48:49]
	v_lshl_add_u64 v[88:89], v[52:53], 0, s[10:11]
	flat_load_dwordx4 v[48:51], v[52:53]
	ds_read_b128 v[60:63], v161
	ds_read_b128 v[68:71], v160 offset:256
	ds_read_b128 v[64:67], v160 offset:272
	;; [unrolled: 1-line block ×4, first 2 shown]
	v_add_f64 v[128:129], v[128:129], 0
	v_add_f64 v[130:131], v[130:131], 0
	;; [unrolled: 1-line block ×8, first 2 shown]
	s_waitcnt vmcnt(0) lgkmcnt(0)
	v_mul_f64 v[72:73], v[38:39], v[62:63]
	v_mul_f64 v[74:75], v[36:37], v[62:63]
	;; [unrolled: 1-line block ×8, first 2 shown]
	v_fma_f64 v[72:73], v[36:37], v[60:61], -v[72:73]
	v_fma_f64 v[76:77], v[40:41], v[60:61], -v[76:77]
	v_fmac_f64_e32 v[74:75], v[38:39], v[60:61]
	v_fma_f64 v[80:81], v[44:45], v[60:61], -v[80:81]
	v_fma_f64 v[84:85], v[48:49], v[60:61], -v[84:85]
	v_fmac_f64_e32 v[78:79], v[42:43], v[60:61]
	v_fmac_f64_e32 v[82:83], v[46:47], v[60:61]
	v_fmac_f64_e32 v[86:87], v[50:51], v[60:61]
	ds_write_b128 v162, v[72:75]
	ds_write_b128 v162, v[76:79] offset:1072
	ds_write_b128 v162, v[80:83] offset:2144
	;; [unrolled: 1-line block ×3, first 2 shown]
	v_lshl_add_u64 v[76:77], v[88:89], 0, s[8:9]
	v_lshl_add_u64 v[80:81], v[76:77], 0, s[8:9]
	s_waitcnt lgkmcnt(0)
	s_barrier
	ds_read_b128 v[144:147], v163
	ds_read_b128 v[140:143], v163 offset:16
	ds_read_b128 v[136:139], v163 offset:32
	;; [unrolled: 1-line block ×3, first 2 shown]
	s_waitcnt lgkmcnt(0)
	s_barrier
	flat_load_dwordx4 v[60:63], v[88:89]
	flat_load_dwordx4 v[72:75], v[76:77]
	v_lshl_add_u64 v[84:85], v[80:81], 0, s[8:9]
	flat_load_dwordx4 v[76:79], v[80:81]
	v_lshl_add_u64 v[94:95], v[84:85], 0, s[10:11]
	flat_load_dwordx4 v[80:83], v[84:85]
	ds_read_b128 v[88:91], v161
	ds_read_b128 v[108:111], v160 offset:512
	ds_read_b128 v[104:107], v160 offset:528
	ds_read_b128 v[96:99], v160 offset:544
	ds_read_b128 v[84:87], v160 offset:560
	v_add_f64 v[116:117], v[144:145], 0
	v_add_f64 v[118:119], v[146:147], 0
	;; [unrolled: 1-line block ×8, first 2 shown]
	s_waitcnt vmcnt(0) lgkmcnt(0)
	v_mul_f64 v[100:101], v[62:63], v[90:91]
	v_mul_f64 v[92:93], v[60:61], v[90:91]
	;; [unrolled: 1-line block ×8, first 2 shown]
	v_fma_f64 v[90:91], v[60:61], v[88:89], -v[100:101]
	v_fma_f64 v[100:101], v[72:73], v[88:89], -v[112:113]
	v_fmac_f64_e32 v[92:93], v[62:63], v[88:89]
	v_fma_f64 v[112:113], v[76:77], v[88:89], -v[156:157]
	v_fma_f64 v[168:169], v[80:81], v[88:89], -v[168:169]
	v_fmac_f64_e32 v[102:103], v[74:75], v[88:89]
	v_fmac_f64_e32 v[114:115], v[78:79], v[88:89]
	v_fmac_f64_e32 v[170:171], v[82:83], v[88:89]
	ds_write_b128 v162, v[90:93]
	ds_write_b128 v162, v[100:103] offset:1072
	ds_write_b128 v162, v[112:115] offset:2144
	;; [unrolled: 1-line block ×3, first 2 shown]
	v_lshl_add_u64 v[100:101], v[94:95], 0, s[8:9]
	v_lshl_add_u64 v[112:113], v[100:101], 0, s[8:9]
	s_waitcnt lgkmcnt(0)
	s_barrier
	ds_read_b128 v[168:171], v163
	ds_read_b128 v[172:175], v163 offset:16
	ds_read_b128 v[176:179], v163 offset:32
	;; [unrolled: 1-line block ×3, first 2 shown]
	s_waitcnt lgkmcnt(0)
	s_barrier
	flat_load_dwordx4 v[88:91], v[94:95]
	v_lshl_add_u64 v[156:157], v[112:113], 0, s[8:9]
	flat_load_dwordx4 v[92:95], v[100:101]
	v_add_f64 v[140:141], v[168:169], 0
	flat_load_dwordx4 v[100:103], v[112:113]
	v_add_f64 v[142:143], v[170:171], 0
	flat_load_dwordx4 v[112:115], v[156:157]
	ds_read_b128 v[136:139], v161
	ds_read_b128 v[116:119], v160 offset:768
	ds_read_b128 v[120:123], v160 offset:784
	;; [unrolled: 1-line block ×4, first 2 shown]
	v_add_f64 v[140:141], v[140:141], v[172:173]
	v_add_f64 v[142:143], v[142:143], v[174:175]
	;; [unrolled: 1-line block ×6, first 2 shown]
	s_waitcnt vmcnt(0) lgkmcnt(0)
	v_mul_f64 v[144:145], v[90:91], v[138:139]
	v_mul_f64 v[146:147], v[88:89], v[138:139]
	;; [unrolled: 1-line block ×8, first 2 shown]
	v_fma_f64 v[144:145], v[88:89], v[136:137], -v[144:145]
	v_fma_f64 v[168:169], v[92:93], v[136:137], -v[168:169]
	;; [unrolled: 1-line block ×3, first 2 shown]
	v_fmac_f64_e32 v[146:147], v[90:91], v[136:137]
	v_fmac_f64_e32 v[170:171], v[94:95], v[136:137]
	;; [unrolled: 1-line block ×3, first 2 shown]
	v_fma_f64 v[176:177], v[112:113], v[136:137], -v[176:177]
	v_fmac_f64_e32 v[178:179], v[114:115], v[136:137]
	ds_write_b128 v162, v[144:147]
	ds_write_b128 v162, v[168:171] offset:1072
	ds_write_b128 v162, v[172:175] offset:2144
	;; [unrolled: 1-line block ×3, first 2 shown]
	s_waitcnt lgkmcnt(0)
	s_barrier
	ds_read_b128 v[136:139], v163
	ds_read_b128 v[144:147], v163 offset:16
	ds_read_b128 v[168:171], v163 offset:32
	;; [unrolled: 1-line block ×3, first 2 shown]
	s_waitcnt lgkmcnt(0)
	s_barrier
	ds_write_b128 v166, v[184:187]
	ds_write_b128 v166, v[132:135] offset:256
	ds_write_b128 v166, v[140:143] offset:512
	v_add_f64 v[132:133], v[136:137], 0
	v_add_f64 v[134:135], v[138:139], 0
	v_add_f64 v[132:133], v[132:133], v[144:145]
	v_add_f64 v[134:135], v[134:135], v[146:147]
	v_add_f64 v[132:133], v[132:133], v[168:169]
	v_add_f64 v[134:135], v[134:135], v[170:171]
	v_add_f64 v[132:133], v[132:133], v[172:173]
	v_add_f64 v[134:135], v[134:135], v[174:175]
	ds_write_b128 v166, v[132:135] offset:768
	s_waitcnt lgkmcnt(0)
	s_barrier
	s_and_saveexec_b64 s[12:13], s[0:1]
	s_cbranch_execz .LBB194_97
; %bb.101:                              ;   in Loop: Header=BB194_98 Depth=1
	ds_read_b128 v[132:135], v164
	ds_read_b128 v[136:139], v164 offset:16
	ds_read_b128 v[140:143], v164 offset:32
	;; [unrolled: 1-line block ×3, first 2 shown]
	v_add_u32_e32 v154, s3, v159
	s_waitcnt lgkmcnt(2)
	v_add_f64 v[132:133], v[136:137], v[132:133]
	v_add_f64 v[136:137], v[138:139], v[134:135]
	s_waitcnt lgkmcnt(1)
	v_add_f64 v[138:139], v[132:133], v[140:141]
	ds_read_b128 v[132:135], v164 offset:64
	v_add_f64 v[140:141], v[136:137], v[142:143]
	s_waitcnt lgkmcnt(1)
	v_add_f64 v[142:143], v[138:139], v[144:145]
	ds_read_b128 v[136:139], v164 offset:80
	v_add_f64 v[144:145], v[140:141], v[146:147]
	s_waitcnt lgkmcnt(1)
	v_add_f64 v[132:133], v[142:143], v[132:133]
	ds_read_b128 v[140:143], v164 offset:96
	v_add_f64 v[144:145], v[144:145], v[134:135]
	s_waitcnt lgkmcnt(1)
	v_add_f64 v[136:137], v[132:133], v[136:137]
	ds_read_b128 v[132:135], v164 offset:112
	v_add_f64 v[144:145], v[144:145], v[138:139]
	s_waitcnt lgkmcnt(1)
	v_add_f64 v[140:141], v[136:137], v[140:141]
	ds_read_b128 v[136:139], v164 offset:128
	v_add_f64 v[144:145], v[144:145], v[142:143]
	s_waitcnt lgkmcnt(1)
	v_add_f64 v[132:133], v[140:141], v[132:133]
	ds_read_b128 v[140:143], v164 offset:144
	v_add_f64 v[144:145], v[144:145], v[134:135]
	s_waitcnt lgkmcnt(1)
	v_add_f64 v[136:137], v[132:133], v[136:137]
	ds_read_b128 v[132:135], v164 offset:160
	v_add_f64 v[144:145], v[144:145], v[138:139]
	s_waitcnt lgkmcnt(1)
	v_add_f64 v[140:141], v[136:137], v[140:141]
	ds_read_b128 v[136:139], v164 offset:176
	v_add_f64 v[144:145], v[144:145], v[142:143]
	s_waitcnt lgkmcnt(1)
	v_add_f64 v[132:133], v[140:141], v[132:133]
	ds_read_b128 v[140:143], v164 offset:192
	v_add_f64 v[134:135], v[144:145], v[134:135]
	s_waitcnt lgkmcnt(1)
	v_add_f64 v[136:137], v[132:133], v[136:137]
	v_add_f64 v[144:145], v[134:135], v[138:139]
	ds_read_b128 v[132:135], v164 offset:208
	s_waitcnt lgkmcnt(1)
	v_add_f64 v[146:147], v[136:137], v[140:141]
	ds_read_b128 v[136:139], v164 offset:224
	v_add_f64 v[144:145], v[144:145], v[142:143]
	ds_read_b128 v[140:143], v165
	s_waitcnt lgkmcnt(2)
	v_add_f64 v[132:133], v[146:147], v[132:133]
	v_add_f64 v[134:135], v[144:145], v[134:135]
	s_waitcnt lgkmcnt(1)
	v_add_f64 v[132:133], v[132:133], v[136:137]
	v_add_f64 v[134:135], v[134:135], v[138:139]
	;; [unrolled: 3-line block ×3, first 2 shown]
	v_lshl_add_u64 v[136:137], v[154:155], 4, s[6:7]
	global_store_dwordx4 v[136:137], v[132:135], off
	s_branch .LBB194_97
.LBB194_102:
	s_movk_i32 s0, 0x430
	v_mad_u32_u24 v4, v158, s0, v150
	s_nor_b64 s[0:1], s[4:5], vcc
	ds_write_b128 v4, v[0:3]
	s_waitcnt lgkmcnt(0)
	s_barrier
	s_and_saveexec_b64 s[2:3], s[0:1]
	s_cbranch_execz .LBB194_104
; %bb.103:
	ds_read_b128 v[0:3], v150 offset:1072
	ds_read_b128 v[4:7], v150
	ds_read_b128 v[8:11], v150 offset:2144
	ds_read_b128 v[12:15], v150 offset:3216
	s_waitcnt lgkmcnt(2)
	v_add_f64 v[0:1], v[0:1], v[4:5]
	v_add_f64 v[2:3], v[2:3], v[6:7]
	s_waitcnt lgkmcnt(1)
	v_add_f64 v[0:1], v[0:1], v[8:9]
	v_add_f64 v[2:3], v[2:3], v[10:11]
	;; [unrolled: 3-line block ×3, first 2 shown]
	v_lshl_add_u64 v[4:5], v[148:149], 4, s[6:7]
	global_store_dwordx4 v[4:5], v[0:3], off
.LBB194_104:
	s_endpgm
	.section	.rodata,"a",@progbits
	.p2align	6, 0x0
	.amdhsa_kernel _ZL26rocblas_hemvn_kernel_lowerILb0ELi64ELi4ELi33ELi32ELi16El19rocblas_complex_numIdEPKPKS1_PS1_EviT6_lT7_lT5_lS8_lS9_lS7_lT8_i
		.amdhsa_group_segment_fixed_size 19200
		.amdhsa_private_segment_fixed_size 0
		.amdhsa_kernarg_size 392
		.amdhsa_user_sgpr_count 2
		.amdhsa_user_sgpr_dispatch_ptr 0
		.amdhsa_user_sgpr_queue_ptr 0
		.amdhsa_user_sgpr_kernarg_segment_ptr 1
		.amdhsa_user_sgpr_dispatch_id 0
		.amdhsa_user_sgpr_kernarg_preload_length 0
		.amdhsa_user_sgpr_kernarg_preload_offset 0
		.amdhsa_user_sgpr_private_segment_size 0
		.amdhsa_uses_dynamic_stack 0
		.amdhsa_enable_private_segment 0
		.amdhsa_system_sgpr_workgroup_id_x 1
		.amdhsa_system_sgpr_workgroup_id_y 0
		.amdhsa_system_sgpr_workgroup_id_z 1
		.amdhsa_system_sgpr_workgroup_info 0
		.amdhsa_system_vgpr_workitem_id 1
		.amdhsa_next_free_vgpr 188
		.amdhsa_next_free_sgpr 42
		.amdhsa_accum_offset 188
		.amdhsa_reserve_vcc 1
		.amdhsa_float_round_mode_32 0
		.amdhsa_float_round_mode_16_64 0
		.amdhsa_float_denorm_mode_32 3
		.amdhsa_float_denorm_mode_16_64 3
		.amdhsa_dx10_clamp 1
		.amdhsa_ieee_mode 1
		.amdhsa_fp16_overflow 0
		.amdhsa_tg_split 0
		.amdhsa_exception_fp_ieee_invalid_op 0
		.amdhsa_exception_fp_denorm_src 0
		.amdhsa_exception_fp_ieee_div_zero 0
		.amdhsa_exception_fp_ieee_overflow 0
		.amdhsa_exception_fp_ieee_underflow 0
		.amdhsa_exception_fp_ieee_inexact 0
		.amdhsa_exception_int_div_zero 0
	.end_amdhsa_kernel
	.section	.text._ZL26rocblas_hemvn_kernel_lowerILb0ELi64ELi4ELi33ELi32ELi16El19rocblas_complex_numIdEPKPKS1_PS1_EviT6_lT7_lT5_lS8_lS9_lS7_lT8_i,"axG",@progbits,_ZL26rocblas_hemvn_kernel_lowerILb0ELi64ELi4ELi33ELi32ELi16El19rocblas_complex_numIdEPKPKS1_PS1_EviT6_lT7_lT5_lS8_lS9_lS7_lT8_i,comdat
.Lfunc_end194:
	.size	_ZL26rocblas_hemvn_kernel_lowerILb0ELi64ELi4ELi33ELi32ELi16El19rocblas_complex_numIdEPKPKS1_PS1_EviT6_lT7_lT5_lS8_lS9_lS7_lT8_i, .Lfunc_end194-_ZL26rocblas_hemvn_kernel_lowerILb0ELi64ELi4ELi33ELi32ELi16El19rocblas_complex_numIdEPKPKS1_PS1_EviT6_lT7_lT5_lS8_lS9_lS7_lT8_i
                                        ; -- End function
	.set _ZL26rocblas_hemvn_kernel_lowerILb0ELi64ELi4ELi33ELi32ELi16El19rocblas_complex_numIdEPKPKS1_PS1_EviT6_lT7_lT5_lS8_lS9_lS7_lT8_i.num_vgpr, 188
	.set _ZL26rocblas_hemvn_kernel_lowerILb0ELi64ELi4ELi33ELi32ELi16El19rocblas_complex_numIdEPKPKS1_PS1_EviT6_lT7_lT5_lS8_lS9_lS7_lT8_i.num_agpr, 0
	.set _ZL26rocblas_hemvn_kernel_lowerILb0ELi64ELi4ELi33ELi32ELi16El19rocblas_complex_numIdEPKPKS1_PS1_EviT6_lT7_lT5_lS8_lS9_lS7_lT8_i.numbered_sgpr, 42
	.set _ZL26rocblas_hemvn_kernel_lowerILb0ELi64ELi4ELi33ELi32ELi16El19rocblas_complex_numIdEPKPKS1_PS1_EviT6_lT7_lT5_lS8_lS9_lS7_lT8_i.num_named_barrier, 0
	.set _ZL26rocblas_hemvn_kernel_lowerILb0ELi64ELi4ELi33ELi32ELi16El19rocblas_complex_numIdEPKPKS1_PS1_EviT6_lT7_lT5_lS8_lS9_lS7_lT8_i.private_seg_size, 0
	.set _ZL26rocblas_hemvn_kernel_lowerILb0ELi64ELi4ELi33ELi32ELi16El19rocblas_complex_numIdEPKPKS1_PS1_EviT6_lT7_lT5_lS8_lS9_lS7_lT8_i.uses_vcc, 1
	.set _ZL26rocblas_hemvn_kernel_lowerILb0ELi64ELi4ELi33ELi32ELi16El19rocblas_complex_numIdEPKPKS1_PS1_EviT6_lT7_lT5_lS8_lS9_lS7_lT8_i.uses_flat_scratch, 0
	.set _ZL26rocblas_hemvn_kernel_lowerILb0ELi64ELi4ELi33ELi32ELi16El19rocblas_complex_numIdEPKPKS1_PS1_EviT6_lT7_lT5_lS8_lS9_lS7_lT8_i.has_dyn_sized_stack, 0
	.set _ZL26rocblas_hemvn_kernel_lowerILb0ELi64ELi4ELi33ELi32ELi16El19rocblas_complex_numIdEPKPKS1_PS1_EviT6_lT7_lT5_lS8_lS9_lS7_lT8_i.has_recursion, 0
	.set _ZL26rocblas_hemvn_kernel_lowerILb0ELi64ELi4ELi33ELi32ELi16El19rocblas_complex_numIdEPKPKS1_PS1_EviT6_lT7_lT5_lS8_lS9_lS7_lT8_i.has_indirect_call, 0
	.section	.AMDGPU.csdata,"",@progbits
; Kernel info:
; codeLenInByte = 8952
; TotalNumSgprs: 48
; NumVgprs: 188
; NumAgprs: 0
; TotalNumVgprs: 188
; ScratchSize: 0
; MemoryBound: 0
; FloatMode: 240
; IeeeMode: 1
; LDSByteSize: 19200 bytes/workgroup (compile time only)
; SGPRBlocks: 5
; VGPRBlocks: 23
; NumSGPRsForWavesPerEU: 48
; NumVGPRsForWavesPerEU: 188
; AccumOffset: 188
; Occupancy: 2
; WaveLimiterHint : 0
; COMPUTE_PGM_RSRC2:SCRATCH_EN: 0
; COMPUTE_PGM_RSRC2:USER_SGPR: 2
; COMPUTE_PGM_RSRC2:TRAP_HANDLER: 0
; COMPUTE_PGM_RSRC2:TGID_X_EN: 1
; COMPUTE_PGM_RSRC2:TGID_Y_EN: 0
; COMPUTE_PGM_RSRC2:TGID_Z_EN: 1
; COMPUTE_PGM_RSRC2:TIDIG_COMP_CNT: 1
; COMPUTE_PGM_RSRC3_GFX90A:ACCUM_OFFSET: 46
; COMPUTE_PGM_RSRC3_GFX90A:TG_SPLIT: 0
	.section	.text._ZL26rocblas_hemvn_kernel_lowerILb0ELi64ELi4ELi33ELi32ELi16Ei19rocblas_complex_numIdEPKPKS1_PS1_EviT6_lT7_lT5_lS8_lS9_lS7_lT8_i,"axG",@progbits,_ZL26rocblas_hemvn_kernel_lowerILb0ELi64ELi4ELi33ELi32ELi16Ei19rocblas_complex_numIdEPKPKS1_PS1_EviT6_lT7_lT5_lS8_lS9_lS7_lT8_i,comdat
	.globl	_ZL26rocblas_hemvn_kernel_lowerILb0ELi64ELi4ELi33ELi32ELi16Ei19rocblas_complex_numIdEPKPKS1_PS1_EviT6_lT7_lT5_lS8_lS9_lS7_lT8_i ; -- Begin function _ZL26rocblas_hemvn_kernel_lowerILb0ELi64ELi4ELi33ELi32ELi16Ei19rocblas_complex_numIdEPKPKS1_PS1_EviT6_lT7_lT5_lS8_lS9_lS7_lT8_i
	.p2align	8
	.type	_ZL26rocblas_hemvn_kernel_lowerILb0ELi64ELi4ELi33ELi32ELi16Ei19rocblas_complex_numIdEPKPKS1_PS1_EviT6_lT7_lT5_lS8_lS9_lS7_lT8_i,@function
_ZL26rocblas_hemvn_kernel_lowerILb0ELi64ELi4ELi33ELi32ELi16Ei19rocblas_complex_numIdEPKPKS1_PS1_EviT6_lT7_lT5_lS8_lS9_lS7_lT8_i: ; @_ZL26rocblas_hemvn_kernel_lowerILb0ELi64ELi4ELi33ELi32ELi16Ei19rocblas_complex_numIdEPKPKS1_PS1_EviT6_lT7_lT5_lS8_lS9_lS7_lT8_i
; %bb.0:
	s_load_dwordx2 s[4:5], s[0:1], 0x94
	s_add_u32 s8, s0, 0x88
	s_mov_b32 s22, s3
	s_addc_u32 s9, s1, 0
	s_waitcnt lgkmcnt(0)
	s_and_b32 s3, s5, 0xffff
	s_lshr_b32 s5, s4, 16
	s_and_b32 s4, s4, 0xffff
	s_mul_i32 s4, s5, s4
	s_mul_i32 s4, s4, s3
	s_cmpk_lg_i32 s4, 0x100
	s_cbranch_scc1 .LBB195_104
; %bb.1:
	s_load_dwordx4 s[4:7], s[0:1], 0x8
	s_waitcnt lgkmcnt(0)
	v_cmp_neq_f64_e64 s[4:5], s[4:5], 0
	v_cmp_neq_f64_e64 s[6:7], s[6:7], 0
	s_or_b64 s[6:7], s[4:5], s[6:7]
	s_mov_b64 s[4:5], -1
	s_and_b64 vcc, exec, s[6:7]
	s_cbranch_vccnz .LBB195_3
; %bb.2:
	s_load_dwordx4 s[4:7], s[0:1], 0x60
	s_waitcnt lgkmcnt(0)
	v_cmp_eq_f64_e64 s[4:5], s[4:5], 1.0
	v_cmp_eq_f64_e64 s[6:7], s[6:7], 0
	s_and_b64 s[4:5], s[4:5], s[6:7]
	s_andn2_b64 vcc, exec, s[4:5]
	s_mov_b64 s[4:5], 0
.LBB195_3:
	s_andn2_b64 vcc, exec, s[4:5]
	s_cbranch_vccnz .LBB195_104
; %bb.4:
	s_load_dwordx4 s[4:7], s[0:1], 0x20
	s_load_dwordx4 s[12:15], s[0:1], 0x40
	s_load_dword s3, s[0:1], 0x50
	s_mov_b32 s23, 0
	s_lshl_b64 s[10:11], s[22:23], 3
	s_waitcnt lgkmcnt(0)
	s_add_u32 s4, s4, s10
	s_addc_u32 s5, s5, s11
	s_add_u32 s12, s12, s10
	s_addc_u32 s13, s13, s11
	s_load_dwordx2 s[16:17], s[12:13], 0x0
	s_load_dword s23, s[0:1], 0x0
	s_load_dword s33, s[8:9], 0x0
	s_load_dwordx2 s[10:11], s[4:5], 0x0
	s_lshl_b64 s[4:5], s[14:15], 4
	s_waitcnt lgkmcnt(0)
	s_add_u32 s4, s16, s4
	s_addc_u32 s5, s17, s5
	s_ashr_i32 s38, s23, 31
	s_lshr_b32 s9, s38, 26
	v_and_b32_e32 v150, 0x3ff, v0
	s_lshl_b32 s28, s2, 6
	s_add_i32 s9, s23, s9
	s_andn2_b32 s9, s9, 63
	v_add_u32_e32 v148, s28, v150
	v_bfe_u32 v149, v0, 10, 10
	s_add_i32 s8, s33, -1
	s_sub_i32 s9, s23, s9
	v_mul_lo_u32 v0, s3, v148
	s_cmp_eq_u32 s2, s8
	v_ashrrev_i32_e32 v1, 31, v0
	s_cselect_b32 s24, s9, 0
	v_lshl_add_u64 v[36:37], v[0:1], 4, s[4:5]
	v_cmp_ne_u32_e64 s[4:5], 0, v149
	v_cmp_eq_u32_e64 s[18:19], 0, v149
	s_and_saveexec_b64 s[8:9], s[18:19]
	s_cbranch_execz .LBB195_9
; %bb.5:
	s_cmp_lg_u32 s24, 0
	s_cselect_b64 s[12:13], -1, 0
	v_cmp_le_i32_e32 vcc, s24, v150
	v_mov_b32_e32 v0, 0x4700
	s_and_b64 s[12:13], s[12:13], vcc
	v_lshl_add_u32 v0, v150, 4, v0
	s_and_saveexec_b64 s[14:15], s[12:13]
	s_xor_b64 s[12:13], exec, s[14:15]
; %bb.6:
	v_mov_b32_e32 v2, 0
	v_mov_b32_e32 v3, v2
	;; [unrolled: 1-line block ×4, first 2 shown]
	ds_write_b128 v0, v[2:5]
                                        ; implicit-def: $vgpr0
; %bb.7:
	s_andn2_saveexec_b64 s[12:13], s[12:13]
	s_cbranch_execz .LBB195_9
; %bb.8:
	flat_load_dwordx4 v[2:5], v[36:37]
	s_waitcnt vmcnt(0) lgkmcnt(0)
	ds_write2_b64 v0, v[2:3], v[4:5] offset1:1
.LBB195_9:
	s_or_b64 exec, exec, s[8:9]
	s_load_dword s26, s[0:1], 0x30
	s_lshl_b64 s[6:7], s[6:7], 4
	s_add_u32 s8, s10, s6
	s_addc_u32 s9, s11, s7
	s_ashr_i32 s29, s28, 31
	v_lshl_add_u32 v42, v149, 6, v150
	s_lshl_b64 s[6:7], s[28:29], 4
	v_and_b32_e32 v6, 31, v150
	v_lshrrev_b32_e32 v12, 5, v42
	s_add_u32 s6, s8, s6
	s_waitcnt lgkmcnt(0)
	s_mul_i32 s30, s26, s28
	s_addc_u32 s7, s9, s7
	v_mad_u64_u32 v[38:39], s[8:9], s26, v12, v[6:7]
	s_ashr_i32 s31, s30, 31
	v_ashrrev_i32_e32 v39, 31, v38
	s_cmp_lg_u32 s24, 0
	v_lshl_add_u64 v[0:1], v[38:39], 4, s[6:7]
	s_cselect_b64 s[34:35], -1, 0
	s_cmp_eq_u32 s24, 0
	v_lshl_add_u64 v[8:9], s[30:31], 4, v[0:1]
	s_cselect_b64 s[20:21], -1, 0
	s_mov_b64 s[6:7], -1
	s_and_b64 vcc, exec, s[34:35]
	s_cbranch_vccnz .LBB195_11
; %bb.10:
	flat_load_dwordx4 v[0:3], v[8:9]
	v_mul_u32_u24_e32 v4, 0x210, v12
	s_lshl_b32 s6, s26, 3
	v_lshl_add_u32 v7, v6, 4, v4
	s_ashr_i32 s7, s6, 31
	v_lshl_add_u64 v[4:5], s[6:7], 4, v[8:9]
	s_ashr_i32 s27, s26, 31
	s_lshl_b64 s[6:7], s[26:27], 7
	v_add_u32_e32 v10, 0x1080, v7
	s_waitcnt vmcnt(0) lgkmcnt(0)
	ds_write2_b64 v7, v[0:1], v[2:3] offset1:1
	flat_load_dwordx4 v[0:3], v[4:5]
	v_lshl_add_u64 v[4:5], v[4:5], 0, s[6:7]
	s_waitcnt vmcnt(0) lgkmcnt(0)
	ds_write2_b64 v10, v[0:1], v[2:3] offset1:1
	flat_load_dwordx4 v[0:3], v[4:5]
	v_add_u32_e32 v10, 0x2100, v7
	v_lshl_add_u64 v[4:5], v[4:5], 0, s[6:7]
	s_mov_b64 s[6:7], 0
	s_waitcnt vmcnt(0) lgkmcnt(0)
	ds_write2_b64 v10, v[0:1], v[2:3] offset1:1
	flat_load_dwordx4 v[0:3], v[4:5]
	v_add_u32_e32 v4, 0x3180, v7
	s_waitcnt vmcnt(0) lgkmcnt(0)
	ds_write2_b64 v4, v[0:1], v[2:3] offset1:1
.LBB195_11:
	s_andn2_b64 vcc, exec, s[6:7]
	v_lshlrev_b32_e32 v4, 4, v6
	s_cbranch_vccnz .LBB195_29
; %bb.12:
	v_sub_co_u32_e32 v0, vcc, v8, v4
	s_ashr_i32 s25, s24, 31
	s_nop 0
	v_subbrev_co_u32_e32 v1, vcc, 0, v9, vcc
	v_lshl_add_u64 v[0:1], s[24:25], 4, v[0:1]
	v_lshl_add_u64 v[0:1], v[0:1], 0, -16
	v_cmp_gt_i32_e32 vcc, s24, v6
	s_movk_i32 s8, 0x210
	v_cmp_le_i32_e64 s[6:7], s24, v12
	v_cndmask_b32_e32 v1, v1, v9, vcc
	v_cndmask_b32_e32 v0, v0, v8, vcc
	v_mad_u32_u24 v2, v12, s8, v4
	s_and_saveexec_b64 s[8:9], s[6:7]
	s_xor_b64 s[6:7], exec, s[8:9]
; %bb.13:
	v_mov_b32_e32 v14, 0
	v_mov_b32_e32 v15, v14
	;; [unrolled: 1-line block ×4, first 2 shown]
	ds_write_b128 v2, v[14:17]
                                        ; implicit-def: $vgpr2
; %bb.14:
	s_andn2_saveexec_b64 s[6:7], s[6:7]
	s_cbranch_execz .LBB195_16
; %bb.15:
	flat_load_dwordx4 v[14:17], v[0:1]
	s_waitcnt vmcnt(0) lgkmcnt(0)
	ds_write2_b64 v2, v[14:15], v[16:17] offset1:1
.LBB195_16:
	s_or_b64 exec, exec, s[6:7]
	v_add_u32_e32 v3, 8, v12
	v_mul_u32_u24_e32 v2, 0x210, v12
	v_cmp_le_i32_e64 s[6:7], s24, v3
	s_and_saveexec_b64 s[8:9], s[6:7]
	s_xor_b64 s[6:7], exec, s[8:9]
	s_cbranch_execz .LBB195_18
; %bb.17:
	v_mov_b32_e32 v14, 0
	v_add_u32_e32 v3, v2, v4
	v_mov_b32_e32 v15, v14
	v_mov_b32_e32 v16, v14
	;; [unrolled: 1-line block ×3, first 2 shown]
	ds_write_b128 v3, v[14:17] offset:4224
.LBB195_18:
	s_andn2_saveexec_b64 s[6:7], s[6:7]
	s_cbranch_execz .LBB195_20
; %bb.19:
	s_lshl_b32 s8, s26, 3
	s_ashr_i32 s9, s8, 31
	v_lshl_add_u64 v[10:11], s[8:9], 4, v[0:1]
	flat_load_dwordx4 v[14:17], v[10:11]
	s_movk_i32 s8, 0x1080
	v_add3_u32 v3, v2, v4, s8
	s_waitcnt vmcnt(0) lgkmcnt(0)
	ds_write2_b64 v3, v[14:15], v[16:17] offset1:1
.LBB195_20:
	s_or_b64 exec, exec, s[6:7]
	v_add_u32_e32 v3, 16, v12
	v_cmp_le_i32_e64 s[6:7], s24, v3
	s_and_saveexec_b64 s[8:9], s[6:7]
	s_xor_b64 s[6:7], exec, s[8:9]
	s_cbranch_execz .LBB195_22
; %bb.21:
	v_mov_b32_e32 v14, 0
	v_add_u32_e32 v3, v2, v4
	v_mov_b32_e32 v15, v14
	v_mov_b32_e32 v16, v14
	;; [unrolled: 1-line block ×3, first 2 shown]
	ds_write_b128 v3, v[14:17] offset:8448
.LBB195_22:
	s_andn2_saveexec_b64 s[6:7], s[6:7]
	s_cbranch_execz .LBB195_24
; %bb.23:
	s_lshl_b32 s8, s26, 4
	s_ashr_i32 s9, s8, 31
	v_lshl_add_u64 v[10:11], s[8:9], 4, v[0:1]
	flat_load_dwordx4 v[14:17], v[10:11]
	s_movk_i32 s8, 0x2100
	v_add3_u32 v3, v2, v4, s8
	s_waitcnt vmcnt(0) lgkmcnt(0)
	ds_write2_b64 v3, v[14:15], v[16:17] offset1:1
.LBB195_24:
	s_or_b64 exec, exec, s[6:7]
	v_add_u32_e32 v3, 24, v12
	v_cmp_le_i32_e64 s[6:7], s24, v3
	s_and_saveexec_b64 s[8:9], s[6:7]
	s_xor_b64 s[6:7], exec, s[8:9]
	s_cbranch_execz .LBB195_26
; %bb.25:
	v_mov_b32_e32 v14, 0
	v_add_u32_e32 v2, v2, v4
	v_mov_b32_e32 v15, v14
	v_mov_b32_e32 v16, v14
	;; [unrolled: 1-line block ×3, first 2 shown]
	ds_write_b128 v2, v[14:17] offset:12672
                                        ; implicit-def: $vgpr2
.LBB195_26:
	s_andn2_saveexec_b64 s[6:7], s[6:7]
	s_cbranch_execz .LBB195_28
; %bb.27:
	s_mul_i32 s8, s26, 24
	s_ashr_i32 s9, s8, 31
	v_lshl_add_u64 v[10:11], s[8:9], 4, v[0:1]
	flat_load_dwordx4 v[14:17], v[10:11]
	s_movk_i32 s8, 0x3180
	v_add3_u32 v2, v2, v4, s8
	s_waitcnt vmcnt(0) lgkmcnt(0)
	ds_write2_b64 v2, v[14:15], v[16:17] offset1:1
.LBB195_28:
	s_or_b64 exec, exec, s[6:7]
	v_mov_b32_e32 v5, 0
	v_lshl_add_u64 v[0:1], v[0:1], 0, v[4:5]
	s_lshl_b64 s[6:7], s[24:25], 4
	v_mov_b32_e32 v2, s7
	v_subrev_co_u32_e64 v0, s[6:7], s6, v0
	s_nop 1
	v_subb_co_u32_e64 v1, s[6:7], v1, v2, s[6:7]
	v_lshl_add_u64 v[0:1], v[0:1], 0, 16
	v_cndmask_b32_e32 v9, v1, v9, vcc
	v_cndmask_b32_e32 v8, v0, v8, vcc
.LBB195_29:
	v_lshlrev_b32_e32 v13, 2, v12
	v_lshl_or_b32 v1, v6, 9, v4
	v_cmp_lt_u32_e64 s[8:9], v13, v6
	s_waitcnt lgkmcnt(0)
	s_barrier
	s_and_saveexec_b64 s[6:7], s[8:9]
	s_cbranch_execz .LBB195_31
; %bb.30:
	s_movk_i32 s10, 0x840
	v_mad_u32_u24 v0, v12, s10, v4
	ds_read_b128 v[14:17], v0
	v_lshl_add_u32 v0, v13, 4, v1
	s_waitcnt lgkmcnt(0)
	ds_write_b128 v0, v[14:17]
.LBB195_31:
	s_or_b64 exec, exec, s[6:7]
	v_or_b32_e32 v0, 1, v13
	v_cmp_lt_u32_e64 s[10:11], v0, v6
	s_and_saveexec_b64 s[6:7], s[10:11]
	s_cbranch_execz .LBB195_33
; %bb.32:
	s_movk_i32 s12, 0x210
	v_mad_u32_u24 v2, v0, s12, v4
	ds_read_b128 v[14:17], v2
	v_lshl_add_u32 v2, v13, 4, v1
	s_waitcnt lgkmcnt(0)
	ds_write_b128 v2, v[14:17] offset:16
.LBB195_33:
	s_or_b64 exec, exec, s[6:7]
	v_or_b32_e32 v2, 2, v13
	v_cmp_lt_u32_e64 s[12:13], v2, v6
	s_and_saveexec_b64 s[6:7], s[12:13]
	s_cbranch_execz .LBB195_35
; %bb.34:
	s_movk_i32 s14, 0x210
	v_mad_u32_u24 v2, v2, s14, v4
	ds_read_b128 v[14:17], v2
	v_lshl_add_u32 v2, v13, 4, v1
	s_waitcnt lgkmcnt(0)
	ds_write_b128 v2, v[14:17] offset:32
.LBB195_35:
	s_or_b64 exec, exec, s[6:7]
	v_or_b32_e32 v3, 3, v13
	v_cmp_lt_u32_e64 s[14:15], v3, v6
	v_cmp_ge_u32_e32 vcc, v3, v6
                                        ; implicit-def: $vgpr2
	s_and_saveexec_b64 s[6:7], vcc
	s_xor_b64 s[6:7], exec, s[6:7]
; %bb.36:
	v_mul_u32_u24_e32 v2, 0x210, v3
                                        ; implicit-def: $vgpr1
                                        ; implicit-def: $vgpr3
; %bb.37:
	s_andn2_saveexec_b64 s[6:7], s[6:7]
	s_cbranch_execz .LBB195_39
; %bb.38:
	s_movk_i32 s16, 0x210
	v_mad_u32_u24 v2, v3, s16, v4
	ds_read_b128 v[14:17], v2
	v_lshl_add_u32 v1, v13, 4, v1
	v_mul_u32_u24_e32 v2, 0x210, v3
	s_waitcnt lgkmcnt(0)
	ds_write_b128 v1, v[14:17] offset:48
.LBB195_39:
	s_or_b64 exec, exec, s[6:7]
	s_movk_i32 s6, 0x840
	v_mad_u32_u24 v7, v12, s6, v4
	s_movk_i32 s6, 0x210
	v_lshlrev_b32_e32 v14, 4, v13
	v_mad_u32_u24 v15, v0, s6, v4
	s_waitcnt lgkmcnt(0)
	s_barrier
	ds_read_b128 v[16:19], v14 offset:18176
	ds_read_b128 v[20:23], v14 offset:18192
	ds_read_b128 v[24:27], v7
	ds_read_b128 v[28:31], v14 offset:18208
	ds_read_b128 v[32:35], v14 offset:18224
	ds_read_b128 v[44:47], v15
	v_cmp_gt_u32_e64 s[6:7], 32, v42
	s_waitcnt lgkmcnt(3)
	v_mul_f64 v[0:1], v[18:19], v[26:27]
	v_fma_f64 v[10:11], v[16:17], v[24:25], -v[0:1]
	v_mul_f64 v[16:17], v[16:17], v[26:27]
	v_fmac_f64_e32 v[16:17], v[18:19], v[24:25]
	s_waitcnt lgkmcnt(0)
	v_mul_f64 v[26:27], v[20:21], v[46:47]
	v_add_f64 v[16:17], v[16:17], 0
	v_mul_f64 v[18:19], v[22:23], v[46:47]
	v_fmac_f64_e32 v[26:27], v[22:23], v[44:45]
	v_add_f64 v[10:11], v[10:11], 0
	v_fma_f64 v[24:25], v[20:21], v[44:45], -v[18:19]
	ds_read_b128 v[18:21], v15 offset:528
	v_add_f64 v[26:27], v[16:17], v[26:27]
	v_add_u32_e32 v16, v4, v2
	v_add_f64 v[10:11], v[10:11], v[24:25]
	ds_read_b128 v[22:25], v16
	s_waitcnt lgkmcnt(1)
	v_mul_f64 v[2:3], v[30:31], v[20:21]
	v_mul_f64 v[20:21], v[28:29], v[20:21]
	v_fma_f64 v[2:3], v[28:29], v[18:19], -v[2:3]
	v_fmac_f64_e32 v[20:21], v[30:31], v[18:19]
	s_waitcnt lgkmcnt(0)
	v_mul_f64 v[18:19], v[34:35], v[24:25]
	v_add_f64 v[2:3], v[10:11], v[2:3]
	v_fma_f64 v[18:19], v[32:33], v[22:23], -v[18:19]
	v_add_f64 v[10:11], v[26:27], v[20:21]
	v_mul_f64 v[20:21], v[32:33], v[24:25]
	v_add_f64 v[18:19], v[2:3], v[18:19]
	v_mul_u32_u24_e32 v2, 33, v6
	v_fmac_f64_e32 v[20:21], v[34:35], v[22:23]
	v_lshlrev_b32_e32 v43, 4, v2
	v_mov_b64_e32 v[0:1], 0
	v_add_f64 v[20:21], v[10:11], v[20:21]
	v_lshl_add_u32 v44, v12, 4, v43
	v_mov_b64_e32 v[2:3], 0
	s_barrier
	ds_write_b128 v44, v[18:21]
	s_waitcnt lgkmcnt(0)
	s_barrier
	s_and_saveexec_b64 s[16:17], s[6:7]
	s_cbranch_execz .LBB195_41
; %bb.40:
	ds_read_b128 v[0:3], v43
	ds_read_b128 v[18:21], v43 offset:16
	ds_read_b128 v[22:25], v43 offset:32
	;; [unrolled: 1-line block ×3, first 2 shown]
	s_waitcnt lgkmcnt(2)
	v_add_f64 v[0:1], v[18:19], v[0:1]
	v_add_f64 v[10:11], v[20:21], v[2:3]
	s_waitcnt lgkmcnt(1)
	v_add_f64 v[18:19], v[0:1], v[22:23]
	ds_read_b128 v[0:3], v43 offset:64
	v_add_f64 v[10:11], v[10:11], v[24:25]
	s_waitcnt lgkmcnt(1)
	v_add_f64 v[22:23], v[18:19], v[26:27]
	ds_read_b128 v[18:21], v43 offset:80
	v_add_f64 v[10:11], v[10:11], v[28:29]
	s_waitcnt lgkmcnt(1)
	v_add_f64 v[26:27], v[22:23], v[0:1]
	ds_read_b128 v[22:25], v43 offset:96
	v_add_f64 v[10:11], v[10:11], v[2:3]
	ds_read_b128 v[0:3], v43 offset:112
	s_waitcnt lgkmcnt(2)
	v_add_f64 v[18:19], v[26:27], v[18:19]
	v_add_f64 v[10:11], v[10:11], v[20:21]
	s_waitcnt lgkmcnt(1)
	v_add_f64 v[18:19], v[18:19], v[22:23]
	v_add_f64 v[10:11], v[10:11], v[24:25]
	;; [unrolled: 3-line block ×3, first 2 shown]
.LBB195_41:
	s_or_b64 exec, exec, s[16:17]
	s_lshl_b32 s36, s26, 5
	s_ashr_i32 s37, s36, 31
	v_lshl_add_u64 v[10:11], s[36:37], 4, v[8:9]
	s_mov_b64 s[16:17], 0x200
	v_cndmask_b32_e64 v5, 0, 1, s[20:21]
	v_lshl_add_u64 v[8:9], v[10:11], 0, s[16:17]
	v_cmp_ne_u32_e64 s[16:17], 1, v5
	s_andn2_b64 vcc, exec, s[20:21]
	s_mov_b64 s[20:21], -1
	s_barrier
	s_cbranch_vccnz .LBB195_43
; %bb.42:
	flat_load_dwordx4 v[18:21], v[8:9]
	s_movk_i32 s21, 0x210
	s_lshl_b32 s20, s26, 3
	v_mad_u32_u24 v5, v12, s21, v4
	s_ashr_i32 s21, s20, 31
	v_lshl_add_u64 v[22:23], s[20:21], 4, v[10:11]
	s_ashr_i32 s27, s26, 31
	s_lshl_b64 s[20:21], s[26:27], 7
	v_add_u32_e32 v17, 0x1080, v5
	s_waitcnt vmcnt(0) lgkmcnt(0)
	ds_write2_b64 v5, v[18:19], v[20:21] offset1:1
	flat_load_dwordx4 v[18:21], v[22:23] offset:512
	v_lshl_add_u64 v[22:23], v[22:23], 0, s[20:21]
	s_waitcnt vmcnt(0) lgkmcnt(0)
	ds_write2_b64 v17, v[18:19], v[20:21] offset1:1
	flat_load_dwordx4 v[18:21], v[22:23] offset:512
	v_add_u32_e32 v17, 0x2100, v5
	v_lshl_add_u64 v[22:23], v[22:23], 0, s[20:21]
	v_add_u32_e32 v5, 0x3180, v5
	s_mov_b64 s[20:21], 0
	s_waitcnt vmcnt(0) lgkmcnt(0)
	ds_write2_b64 v17, v[18:19], v[20:21] offset1:1
	flat_load_dwordx4 v[18:21], v[22:23] offset:512
	s_waitcnt vmcnt(0) lgkmcnt(0)
	ds_write2_b64 v5, v[18:19], v[20:21] offset1:1
.LBB195_43:
	s_andn2_b64 vcc, exec, s[20:21]
	s_cbranch_vccnz .LBB195_61
; %bb.44:
	v_sub_co_u32_e32 v10, vcc, v10, v4
	s_ashr_i32 s25, s24, 31
	s_nop 0
	v_subbrev_co_u32_e32 v11, vcc, 0, v11, vcc
	v_or_b32_e32 v5, 32, v6
	v_lshl_add_u64 v[10:11], s[24:25], 4, v[10:11]
	v_lshl_add_u64 v[10:11], v[10:11], 0, -16
	v_cmp_gt_i32_e32 vcc, s24, v5
	s_sub_i32 s27, s24, 32
	s_movk_i32 s29, 0x210
	v_cndmask_b32_e32 v11, v11, v9, vcc
	v_cndmask_b32_e32 v10, v10, v8, vcc
	v_cmp_le_i32_e64 s[20:21], s27, v12
	v_mad_u32_u24 v5, v12, s29, v4
	s_and_saveexec_b64 s[40:41], s[20:21]
	s_xor_b64 s[20:21], exec, s[40:41]
; %bb.45:
	v_mov_b32_e32 v18, 0
	v_mov_b32_e32 v19, v18
	;; [unrolled: 1-line block ×4, first 2 shown]
	ds_write_b128 v5, v[18:21]
                                        ; implicit-def: $vgpr5
; %bb.46:
	s_andn2_saveexec_b64 s[20:21], s[20:21]
	s_cbranch_execz .LBB195_48
; %bb.47:
	flat_load_dwordx4 v[18:21], v[10:11]
	s_waitcnt vmcnt(0) lgkmcnt(0)
	ds_write2_b64 v5, v[18:19], v[20:21] offset1:1
.LBB195_48:
	s_or_b64 exec, exec, s[20:21]
	v_add_u32_e32 v17, 8, v12
	v_mul_u32_u24_e32 v5, 0x210, v12
	v_cmp_le_i32_e64 s[20:21], s27, v17
	s_and_saveexec_b64 s[40:41], s[20:21]
	s_xor_b64 s[20:21], exec, s[40:41]
	s_cbranch_execz .LBB195_50
; %bb.49:
	v_mov_b32_e32 v18, 0
	v_add_u32_e32 v17, v5, v4
	v_mov_b32_e32 v19, v18
	v_mov_b32_e32 v20, v18
	;; [unrolled: 1-line block ×3, first 2 shown]
	ds_write_b128 v17, v[18:21] offset:4224
.LBB195_50:
	s_andn2_saveexec_b64 s[20:21], s[20:21]
	s_cbranch_execz .LBB195_52
; %bb.51:
	s_lshl_b32 s40, s26, 3
	s_ashr_i32 s41, s40, 31
	v_lshl_add_u64 v[18:19], s[40:41], 4, v[10:11]
	flat_load_dwordx4 v[18:21], v[18:19]
	s_movk_i32 s29, 0x1080
	v_add3_u32 v17, v5, v4, s29
	s_waitcnt vmcnt(0) lgkmcnt(0)
	ds_write2_b64 v17, v[18:19], v[20:21] offset1:1
.LBB195_52:
	s_or_b64 exec, exec, s[20:21]
	v_add_u32_e32 v17, 16, v12
	v_cmp_le_i32_e64 s[20:21], s27, v17
	s_and_saveexec_b64 s[40:41], s[20:21]
	s_xor_b64 s[20:21], exec, s[40:41]
	s_cbranch_execz .LBB195_54
; %bb.53:
	v_mov_b32_e32 v18, 0
	v_add_u32_e32 v17, v5, v4
	v_mov_b32_e32 v19, v18
	v_mov_b32_e32 v20, v18
	;; [unrolled: 1-line block ×3, first 2 shown]
	ds_write_b128 v17, v[18:21] offset:8448
.LBB195_54:
	s_andn2_saveexec_b64 s[20:21], s[20:21]
	s_cbranch_execz .LBB195_56
; %bb.55:
	s_lshl_b32 s40, s26, 4
	s_ashr_i32 s41, s40, 31
	v_lshl_add_u64 v[18:19], s[40:41], 4, v[10:11]
	flat_load_dwordx4 v[18:21], v[18:19]
	s_movk_i32 s29, 0x2100
	v_add3_u32 v17, v5, v4, s29
	s_waitcnt vmcnt(0) lgkmcnt(0)
	ds_write2_b64 v17, v[18:19], v[20:21] offset1:1
.LBB195_56:
	s_or_b64 exec, exec, s[20:21]
	v_add_u32_e32 v17, 24, v12
	v_cmp_le_i32_e64 s[20:21], s27, v17
	s_and_saveexec_b64 s[40:41], s[20:21]
	s_xor_b64 s[20:21], exec, s[40:41]
	s_cbranch_execz .LBB195_58
; %bb.57:
	v_mov_b32_e32 v18, 0
	v_add_u32_e32 v5, v5, v4
	v_mov_b32_e32 v19, v18
	v_mov_b32_e32 v20, v18
	;; [unrolled: 1-line block ×3, first 2 shown]
	ds_write_b128 v5, v[18:21] offset:12672
                                        ; implicit-def: $vgpr5
.LBB195_58:
	s_andn2_saveexec_b64 s[20:21], s[20:21]
	s_cbranch_execz .LBB195_60
; %bb.59:
	s_mul_i32 s40, s26, 24
	s_ashr_i32 s41, s40, 31
	v_lshl_add_u64 v[18:19], s[40:41], 4, v[10:11]
	flat_load_dwordx4 v[18:21], v[18:19]
	s_movk_i32 s27, 0x3180
	v_add3_u32 v5, v5, v4, s27
	s_waitcnt vmcnt(0) lgkmcnt(0)
	ds_write2_b64 v5, v[18:19], v[20:21] offset1:1
.LBB195_60:
	s_or_b64 exec, exec, s[20:21]
	v_mov_b32_e32 v5, 0
	v_lshl_add_u64 v[10:11], v[10:11], 0, v[4:5]
	s_lshl_b64 s[20:21], s[24:25], 4
	v_mov_b32_e32 v5, s21
	v_subrev_co_u32_e64 v10, s[20:21], s20, v10
	s_nop 1
	v_subb_co_u32_e64 v11, s[20:21], v11, v5, s[20:21]
	s_mov_b64 s[20:21], 0x210
	s_nop 0
	v_lshl_add_u64 v[10:11], v[10:11], 0, s[20:21]
	v_cndmask_b32_e32 v9, v11, v9, vcc
	v_cndmask_b32_e32 v8, v10, v8, vcc
.LBB195_61:
	v_add_u32_e32 v14, 0x4700, v14
	v_add_u32_e32 v5, 0x210, v15
	s_waitcnt lgkmcnt(0)
	s_barrier
	s_and_saveexec_b64 s[20:21], s[8:9]
	s_cbranch_execnz .LBB195_70
; %bb.62:
	s_or_b64 exec, exec, s[20:21]
	s_and_saveexec_b64 s[8:9], s[10:11]
	s_cbranch_execnz .LBB195_71
.LBB195_63:
	s_or_b64 exec, exec, s[8:9]
	s_and_saveexec_b64 s[8:9], s[12:13]
	s_cbranch_execnz .LBB195_72
.LBB195_64:
	s_or_b64 exec, exec, s[8:9]
	s_and_saveexec_b64 s[8:9], s[14:15]
	s_cbranch_execz .LBB195_66
.LBB195_65:
	ds_read_b128 v[18:21], v16
	v_lshl_add_u32 v10, v13, 4, v43
	s_waitcnt lgkmcnt(0)
	ds_write_b128 v10, v[18:21] offset:48
.LBB195_66:
	s_or_b64 exec, exec, s[8:9]
	s_waitcnt lgkmcnt(0)
	s_barrier
	ds_read_b128 v[18:21], v14 offset:512
	ds_read_b128 v[22:25], v7
	ds_read_b128 v[26:29], v14 offset:528
	ds_read_b128 v[30:33], v14 offset:544
	;; [unrolled: 1-line block ×3, first 2 shown]
	ds_read_b128 v[50:53], v15
	v_cmp_eq_u32_e64 s[8:9], 1, v12
	s_waitcnt lgkmcnt(4)
	v_mul_f64 v[10:11], v[20:21], v[24:25]
	v_fma_f64 v[10:11], v[18:19], v[22:23], -v[10:11]
	v_mul_f64 v[18:19], v[18:19], v[24:25]
	v_fmac_f64_e32 v[18:19], v[20:21], v[22:23]
	v_add_f64 v[22:23], v[18:19], 0
	s_waitcnt lgkmcnt(0)
	v_mul_f64 v[18:19], v[28:29], v[52:53]
	v_fma_f64 v[24:25], v[26:27], v[50:51], -v[18:19]
	v_mul_f64 v[26:27], v[26:27], v[52:53]
	ds_read_b128 v[18:21], v5
	v_add_f64 v[10:11], v[10:11], 0
	v_fmac_f64_e32 v[26:27], v[28:29], v[50:51]
	v_add_f64 v[10:11], v[10:11], v[24:25]
	v_add_f64 v[26:27], v[22:23], v[26:27]
	ds_read_b128 v[22:25], v16
	s_waitcnt lgkmcnt(1)
	v_mul_f64 v[16:17], v[32:33], v[20:21]
	v_mul_f64 v[20:21], v[30:31], v[20:21]
	v_fma_f64 v[16:17], v[30:31], v[18:19], -v[16:17]
	v_fmac_f64_e32 v[20:21], v[32:33], v[18:19]
	v_add_f64 v[10:11], v[10:11], v[16:17]
	v_add_f64 v[18:19], v[26:27], v[20:21]
	s_waitcnt lgkmcnt(0)
	v_mul_f64 v[16:17], v[48:49], v[24:25]
	v_mul_f64 v[20:21], v[46:47], v[24:25]
	v_fma_f64 v[16:17], v[46:47], v[22:23], -v[16:17]
	v_fmac_f64_e32 v[20:21], v[48:49], v[22:23]
	v_add_f64 v[16:17], v[10:11], v[16:17]
	v_add_f64 v[18:19], v[18:19], v[20:21]
	s_barrier
	ds_write_b128 v44, v[16:19]
	s_waitcnt lgkmcnt(0)
	s_barrier
	s_and_saveexec_b64 s[10:11], s[8:9]
	s_cbranch_execz .LBB195_68
; %bb.67:
	ds_read_b128 v[0:3], v43
	ds_read_b128 v[16:19], v43 offset:16
	ds_read_b128 v[20:23], v43 offset:32
	;; [unrolled: 1-line block ×3, first 2 shown]
	s_waitcnt lgkmcnt(2)
	v_add_f64 v[0:1], v[16:17], v[0:1]
	v_add_f64 v[10:11], v[18:19], v[2:3]
	s_waitcnt lgkmcnt(1)
	v_add_f64 v[16:17], v[0:1], v[20:21]
	ds_read_b128 v[0:3], v43 offset:64
	v_add_f64 v[10:11], v[10:11], v[22:23]
	s_waitcnt lgkmcnt(1)
	v_add_f64 v[20:21], v[16:17], v[24:25]
	ds_read_b128 v[16:19], v43 offset:80
	;; [unrolled: 4-line block ×3, first 2 shown]
	v_add_f64 v[10:11], v[10:11], v[2:3]
	ds_read_b128 v[0:3], v43 offset:112
	s_waitcnt lgkmcnt(2)
	v_add_f64 v[16:17], v[24:25], v[16:17]
	v_add_f64 v[10:11], v[10:11], v[18:19]
	s_waitcnt lgkmcnt(1)
	v_add_f64 v[16:17], v[16:17], v[20:21]
	v_add_f64 v[10:11], v[10:11], v[22:23]
	;; [unrolled: 3-line block ×3, first 2 shown]
.LBB195_68:
	s_or_b64 exec, exec, s[10:11]
	s_lshl_b64 s[10:11], s[36:37], 4
	v_mov_b32_e32 v5, s11
	v_subrev_co_u32_e64 v40, s[10:11], s10, v8
	s_and_b64 vcc, exec, s[16:17]
	s_nop 0
	v_subb_co_u32_e64 v41, s[10:11], v9, v5, s[10:11]
	s_barrier
	s_cbranch_vccnz .LBB195_73
; %bb.69:
	flat_load_dwordx4 v[8:11], v[40:41]
	s_movk_i32 s12, 0x210
	s_lshl_b32 s10, s26, 3
	v_mad_u32_u24 v5, v12, s12, v4
	s_ashr_i32 s11, s10, 31
	v_lshl_add_u64 v[16:17], s[10:11], 4, v[40:41]
	s_ashr_i32 s27, s26, 31
	s_lshl_b64 s[10:11], s[26:27], 7
	s_waitcnt vmcnt(0) lgkmcnt(0)
	ds_write2_b64 v5, v[8:9], v[10:11] offset1:1
	flat_load_dwordx4 v[8:11], v[16:17]
	v_mov_b32_e32 v5, 0x1080
	v_mad_u32_u24 v7, v12, s12, v5
	v_add_u32_e32 v5, v4, v7
	v_lshl_add_u64 v[16:17], v[16:17], 0, s[10:11]
	s_waitcnt vmcnt(0) lgkmcnt(0)
	ds_write2_b64 v5, v[8:9], v[10:11] offset1:1
	flat_load_dwordx4 v[8:11], v[16:17]
	v_mov_b32_e32 v5, 0x2100
	v_mad_u32_u24 v5, v12, s12, v5
	v_add_u32_e32 v15, v4, v5
	v_lshl_add_u64 v[16:17], v[16:17], 0, s[10:11]
	s_waitcnt vmcnt(0) lgkmcnt(0)
	ds_write2_b64 v15, v[8:9], v[10:11] offset1:1
	flat_load_dwordx4 v[16:19], v[16:17]
	v_mov_b32_e32 v15, 0x3180
	v_mad_u32_u24 v15, v12, s12, v15
	v_mul_u32_u24_e32 v9, 0x210, v12
	v_add_u32_e32 v8, 8, v12
	v_add_u32_e32 v10, 16, v12
	;; [unrolled: 1-line block ×4, first 2 shown]
	s_waitcnt vmcnt(0) lgkmcnt(0)
	ds_write2_b64 v20, v[16:17], v[18:19] offset1:1
	s_cbranch_execz .LBB195_74
	s_branch .LBB195_91
.LBB195_70:
	ds_read_b128 v[18:21], v7
	v_lshl_add_u32 v10, v13, 4, v43
	s_waitcnt lgkmcnt(0)
	ds_write_b128 v10, v[18:21]
	s_or_b64 exec, exec, s[20:21]
	s_and_saveexec_b64 s[8:9], s[10:11]
	s_cbranch_execz .LBB195_63
.LBB195_71:
	ds_read_b128 v[18:21], v15
	v_lshl_add_u32 v10, v13, 4, v43
	s_waitcnt lgkmcnt(0)
	ds_write_b128 v10, v[18:21] offset:16
	s_or_b64 exec, exec, s[8:9]
	s_and_saveexec_b64 s[8:9], s[12:13]
	s_cbranch_execz .LBB195_64
.LBB195_72:
	ds_read_b128 v[18:21], v5
	v_lshl_add_u32 v10, v13, 4, v43
	s_waitcnt lgkmcnt(0)
	ds_write_b128 v10, v[18:21] offset:32
	s_or_b64 exec, exec, s[8:9]
	s_and_saveexec_b64 s[8:9], s[14:15]
	s_cbranch_execnz .LBB195_65
	s_branch .LBB195_66
.LBB195_73:
                                        ; implicit-def: $vgpr9
                                        ; implicit-def: $vgpr8
                                        ; implicit-def: $vgpr7
                                        ; implicit-def: $vgpr10
                                        ; implicit-def: $vgpr5
                                        ; implicit-def: $vgpr11
                                        ; implicit-def: $vgpr15
.LBB195_74:
	v_or_b32_e32 v5, 32, v6
	v_lshlrev_b32_e32 v6, 4, v5
	v_sub_co_u32_e32 v6, vcc, v40, v6
	s_ashr_i32 s25, s24, 31
	s_nop 0
	v_subbrev_co_u32_e32 v7, vcc, 0, v41, vcc
	v_lshl_add_u64 v[6:7], s[24:25], 4, v[6:7]
	v_lshl_add_u64 v[6:7], v[6:7], 0, -16
	v_cmp_gt_i32_e32 vcc, s24, v5
	s_movk_i32 s12, 0x210
	v_cmp_le_i32_e64 s[10:11], s24, v12
	v_cndmask_b32_e32 v7, v7, v41, vcc
	v_cndmask_b32_e32 v6, v6, v40, vcc
	v_mad_u32_u24 v5, v12, s12, v4
	s_and_saveexec_b64 s[12:13], s[10:11]
	s_xor_b64 s[10:11], exec, s[12:13]
; %bb.75:
	v_mov_b32_e32 v8, 0
	v_mov_b32_e32 v9, v8
	;; [unrolled: 1-line block ×4, first 2 shown]
	ds_write_b128 v5, v[8:11]
                                        ; implicit-def: $vgpr5
; %bb.76:
	s_andn2_saveexec_b64 s[10:11], s[10:11]
	s_cbranch_execz .LBB195_78
; %bb.77:
	flat_load_dwordx4 v[8:11], v[6:7]
	s_waitcnt vmcnt(0) lgkmcnt(0)
	ds_write2_b64 v5, v[8:9], v[10:11] offset1:1
.LBB195_78:
	s_or_b64 exec, exec, s[10:11]
	v_add_u32_e32 v8, 8, v12
	v_mul_u32_u24_e32 v9, 0x210, v12
	v_cmp_le_i32_e64 s[10:11], s24, v8
	s_and_saveexec_b64 s[12:13], s[10:11]
	s_xor_b64 s[10:11], exec, s[12:13]
	s_cbranch_execz .LBB195_80
; %bb.79:
	v_mov_b32_e32 v16, 0
	v_add_u32_e32 v5, v9, v4
	v_mov_b32_e32 v17, v16
	v_mov_b32_e32 v18, v16
	;; [unrolled: 1-line block ×3, first 2 shown]
	ds_write_b128 v5, v[16:19] offset:4224
.LBB195_80:
	s_andn2_saveexec_b64 s[10:11], s[10:11]
	s_cbranch_execz .LBB195_82
; %bb.81:
	s_lshl_b32 s12, s26, 3
	s_ashr_i32 s13, s12, 31
	v_lshl_add_u64 v[10:11], s[12:13], 4, v[6:7]
	flat_load_dwordx4 v[16:19], v[10:11]
	s_movk_i32 s12, 0x1080
	v_add3_u32 v5, v9, v4, s12
	s_waitcnt vmcnt(0) lgkmcnt(0)
	ds_write2_b64 v5, v[16:17], v[18:19] offset1:1
.LBB195_82:
	s_or_b64 exec, exec, s[10:11]
	v_add_u32_e32 v10, 16, v12
	v_cmp_le_i32_e64 s[10:11], s24, v10
	s_and_saveexec_b64 s[12:13], s[10:11]
	s_xor_b64 s[10:11], exec, s[12:13]
	s_cbranch_execz .LBB195_84
; %bb.83:
	v_mov_b32_e32 v16, 0
	v_add_u32_e32 v5, v9, v4
	v_mov_b32_e32 v17, v16
	v_mov_b32_e32 v18, v16
	;; [unrolled: 1-line block ×3, first 2 shown]
	ds_write_b128 v5, v[16:19] offset:8448
.LBB195_84:
	s_andn2_saveexec_b64 s[10:11], s[10:11]
	s_cbranch_execz .LBB195_86
; %bb.85:
	s_lshl_b32 s12, s26, 4
	s_ashr_i32 s13, s12, 31
	v_lshl_add_u64 v[16:17], s[12:13], 4, v[6:7]
	flat_load_dwordx4 v[16:19], v[16:17]
	s_movk_i32 s12, 0x2100
	v_add3_u32 v5, v9, v4, s12
	s_waitcnt vmcnt(0) lgkmcnt(0)
	ds_write2_b64 v5, v[16:17], v[18:19] offset1:1
.LBB195_86:
	s_or_b64 exec, exec, s[10:11]
	v_add_u32_e32 v11, 24, v12
	v_cmp_le_i32_e64 s[10:11], s24, v11
                                        ; implicit-def: $vgpr15
	s_and_saveexec_b64 s[12:13], s[10:11]
	s_xor_b64 s[10:11], exec, s[12:13]
	s_cbranch_execz .LBB195_88
; %bb.87:
	v_add_u32_e32 v15, 0x3180, v9
	v_mov_b32_e32 v16, 0
	v_add_u32_e32 v5, v4, v15
	v_mov_b32_e32 v17, v16
	v_mov_b32_e32 v18, v16
	;; [unrolled: 1-line block ×3, first 2 shown]
	ds_write_b128 v5, v[16:19]
.LBB195_88:
	s_andn2_saveexec_b64 s[10:11], s[10:11]
	s_cbranch_execz .LBB195_90
; %bb.89:
	s_mul_i32 s12, s26, 24
	s_ashr_i32 s13, s12, 31
	v_lshl_add_u64 v[16:17], s[12:13], 4, v[6:7]
	flat_load_dwordx4 v[16:19], v[16:17]
	v_add_u32_e32 v15, 0x3180, v9
	v_add_u32_e32 v5, v4, v15
	s_waitcnt vmcnt(0) lgkmcnt(0)
	ds_write2_b64 v5, v[16:17], v[18:19] offset1:1
.LBB195_90:
	s_or_b64 exec, exec, s[10:11]
	v_mov_b32_e32 v5, 0
	v_lshl_add_u64 v[6:7], v[6:7], 0, v[4:5]
	s_lshl_b64 s[10:11], s[24:25], 4
	v_mov_b32_e32 v5, s11
	v_subrev_co_u32_e64 v6, s[10:11], s10, v6
	s_nop 1
	v_subb_co_u32_e64 v7, s[10:11], v7, v5, s[10:11]
	s_mov_b64 s[10:11], 0x210
	s_nop 0
	v_lshl_add_u64 v[6:7], v[6:7], 0, s[10:11]
	v_cndmask_b32_e32 v41, v7, v41, vcc
	v_cndmask_b32_e32 v40, v6, v40, vcc
	v_add_u32_e32 v7, 0x1080, v9
	v_add_u32_e32 v5, 0x2100, v9
.LBB195_91:
	v_add_u32_e32 v6, v4, v9
	v_lshlrev_b32_e32 v9, 4, v12
	s_waitcnt lgkmcnt(0)
	s_barrier
	ds_read_b128 v[20:23], v9 offset:18176
	ds_read_b128 v[24:27], v6
	v_add_u32_e32 v6, v4, v7
	v_lshlrev_b32_e32 v7, 4, v8
	ds_read_b128 v[46:49], v7 offset:18176
	ds_read_b128 v[50:53], v6
	v_lshlrev_b32_e32 v10, 4, v10
	v_add_u32_e32 v5, v4, v5
	ds_read_b128 v[54:57], v10 offset:18176
	ds_read_b128 v[58:61], v5
	v_lshlrev_b32_e32 v5, 4, v11
	s_waitcnt lgkmcnt(4)
	v_mul_f64 v[6:7], v[22:23], v[26:27]
	v_add_u32_e32 v4, v4, v15
	ds_read_b128 v[62:65], v5 offset:18176
	ds_read2_b64 v[66:69], v4 offset1:1
	v_fma_f64 v[6:7], v[20:21], v[24:25], -v[6:7]
	s_waitcnt lgkmcnt(4)
	v_mul_f64 v[8:9], v[48:49], v[52:53]
	v_add_f64 v[6:7], v[6:7], 0
	v_fma_f64 v[8:9], v[46:47], v[50:51], -v[8:9]
	v_add_f64 v[4:5], v[6:7], v[8:9]
	s_waitcnt lgkmcnt(2)
	v_mul_f64 v[6:7], v[56:57], v[60:61]
	v_fma_f64 v[6:7], v[54:55], v[58:59], -v[6:7]
	v_add_f64 v[4:5], v[4:5], v[6:7]
	s_waitcnt lgkmcnt(0)
	v_mul_f64 v[6:7], v[64:65], v[68:69]
	v_fma_f64 v[6:7], v[62:63], v[66:67], -v[6:7]
	v_add_f64 v[70:71], v[4:5], v[6:7]
	v_lshl_add_u32 v4, v13, 4, v43
	v_mul_f64 v[72:73], v[20:21], v[26:27]
	ds_read_b128 v[28:31], v4
	ds_read_b128 v[16:19], v4 offset:16
	ds_read_b128 v[8:11], v4 offset:32
	;; [unrolled: 1-line block ×3, first 2 shown]
	v_fmac_f64_e32 v[72:73], v[22:23], v[24:25]
	v_mul_f64 v[46:47], v[46:47], v[52:53]
	v_fmac_f64_e32 v[46:47], v[48:49], v[50:51]
	v_add_f64 v[48:49], v[72:73], 0
	ds_read_b128 v[32:35], v14 offset:512
	ds_read_b128 v[24:27], v14 offset:528
	ds_read_b128 v[20:23], v14 offset:544
	ds_read_b128 v[12:15], v14 offset:560
	v_add_f64 v[46:47], v[48:49], v[46:47]
	v_mul_f64 v[48:49], v[54:55], v[60:61]
	v_fmac_f64_e32 v[48:49], v[56:57], v[58:59]
	v_add_f64 v[46:47], v[46:47], v[48:49]
	v_mul_f64 v[48:49], v[62:63], v[68:69]
	v_fmac_f64_e32 v[48:49], v[64:65], v[66:67]
	v_add_f64 v[72:73], v[46:47], v[48:49]
	s_waitcnt lgkmcnt(0)
	s_barrier
	ds_write_b128 v44, v[70:73]
	s_waitcnt lgkmcnt(0)
	s_barrier
	s_and_saveexec_b64 s[10:11], s[8:9]
	s_cbranch_execz .LBB195_93
; %bb.92:
	ds_read_b128 v[46:49], v43
	ds_read_b128 v[50:53], v43 offset:16
	ds_read_b128 v[54:57], v43 offset:32
	;; [unrolled: 1-line block ×3, first 2 shown]
	s_waitcnt lgkmcnt(3)
	v_add_f64 v[0:1], v[0:1], v[46:47]
	v_add_f64 v[2:3], v[2:3], v[48:49]
	s_waitcnt lgkmcnt(2)
	v_add_f64 v[0:1], v[0:1], v[50:51]
	v_add_f64 v[46:47], v[2:3], v[52:53]
	s_waitcnt lgkmcnt(1)
	v_add_f64 v[48:49], v[0:1], v[54:55]
	ds_read_b128 v[0:3], v43 offset:64
	v_add_f64 v[46:47], v[46:47], v[56:57]
	s_waitcnt lgkmcnt(1)
	v_add_f64 v[50:51], v[48:49], v[58:59]
	v_add_f64 v[54:55], v[46:47], v[60:61]
	ds_read_b128 v[46:49], v43 offset:80
	s_waitcnt lgkmcnt(1)
	v_add_f64 v[56:57], v[50:51], v[0:1]
	ds_read_b128 v[50:53], v43 offset:96
	v_add_f64 v[54:55], v[54:55], v[2:3]
	ds_read_b128 v[0:3], v43 offset:112
	s_waitcnt lgkmcnt(2)
	v_add_f64 v[46:47], v[56:57], v[46:47]
	v_add_f64 v[48:49], v[54:55], v[48:49]
	s_waitcnt lgkmcnt(1)
	v_add_f64 v[46:47], v[46:47], v[50:51]
	v_add_f64 v[48:49], v[48:49], v[52:53]
	;; [unrolled: 3-line block ×3, first 2 shown]
.LBB195_93:
	s_or_b64 exec, exec, s[10:11]
	v_mul_f64 v[46:47], v[30:31], v[34:35]
	v_fma_f64 v[46:47], v[28:29], v[32:33], -v[46:47]
	v_mul_f64 v[28:29], v[28:29], v[34:35]
	v_fmac_f64_e32 v[28:29], v[30:31], v[32:33]
	v_mul_f64 v[32:33], v[18:19], v[26:27]
	v_fma_f64 v[32:33], v[16:17], v[24:25], -v[32:33]
	v_mul_f64 v[16:17], v[16:17], v[26:27]
	v_fmac_f64_e32 v[16:17], v[18:19], v[24:25]
	v_mul_f64 v[24:25], v[10:11], v[22:23]
	v_add_f64 v[28:29], v[28:29], 0
	v_fma_f64 v[24:25], v[8:9], v[20:21], -v[24:25]
	v_mul_f64 v[8:9], v[8:9], v[22:23]
	v_add_f64 v[30:31], v[46:47], 0
	v_add_f64 v[16:17], v[28:29], v[16:17]
	v_fmac_f64_e32 v[8:9], v[10:11], v[20:21]
	v_add_f64 v[18:19], v[30:31], v[32:33]
	v_add_f64 v[8:9], v[16:17], v[8:9]
	v_mul_f64 v[16:17], v[6:7], v[14:15]
	v_mul_f64 v[14:15], v[4:5], v[14:15]
	v_add_f64 v[10:11], v[18:19], v[24:25]
	v_fma_f64 v[16:17], v[4:5], v[12:13], -v[16:17]
	v_fmac_f64_e32 v[14:15], v[6:7], v[12:13]
	v_add_f64 v[4:5], v[10:11], v[16:17]
	v_add_f64 v[6:7], v[8:9], v[14:15]
	s_barrier
	ds_write_b128 v44, v[4:7]
	s_waitcnt lgkmcnt(0)
	s_barrier
	s_and_saveexec_b64 s[8:9], s[6:7]
	s_cbranch_execz .LBB195_95
; %bb.94:
	ds_read_b128 v[4:7], v43
	ds_read_b128 v[8:11], v43 offset:16
	ds_read_b128 v[12:15], v43 offset:32
	;; [unrolled: 1-line block ×3, first 2 shown]
	s_waitcnt lgkmcnt(3)
	v_add_f64 v[0:1], v[0:1], v[4:5]
	v_add_f64 v[2:3], v[2:3], v[6:7]
	s_waitcnt lgkmcnt(2)
	v_add_f64 v[0:1], v[0:1], v[8:9]
	v_add_f64 v[4:5], v[2:3], v[10:11]
	s_waitcnt lgkmcnt(1)
	v_add_f64 v[6:7], v[0:1], v[12:13]
	ds_read_b128 v[0:3], v43 offset:64
	v_add_f64 v[4:5], v[4:5], v[14:15]
	s_waitcnt lgkmcnt(1)
	v_add_f64 v[8:9], v[6:7], v[16:17]
	v_add_f64 v[12:13], v[4:5], v[18:19]
	ds_read_b128 v[4:7], v43 offset:80
	s_waitcnt lgkmcnt(1)
	v_add_f64 v[14:15], v[8:9], v[0:1]
	ds_read_b128 v[8:11], v43 offset:96
	v_add_f64 v[12:13], v[12:13], v[2:3]
	ds_read_b128 v[0:3], v43 offset:112
	s_waitcnt lgkmcnt(2)
	v_add_f64 v[4:5], v[14:15], v[4:5]
	v_add_f64 v[6:7], v[12:13], v[6:7]
	s_waitcnt lgkmcnt(1)
	v_add_f64 v[4:5], v[4:5], v[8:9]
	v_add_f64 v[6:7], v[6:7], v[10:11]
	;; [unrolled: 3-line block ×3, first 2 shown]
.LBB195_95:
	s_or_b64 exec, exec, s[8:9]
	s_load_dwordx2 s[0:1], s[0:1], 0x78
	s_mul_hi_u32 s6, s23, s22
	s_mul_i32 s38, s38, s22
	s_add_i32 s6, s6, s38
	s_mul_i32 s8, s23, s22
	s_mul_i32 s6, s6, s33
	s_mul_hi_u32 s7, s8, s33
	s_add_i32 s7, s7, s6
	s_mul_i32 s6, s8, s33
	s_lshl_b64 s[6:7], s[6:7], 4
	s_waitcnt lgkmcnt(0)
	s_add_u32 s6, s0, s6
	s_mul_i32 s0, s23, s2
	s_addc_u32 s7, s1, s7
	s_ashr_i32 s1, s0, 31
	s_lshl_b64 s[0:1], s[0:1], 4
	s_add_u32 s6, s6, s0
	v_cmp_le_i32_e32 vcc, s24, v150
	s_addc_u32 s7, s7, s1
	s_and_b64 vcc, s[34:35], vcc
	s_cmp_lt_i32 s2, 1
	v_lshlrev_b32_e32 v156, 4, v150
	s_barrier
	s_cbranch_scc1 .LBB195_102
; %bb.96:
	s_mul_i32 s0, s3, s28
	s_ashr_i32 s1, s0, 31
	s_lshl_b64 s[0:1], s[0:1], 4
	v_mov_b32_e32 v4, s1
	v_subrev_co_u32_e64 v152, s[0:1], s0, v36
	v_lshlrev_b64 v[6:7], 4, v[38:39]
	s_nop 0
	v_subb_co_u32_e64 v153, s[0:1], v37, v4, s[0:1]
	s_lshl_b64 s[0:1], s[30:31], 4
	s_nop 0
	v_mov_b32_e32 v5, s1
	v_subrev_co_u32_e64 v4, s[0:1], s0, v40
	s_ashr_i32 s25, s24, 31
	s_nop 0
	v_subb_co_u32_e64 v5, s[0:1], v41, v5, s[0:1]
	s_movk_i32 s0, 0xfe00
	s_mov_b32 s1, -1
	v_lshl_add_u64 v[4:5], v[4:5], 0, s[0:1]
	v_sub_co_u32_e64 v4, s[0:1], v4, v6
	v_mul_lo_u32 v6, v149, s26
	v_lshl_add_u32 v6, v6, 2, v150
	v_subb_co_u32_e64 v5, s[0:1], v5, v7, s[0:1]
	v_ashrrev_i32_e32 v7, 31, v6
	v_lshl_add_u64 v[4:5], v[6:7], 4, v[4:5]
	v_sub_co_u32_e64 v6, s[0:1], v4, v156
	v_lshrrev_b32_e32 v10, 4, v42
	s_nop 0
	v_subbrev_co_u32_e64 v7, s[0:1], 0, v5, s[0:1]
	v_lshl_add_u64 v[6:7], s[24:25], 4, v[6:7]
	v_lshl_add_u64 v[6:7], v[6:7], 0, -16
	v_cndmask_b32_e32 v9, v5, v7, vcc
	v_cndmask_b32_e32 v8, v4, v6, vcc
	v_mov_b32_e32 v4, 0x4300
	v_and_b32_e32 v5, 48, v150
	v_and_b32_e32 v11, 15, v150
	v_lshl_add_u32 v158, v149, 6, v4
	v_lshlrev_b32_e32 v4, 6, v10
	s_movk_i32 s8, 0x430
	v_lshlrev_b32_e32 v5, 4, v5
	s_movk_i32 s0, 0x10c0
	v_mad_u32_u24 v161, v11, s8, v4
	v_mul_i32_i24_e32 v4, 0xffffffd0, v10
	v_mad_u32_u24 v162, v11, s8, v5
	v_or_b32_e32 v5, 0xf0, v156
	s_ashr_i32 s27, s26, 31
	v_mov_b32_e32 v151, 0
	s_lshl_b32 s3, s3, 6
	v_add_u32_e32 v157, 0x4300, v156
	v_add_u32_e32 v159, 0x4700, v156
	v_mad_u32_u24 v160, v149, s0, v156
	v_cmp_gt_u32_e64 s[0:1], 64, v42
	v_mad_u32_u24 v163, v11, s8, v5
	s_lshl_b64 s[8:9], s[26:27], 4
	s_mul_hi_i32 s11, s26, 0xd0
	s_mul_i32 s10, s26, 0xd0
	s_mov_b32 s12, 0
	v_add_u32_e32 v164, v161, v4
	s_branch .LBB195_98
.LBB195_97:                             ;   in Loop: Header=BB195_98 Depth=1
	s_or_b64 exec, exec, s[14:15]
	v_mul_f64 v[132:133], v[6:7], v[34:35]
	v_fma_f64 v[132:133], v[4:5], v[32:33], -v[132:133]
	v_mul_f64 v[4:5], v[4:5], v[34:35]
	v_mul_f64 v[34:35], v[10:11], v[30:31]
	v_add_f64 v[0:1], v[0:1], v[132:133]
	v_fma_f64 v[34:35], v[8:9], v[28:29], -v[34:35]
	v_mul_f64 v[8:9], v[8:9], v[30:31]
	v_mul_f64 v[30:31], v[14:15], v[26:27]
	v_add_f64 v[0:1], v[0:1], v[34:35]
	v_fma_f64 v[30:31], v[12:13], v[24:25], -v[30:31]
	v_mul_f64 v[12:13], v[12:13], v[26:27]
	v_mul_f64 v[26:27], v[18:19], v[22:23]
	v_fmac_f64_e32 v[4:5], v[6:7], v[32:33]
	v_add_f64 v[0:1], v[0:1], v[30:31]
	v_fma_f64 v[26:27], v[16:17], v[20:21], -v[26:27]
	v_add_f64 v[2:3], v[2:3], v[4:5]
	v_mul_f64 v[4:5], v[38:39], v[70:71]
	v_add_f64 v[0:1], v[0:1], v[26:27]
	v_fma_f64 v[4:5], v[36:37], v[68:69], -v[4:5]
	v_add_f64 v[0:1], v[0:1], v[4:5]
	v_mul_f64 v[4:5], v[42:43], v[66:67]
	v_fma_f64 v[4:5], v[40:41], v[64:65], -v[4:5]
	v_add_f64 v[0:1], v[0:1], v[4:5]
	v_mul_f64 v[4:5], v[46:47], v[58:59]
	;; [unrolled: 3-line block ×4, first 2 shown]
	v_fmac_f64_e32 v[8:9], v[10:11], v[28:29]
	v_fma_f64 v[4:5], v[60:61], v[108:109], -v[4:5]
	v_mul_f64 v[16:17], v[16:17], v[22:23]
	v_add_f64 v[2:3], v[2:3], v[8:9]
	v_fmac_f64_e32 v[12:13], v[14:15], v[24:25]
	v_add_f64 v[0:1], v[0:1], v[4:5]
	v_mul_f64 v[4:5], v[74:75], v[106:107]
	v_add_f64 v[2:3], v[2:3], v[12:13]
	v_fmac_f64_e32 v[16:17], v[18:19], v[20:21]
	v_mul_f64 v[6:7], v[36:37], v[70:71]
	v_fma_f64 v[4:5], v[72:73], v[104:105], -v[4:5]
	v_add_f64 v[2:3], v[2:3], v[16:17]
	v_mul_f64 v[8:9], v[40:41], v[66:67]
	v_fmac_f64_e32 v[6:7], v[38:39], v[68:69]
	v_add_f64 v[0:1], v[0:1], v[4:5]
	v_mul_f64 v[4:5], v[78:79], v[98:99]
	v_mul_f64 v[10:11], v[44:45], v[58:59]
	v_add_f64 v[2:3], v[2:3], v[6:7]
	v_fmac_f64_e32 v[8:9], v[42:43], v[64:65]
	v_fma_f64 v[4:5], v[76:77], v[96:97], -v[4:5]
	v_mul_f64 v[12:13], v[48:49], v[54:55]
	v_add_f64 v[2:3], v[2:3], v[8:9]
	v_fmac_f64_e32 v[10:11], v[46:47], v[56:57]
	v_add_f64 v[0:1], v[0:1], v[4:5]
	v_mul_f64 v[4:5], v[82:83], v[86:87]
	v_add_f64 v[2:3], v[2:3], v[10:11]
	v_fmac_f64_e32 v[12:13], v[50:51], v[52:53]
	v_mul_f64 v[6:7], v[60:61], v[110:111]
	v_fma_f64 v[4:5], v[80:81], v[84:85], -v[4:5]
	v_add_f64 v[2:3], v[2:3], v[12:13]
	v_mul_f64 v[8:9], v[72:73], v[106:107]
	v_add_f64 v[0:1], v[0:1], v[4:5]
	v_fmac_f64_e32 v[6:7], v[62:63], v[108:109]
	v_mul_f64 v[4:5], v[90:91], v[118:119]
	v_mul_f64 v[10:11], v[76:77], v[98:99]
	v_add_f64 v[2:3], v[2:3], v[6:7]
	v_fmac_f64_e32 v[8:9], v[74:75], v[104:105]
	v_fma_f64 v[4:5], v[88:89], v[116:117], -v[4:5]
	v_mul_f64 v[12:13], v[80:81], v[86:87]
	v_add_f64 v[2:3], v[2:3], v[8:9]
	v_fmac_f64_e32 v[10:11], v[78:79], v[96:97]
	v_add_f64 v[0:1], v[0:1], v[4:5]
	v_mul_f64 v[4:5], v[94:95], v[122:123]
	v_add_f64 v[2:3], v[2:3], v[10:11]
	v_fmac_f64_e32 v[12:13], v[82:83], v[84:85]
	v_mul_f64 v[6:7], v[88:89], v[118:119]
	v_fma_f64 v[4:5], v[92:93], v[120:121], -v[4:5]
	v_add_f64 v[2:3], v[2:3], v[12:13]
	v_mul_f64 v[8:9], v[92:93], v[122:123]
	v_add_f64 v[0:1], v[0:1], v[4:5]
	v_mul_f64 v[4:5], v[102:103], v[126:127]
	v_fmac_f64_e32 v[6:7], v[90:91], v[116:117]
	v_fma_f64 v[4:5], v[100:101], v[124:125], -v[4:5]
	v_mul_f64 v[10:11], v[100:101], v[126:127]
	v_fmac_f64_e32 v[8:9], v[94:95], v[120:121]
	v_add_f64 v[2:3], v[2:3], v[6:7]
	v_add_f64 v[0:1], v[0:1], v[4:5]
	v_mul_f64 v[4:5], v[114:115], v[130:131]
	v_mul_f64 v[12:13], v[112:113], v[130:131]
	v_fmac_f64_e32 v[10:11], v[102:103], v[124:125]
	v_add_f64 v[2:3], v[2:3], v[8:9]
	v_fma_f64 v[4:5], v[112:113], v[128:129], -v[4:5]
	v_fmac_f64_e32 v[12:13], v[114:115], v[128:129]
	v_add_f64 v[2:3], v[2:3], v[10:11]
	s_add_i32 s2, s2, -1
	s_add_i32 s12, s12, s3
	v_add_f64 v[0:1], v[0:1], v[4:5]
	v_add_f64 v[2:3], v[2:3], v[12:13]
	v_add_u32_e32 v150, 64, v150
	s_cmp_eq_u32 s2, 0
	v_lshl_add_u64 v[8:9], v[154:155], 0, s[10:11]
	s_barrier
	s_cbranch_scc1 .LBB195_102
.LBB195_98:                             ; =>This Inner Loop Header: Depth=1
	s_and_saveexec_b64 s[14:15], s[18:19]
	s_cbranch_execz .LBB195_100
; %bb.99:                               ;   in Loop: Header=BB195_98 Depth=1
	s_ashr_i32 s13, s12, 31
	v_lshl_add_u64 v[4:5], s[12:13], 4, v[152:153]
	flat_load_dwordx4 v[4:7], v[4:5]
	s_waitcnt vmcnt(0) lgkmcnt(0)
	ds_write2_b64 v157, v[4:5], v[6:7] offset1:1
.LBB195_100:                            ;   in Loop: Header=BB195_98 Depth=1
	s_or_b64 exec, exec, s[14:15]
	s_waitcnt lgkmcnt(0)
	s_barrier
	flat_load_dwordx4 v[4:7], v[8:9]
	v_lshl_add_u64 v[12:13], v[8:9], 0, s[8:9]
	flat_load_dwordx4 v[8:11], v[12:13]
	v_lshl_add_u64 v[16:17], v[12:13], 0, s[8:9]
	;; [unrolled: 2-line block ×3, first 2 shown]
	flat_load_dwordx4 v[16:19], v[40:41]
	ds_read_b128 v[36:39], v159
	ds_read_b128 v[32:35], v158
	ds_read_b128 v[28:31], v158 offset:16
	ds_read_b128 v[24:27], v158 offset:32
	;; [unrolled: 1-line block ×3, first 2 shown]
	v_lshl_add_u64 v[48:49], v[40:41], 0, s[10:11]
	s_waitcnt vmcnt(0) lgkmcnt(0)
	v_mul_f64 v[40:41], v[6:7], v[38:39]
	v_mul_f64 v[42:43], v[4:5], v[38:39]
	v_fma_f64 v[40:41], v[4:5], v[36:37], -v[40:41]
	v_fmac_f64_e32 v[42:43], v[6:7], v[36:37]
	v_mul_f64 v[46:47], v[10:11], v[38:39]
	v_mul_f64 v[44:45], v[8:9], v[38:39]
	ds_write_b128 v160, v[40:43]
	v_fma_f64 v[42:43], v[8:9], v[36:37], -v[46:47]
	v_fmac_f64_e32 v[44:45], v[10:11], v[36:37]
	v_mul_f64 v[40:41], v[14:15], v[38:39]
	v_mul_f64 v[46:47], v[12:13], v[38:39]
	ds_write_b128 v160, v[42:45] offset:1072
	v_fma_f64 v[44:45], v[12:13], v[36:37], -v[40:41]
	v_fmac_f64_e32 v[46:47], v[14:15], v[36:37]
	v_mul_f64 v[42:43], v[18:19], v[38:39]
	v_mul_f64 v[40:41], v[16:17], v[38:39]
	ds_write_b128 v160, v[44:47] offset:2144
	v_fma_f64 v[38:39], v[16:17], v[36:37], -v[42:43]
	v_fmac_f64_e32 v[40:41], v[18:19], v[36:37]
	v_lshl_add_u64 v[44:45], v[48:49], 0, s[8:9]
	ds_write_b128 v160, v[38:41] offset:3216
	s_waitcnt lgkmcnt(0)
	s_barrier
	ds_read_b128 v[128:131], v161
	ds_read_b128 v[124:127], v161 offset:16
	ds_read_b128 v[120:123], v161 offset:32
	;; [unrolled: 1-line block ×3, first 2 shown]
	s_waitcnt lgkmcnt(0)
	s_barrier
	flat_load_dwordx4 v[36:39], v[48:49]
	flat_load_dwordx4 v[40:43], v[44:45]
	v_lshl_add_u64 v[48:49], v[44:45], 0, s[8:9]
	v_lshl_add_u64 v[52:53], v[48:49], 0, s[8:9]
	flat_load_dwordx4 v[44:47], v[48:49]
	v_lshl_add_u64 v[88:89], v[52:53], 0, s[10:11]
	flat_load_dwordx4 v[48:51], v[52:53]
	ds_read_b128 v[60:63], v159
	ds_read_b128 v[68:71], v158 offset:256
	ds_read_b128 v[64:67], v158 offset:272
	ds_read_b128 v[56:59], v158 offset:288
	ds_read_b128 v[52:55], v158 offset:304
	v_add_f64 v[128:129], v[128:129], 0
	v_add_f64 v[130:131], v[130:131], 0
	;; [unrolled: 1-line block ×8, first 2 shown]
	s_waitcnt vmcnt(0) lgkmcnt(0)
	v_mul_f64 v[72:73], v[38:39], v[62:63]
	v_mul_f64 v[74:75], v[36:37], v[62:63]
	;; [unrolled: 1-line block ×8, first 2 shown]
	v_fma_f64 v[72:73], v[36:37], v[60:61], -v[72:73]
	v_fma_f64 v[76:77], v[40:41], v[60:61], -v[76:77]
	v_fmac_f64_e32 v[74:75], v[38:39], v[60:61]
	v_fma_f64 v[80:81], v[44:45], v[60:61], -v[80:81]
	v_fma_f64 v[84:85], v[48:49], v[60:61], -v[84:85]
	v_fmac_f64_e32 v[78:79], v[42:43], v[60:61]
	v_fmac_f64_e32 v[82:83], v[46:47], v[60:61]
	v_fmac_f64_e32 v[86:87], v[50:51], v[60:61]
	ds_write_b128 v160, v[72:75]
	ds_write_b128 v160, v[76:79] offset:1072
	ds_write_b128 v160, v[80:83] offset:2144
	;; [unrolled: 1-line block ×3, first 2 shown]
	v_lshl_add_u64 v[76:77], v[88:89], 0, s[8:9]
	v_lshl_add_u64 v[80:81], v[76:77], 0, s[8:9]
	s_waitcnt lgkmcnt(0)
	s_barrier
	ds_read_b128 v[144:147], v161
	ds_read_b128 v[140:143], v161 offset:16
	ds_read_b128 v[136:139], v161 offset:32
	;; [unrolled: 1-line block ×3, first 2 shown]
	s_waitcnt lgkmcnt(0)
	s_barrier
	flat_load_dwordx4 v[60:63], v[88:89]
	flat_load_dwordx4 v[72:75], v[76:77]
	v_lshl_add_u64 v[84:85], v[80:81], 0, s[8:9]
	flat_load_dwordx4 v[76:79], v[80:81]
	v_lshl_add_u64 v[94:95], v[84:85], 0, s[10:11]
	flat_load_dwordx4 v[80:83], v[84:85]
	ds_read_b128 v[88:91], v159
	ds_read_b128 v[108:111], v158 offset:512
	ds_read_b128 v[104:107], v158 offset:528
	;; [unrolled: 1-line block ×4, first 2 shown]
	v_add_f64 v[116:117], v[144:145], 0
	v_add_f64 v[118:119], v[146:147], 0
	v_add_f64 v[116:117], v[116:117], v[140:141]
	v_add_f64 v[118:119], v[118:119], v[142:143]
	v_add_f64 v[116:117], v[116:117], v[136:137]
	v_add_f64 v[118:119], v[118:119], v[138:139]
	v_add_f64 v[132:133], v[116:117], v[132:133]
	v_add_f64 v[134:135], v[118:119], v[134:135]
	s_waitcnt vmcnt(0) lgkmcnt(0)
	v_mul_f64 v[100:101], v[62:63], v[90:91]
	v_mul_f64 v[92:93], v[60:61], v[90:91]
	;; [unrolled: 1-line block ×8, first 2 shown]
	v_fma_f64 v[90:91], v[60:61], v[88:89], -v[100:101]
	v_fma_f64 v[100:101], v[72:73], v[88:89], -v[112:113]
	v_fmac_f64_e32 v[92:93], v[62:63], v[88:89]
	v_fma_f64 v[112:113], v[76:77], v[88:89], -v[154:155]
	v_fma_f64 v[166:167], v[80:81], v[88:89], -v[166:167]
	v_fmac_f64_e32 v[102:103], v[74:75], v[88:89]
	v_fmac_f64_e32 v[114:115], v[78:79], v[88:89]
	;; [unrolled: 1-line block ×3, first 2 shown]
	ds_write_b128 v160, v[90:93]
	ds_write_b128 v160, v[100:103] offset:1072
	ds_write_b128 v160, v[112:115] offset:2144
	;; [unrolled: 1-line block ×3, first 2 shown]
	v_lshl_add_u64 v[100:101], v[94:95], 0, s[8:9]
	v_lshl_add_u64 v[112:113], v[100:101], 0, s[8:9]
	s_waitcnt lgkmcnt(0)
	s_barrier
	ds_read_b128 v[166:169], v161
	ds_read_b128 v[170:173], v161 offset:16
	ds_read_b128 v[174:177], v161 offset:32
	;; [unrolled: 1-line block ×3, first 2 shown]
	s_waitcnt lgkmcnt(0)
	s_barrier
	flat_load_dwordx4 v[88:91], v[94:95]
	v_lshl_add_u64 v[154:155], v[112:113], 0, s[8:9]
	flat_load_dwordx4 v[92:95], v[100:101]
	v_add_f64 v[140:141], v[166:167], 0
	flat_load_dwordx4 v[100:103], v[112:113]
	v_add_f64 v[142:143], v[168:169], 0
	flat_load_dwordx4 v[112:115], v[154:155]
	ds_read_b128 v[136:139], v159
	ds_read_b128 v[116:119], v158 offset:768
	ds_read_b128 v[120:123], v158 offset:784
	;; [unrolled: 1-line block ×4, first 2 shown]
	v_add_f64 v[140:141], v[140:141], v[170:171]
	v_add_f64 v[142:143], v[142:143], v[172:173]
	;; [unrolled: 1-line block ×6, first 2 shown]
	s_waitcnt vmcnt(0) lgkmcnt(0)
	v_mul_f64 v[144:145], v[90:91], v[138:139]
	v_mul_f64 v[146:147], v[88:89], v[138:139]
	;; [unrolled: 1-line block ×8, first 2 shown]
	v_fma_f64 v[144:145], v[88:89], v[136:137], -v[144:145]
	v_fma_f64 v[166:167], v[92:93], v[136:137], -v[166:167]
	;; [unrolled: 1-line block ×3, first 2 shown]
	v_fmac_f64_e32 v[146:147], v[90:91], v[136:137]
	v_fmac_f64_e32 v[168:169], v[94:95], v[136:137]
	;; [unrolled: 1-line block ×3, first 2 shown]
	v_fma_f64 v[174:175], v[112:113], v[136:137], -v[174:175]
	v_fmac_f64_e32 v[176:177], v[114:115], v[136:137]
	ds_write_b128 v160, v[144:147]
	ds_write_b128 v160, v[166:169] offset:1072
	ds_write_b128 v160, v[170:173] offset:2144
	;; [unrolled: 1-line block ×3, first 2 shown]
	s_waitcnt lgkmcnt(0)
	s_barrier
	ds_read_b128 v[136:139], v161
	ds_read_b128 v[144:147], v161 offset:16
	ds_read_b128 v[166:169], v161 offset:32
	;; [unrolled: 1-line block ×3, first 2 shown]
	s_waitcnt lgkmcnt(0)
	s_barrier
	ds_write_b128 v164, v[182:185]
	ds_write_b128 v164, v[132:135] offset:256
	ds_write_b128 v164, v[140:143] offset:512
	v_add_f64 v[132:133], v[136:137], 0
	v_add_f64 v[134:135], v[138:139], 0
	;; [unrolled: 1-line block ×8, first 2 shown]
	ds_write_b128 v164, v[132:135] offset:768
	s_waitcnt lgkmcnt(0)
	s_barrier
	s_and_saveexec_b64 s[14:15], s[0:1]
	s_cbranch_execz .LBB195_97
; %bb.101:                              ;   in Loop: Header=BB195_98 Depth=1
	ds_read_b128 v[132:135], v162
	ds_read_b128 v[136:139], v162 offset:16
	ds_read_b128 v[140:143], v162 offset:32
	;; [unrolled: 1-line block ×3, first 2 shown]
	s_waitcnt lgkmcnt(2)
	v_add_f64 v[132:133], v[136:137], v[132:133]
	v_add_f64 v[136:137], v[138:139], v[134:135]
	s_waitcnt lgkmcnt(1)
	v_add_f64 v[138:139], v[132:133], v[140:141]
	ds_read_b128 v[132:135], v162 offset:64
	v_add_f64 v[140:141], v[136:137], v[142:143]
	s_waitcnt lgkmcnt(1)
	v_add_f64 v[142:143], v[138:139], v[144:145]
	ds_read_b128 v[136:139], v162 offset:80
	;; [unrolled: 4-line block ×9, first 2 shown]
	v_add_f64 v[134:135], v[144:145], v[134:135]
	s_waitcnt lgkmcnt(1)
	v_add_f64 v[136:137], v[132:133], v[136:137]
	v_add_f64 v[144:145], v[134:135], v[138:139]
	ds_read_b128 v[132:135], v162 offset:208
	s_waitcnt lgkmcnt(1)
	v_add_f64 v[146:147], v[136:137], v[140:141]
	ds_read_b128 v[136:139], v162 offset:224
	v_add_f64 v[144:145], v[144:145], v[142:143]
	ds_read_b128 v[140:143], v163
	s_waitcnt lgkmcnt(2)
	v_add_f64 v[132:133], v[146:147], v[132:133]
	v_add_f64 v[134:135], v[144:145], v[134:135]
	s_waitcnt lgkmcnt(1)
	v_add_f64 v[132:133], v[132:133], v[136:137]
	v_add_f64 v[134:135], v[134:135], v[138:139]
	;; [unrolled: 3-line block ×3, first 2 shown]
	v_lshl_add_u64 v[136:137], v[150:151], 4, s[6:7]
	global_store_dwordx4 v[136:137], v[132:135], off
	s_branch .LBB195_97
.LBB195_102:
	s_movk_i32 s0, 0x430
	v_mad_u32_u24 v4, v149, s0, v156
	s_nor_b64 s[0:1], s[4:5], vcc
	ds_write_b128 v4, v[0:3]
	s_waitcnt lgkmcnt(0)
	s_barrier
	s_and_saveexec_b64 s[2:3], s[0:1]
	s_cbranch_execz .LBB195_104
; %bb.103:
	ds_read_b128 v[0:3], v156 offset:1072
	ds_read_b128 v[4:7], v156
	ds_read_b128 v[8:11], v156 offset:2144
	ds_read_b128 v[12:15], v156 offset:3216
	v_ashrrev_i32_e32 v149, 31, v148
	s_waitcnt lgkmcnt(2)
	v_add_f64 v[0:1], v[0:1], v[4:5]
	v_add_f64 v[2:3], v[2:3], v[6:7]
	s_waitcnt lgkmcnt(1)
	v_add_f64 v[0:1], v[0:1], v[8:9]
	v_add_f64 v[2:3], v[2:3], v[10:11]
	;; [unrolled: 3-line block ×3, first 2 shown]
	v_lshl_add_u64 v[4:5], v[148:149], 4, s[6:7]
	global_store_dwordx4 v[4:5], v[0:3], off
.LBB195_104:
	s_endpgm
	.section	.rodata,"a",@progbits
	.p2align	6, 0x0
	.amdhsa_kernel _ZL26rocblas_hemvn_kernel_lowerILb0ELi64ELi4ELi33ELi32ELi16Ei19rocblas_complex_numIdEPKPKS1_PS1_EviT6_lT7_lT5_lS8_lS9_lS7_lT8_i
		.amdhsa_group_segment_fixed_size 19200
		.amdhsa_private_segment_fixed_size 0
		.amdhsa_kernarg_size 392
		.amdhsa_user_sgpr_count 2
		.amdhsa_user_sgpr_dispatch_ptr 0
		.amdhsa_user_sgpr_queue_ptr 0
		.amdhsa_user_sgpr_kernarg_segment_ptr 1
		.amdhsa_user_sgpr_dispatch_id 0
		.amdhsa_user_sgpr_kernarg_preload_length 0
		.amdhsa_user_sgpr_kernarg_preload_offset 0
		.amdhsa_user_sgpr_private_segment_size 0
		.amdhsa_uses_dynamic_stack 0
		.amdhsa_enable_private_segment 0
		.amdhsa_system_sgpr_workgroup_id_x 1
		.amdhsa_system_sgpr_workgroup_id_y 0
		.amdhsa_system_sgpr_workgroup_id_z 1
		.amdhsa_system_sgpr_workgroup_info 0
		.amdhsa_system_vgpr_workitem_id 1
		.amdhsa_next_free_vgpr 186
		.amdhsa_next_free_sgpr 42
		.amdhsa_accum_offset 188
		.amdhsa_reserve_vcc 1
		.amdhsa_float_round_mode_32 0
		.amdhsa_float_round_mode_16_64 0
		.amdhsa_float_denorm_mode_32 3
		.amdhsa_float_denorm_mode_16_64 3
		.amdhsa_dx10_clamp 1
		.amdhsa_ieee_mode 1
		.amdhsa_fp16_overflow 0
		.amdhsa_tg_split 0
		.amdhsa_exception_fp_ieee_invalid_op 0
		.amdhsa_exception_fp_denorm_src 0
		.amdhsa_exception_fp_ieee_div_zero 0
		.amdhsa_exception_fp_ieee_overflow 0
		.amdhsa_exception_fp_ieee_underflow 0
		.amdhsa_exception_fp_ieee_inexact 0
		.amdhsa_exception_int_div_zero 0
	.end_amdhsa_kernel
	.section	.text._ZL26rocblas_hemvn_kernel_lowerILb0ELi64ELi4ELi33ELi32ELi16Ei19rocblas_complex_numIdEPKPKS1_PS1_EviT6_lT7_lT5_lS8_lS9_lS7_lT8_i,"axG",@progbits,_ZL26rocblas_hemvn_kernel_lowerILb0ELi64ELi4ELi33ELi32ELi16Ei19rocblas_complex_numIdEPKPKS1_PS1_EviT6_lT7_lT5_lS8_lS9_lS7_lT8_i,comdat
.Lfunc_end195:
	.size	_ZL26rocblas_hemvn_kernel_lowerILb0ELi64ELi4ELi33ELi32ELi16Ei19rocblas_complex_numIdEPKPKS1_PS1_EviT6_lT7_lT5_lS8_lS9_lS7_lT8_i, .Lfunc_end195-_ZL26rocblas_hemvn_kernel_lowerILb0ELi64ELi4ELi33ELi32ELi16Ei19rocblas_complex_numIdEPKPKS1_PS1_EviT6_lT7_lT5_lS8_lS9_lS7_lT8_i
                                        ; -- End function
	.set _ZL26rocblas_hemvn_kernel_lowerILb0ELi64ELi4ELi33ELi32ELi16Ei19rocblas_complex_numIdEPKPKS1_PS1_EviT6_lT7_lT5_lS8_lS9_lS7_lT8_i.num_vgpr, 186
	.set _ZL26rocblas_hemvn_kernel_lowerILb0ELi64ELi4ELi33ELi32ELi16Ei19rocblas_complex_numIdEPKPKS1_PS1_EviT6_lT7_lT5_lS8_lS9_lS7_lT8_i.num_agpr, 0
	.set _ZL26rocblas_hemvn_kernel_lowerILb0ELi64ELi4ELi33ELi32ELi16Ei19rocblas_complex_numIdEPKPKS1_PS1_EviT6_lT7_lT5_lS8_lS9_lS7_lT8_i.numbered_sgpr, 42
	.set _ZL26rocblas_hemvn_kernel_lowerILb0ELi64ELi4ELi33ELi32ELi16Ei19rocblas_complex_numIdEPKPKS1_PS1_EviT6_lT7_lT5_lS8_lS9_lS7_lT8_i.num_named_barrier, 0
	.set _ZL26rocblas_hemvn_kernel_lowerILb0ELi64ELi4ELi33ELi32ELi16Ei19rocblas_complex_numIdEPKPKS1_PS1_EviT6_lT7_lT5_lS8_lS9_lS7_lT8_i.private_seg_size, 0
	.set _ZL26rocblas_hemvn_kernel_lowerILb0ELi64ELi4ELi33ELi32ELi16Ei19rocblas_complex_numIdEPKPKS1_PS1_EviT6_lT7_lT5_lS8_lS9_lS7_lT8_i.uses_vcc, 1
	.set _ZL26rocblas_hemvn_kernel_lowerILb0ELi64ELi4ELi33ELi32ELi16Ei19rocblas_complex_numIdEPKPKS1_PS1_EviT6_lT7_lT5_lS8_lS9_lS7_lT8_i.uses_flat_scratch, 0
	.set _ZL26rocblas_hemvn_kernel_lowerILb0ELi64ELi4ELi33ELi32ELi16Ei19rocblas_complex_numIdEPKPKS1_PS1_EviT6_lT7_lT5_lS8_lS9_lS7_lT8_i.has_dyn_sized_stack, 0
	.set _ZL26rocblas_hemvn_kernel_lowerILb0ELi64ELi4ELi33ELi32ELi16Ei19rocblas_complex_numIdEPKPKS1_PS1_EviT6_lT7_lT5_lS8_lS9_lS7_lT8_i.has_recursion, 0
	.set _ZL26rocblas_hemvn_kernel_lowerILb0ELi64ELi4ELi33ELi32ELi16Ei19rocblas_complex_numIdEPKPKS1_PS1_EviT6_lT7_lT5_lS8_lS9_lS7_lT8_i.has_indirect_call, 0
	.section	.AMDGPU.csdata,"",@progbits
; Kernel info:
; codeLenInByte = 8880
; TotalNumSgprs: 48
; NumVgprs: 186
; NumAgprs: 0
; TotalNumVgprs: 186
; ScratchSize: 0
; MemoryBound: 0
; FloatMode: 240
; IeeeMode: 1
; LDSByteSize: 19200 bytes/workgroup (compile time only)
; SGPRBlocks: 5
; VGPRBlocks: 23
; NumSGPRsForWavesPerEU: 48
; NumVGPRsForWavesPerEU: 186
; AccumOffset: 188
; Occupancy: 2
; WaveLimiterHint : 0
; COMPUTE_PGM_RSRC2:SCRATCH_EN: 0
; COMPUTE_PGM_RSRC2:USER_SGPR: 2
; COMPUTE_PGM_RSRC2:TRAP_HANDLER: 0
; COMPUTE_PGM_RSRC2:TGID_X_EN: 1
; COMPUTE_PGM_RSRC2:TGID_Y_EN: 0
; COMPUTE_PGM_RSRC2:TGID_Z_EN: 1
; COMPUTE_PGM_RSRC2:TIDIG_COMP_CNT: 1
; COMPUTE_PGM_RSRC3_GFX90A:ACCUM_OFFSET: 46
; COMPUTE_PGM_RSRC3_GFX90A:TG_SPLIT: 0
	.section	.AMDGPU.gpr_maximums,"",@progbits
	.set amdgpu.max_num_vgpr, 0
	.set amdgpu.max_num_agpr, 0
	.set amdgpu.max_num_sgpr, 0
	.section	.AMDGPU.csdata,"",@progbits
	.type	__hip_cuid_c2b82fc545bf4cfd,@object ; @__hip_cuid_c2b82fc545bf4cfd
	.section	.bss,"aw",@nobits
	.globl	__hip_cuid_c2b82fc545bf4cfd
__hip_cuid_c2b82fc545bf4cfd:
	.byte	0                               ; 0x0
	.size	__hip_cuid_c2b82fc545bf4cfd, 1

	.ident	"AMD clang version 22.0.0git (https://github.com/RadeonOpenCompute/llvm-project roc-7.2.4 26084 f58b06dce1f9c15707c5f808fd002e18c2accf7e)"
	.section	".note.GNU-stack","",@progbits
	.addrsig
	.addrsig_sym __hip_cuid_c2b82fc545bf4cfd
	.amdgpu_metadata
---
amdhsa.kernels:
  - .agpr_count:     0
    .args:
      - .offset:         0
        .size:           4
        .value_kind:     by_value
      - .address_space:  global
        .offset:         8
        .size:           8
        .value_kind:     global_buffer
      - .offset:         16
        .size:           8
        .value_kind:     by_value
      - .address_space:  global
        .offset:         24
        .size:           8
        .value_kind:     global_buffer
      - .offset:         32
        .size:           8
        .value_kind:     by_value
      - .offset:         40
        .size:           8
        .value_kind:     by_value
      - .offset:         48
        .size:           8
        .value_kind:     by_value
      - .address_space:  global
        .offset:         56
        .size:           8
        .value_kind:     global_buffer
      - .offset:         64
        .size:           8
        .value_kind:     by_value
      - .offset:         72
        .size:           8
        .value_kind:     by_value
      - .offset:         80
        .size:           8
        .value_kind:     by_value
      - .address_space:  global
        .offset:         88
        .size:           8
        .value_kind:     global_buffer
      - .offset:         96
        .size:           8
        .value_kind:     by_value
      - .address_space:  global
        .offset:         104
        .size:           8
        .value_kind:     global_buffer
      - .offset:         112
        .size:           4
        .value_kind:     by_value
      - .offset:         120
        .size:           4
        .value_kind:     hidden_block_count_x
      - .offset:         124
        .size:           4
        .value_kind:     hidden_block_count_y
      - .offset:         128
        .size:           4
        .value_kind:     hidden_block_count_z
      - .offset:         132
        .size:           2
        .value_kind:     hidden_group_size_x
      - .offset:         134
        .size:           2
        .value_kind:     hidden_group_size_y
      - .offset:         136
        .size:           2
        .value_kind:     hidden_group_size_z
      - .offset:         138
        .size:           2
        .value_kind:     hidden_remainder_x
      - .offset:         140
        .size:           2
        .value_kind:     hidden_remainder_y
      - .offset:         142
        .size:           2
        .value_kind:     hidden_remainder_z
      - .offset:         160
        .size:           8
        .value_kind:     hidden_global_offset_x
      - .offset:         168
        .size:           8
        .value_kind:     hidden_global_offset_y
      - .offset:         176
        .size:           8
        .value_kind:     hidden_global_offset_z
      - .offset:         184
        .size:           2
        .value_kind:     hidden_grid_dims
    .group_segment_fixed_size: 9600
    .kernarg_segment_align: 8
    .kernarg_segment_size: 376
    .language:       OpenCL C
    .language_version:
      - 2
      - 0
    .max_flat_workgroup_size: 256
    .name:           _ZL26rocblas_hemvn_kernel_upperILb1ELi64ELi4ELi33ELi32ELi16ElPK19rocblas_complex_numIfES3_PS1_EviT6_lT7_lT5_lS6_lS7_lS5_lT8_i
    .private_segment_fixed_size: 0
    .sgpr_count:     44
    .sgpr_spill_count: 0
    .symbol:         _ZL26rocblas_hemvn_kernel_upperILb1ELi64ELi4ELi33ELi32ELi16ElPK19rocblas_complex_numIfES3_PS1_EviT6_lT7_lT5_lS6_lS7_lS5_lT8_i.kd
    .uniform_work_group_size: 1
    .uses_dynamic_stack: false
    .vgpr_count:     160
    .vgpr_spill_count: 0
    .wavefront_size: 64
  - .agpr_count:     0
    .args:
      - .offset:         0
        .size:           4
        .value_kind:     by_value
      - .address_space:  global
        .offset:         8
        .size:           8
        .value_kind:     global_buffer
      - .offset:         16
        .size:           8
        .value_kind:     by_value
      - .address_space:  global
        .offset:         24
        .size:           8
        .value_kind:     global_buffer
      - .offset:         32
        .size:           8
        .value_kind:     by_value
      - .address_space:  global
        .offset:         40
        .size:           8
        .value_kind:     global_buffer
      - .offset:         48
        .size:           8
        .value_kind:     by_value
      - .offset:         56
        .size:           8
        .value_kind:     by_value
      - .offset:         64
        .size:           8
        .value_kind:     by_value
      - .address_space:  global
        .offset:         72
        .size:           8
        .value_kind:     global_buffer
      - .offset:         80
        .size:           4
        .value_kind:     by_value
      - .offset:         88
        .size:           4
        .value_kind:     hidden_block_count_x
      - .offset:         92
        .size:           4
        .value_kind:     hidden_block_count_y
      - .offset:         96
        .size:           4
        .value_kind:     hidden_block_count_z
      - .offset:         100
        .size:           2
        .value_kind:     hidden_group_size_x
      - .offset:         102
        .size:           2
        .value_kind:     hidden_group_size_y
      - .offset:         104
        .size:           2
        .value_kind:     hidden_group_size_z
      - .offset:         106
        .size:           2
        .value_kind:     hidden_remainder_x
      - .offset:         108
        .size:           2
        .value_kind:     hidden_remainder_y
      - .offset:         110
        .size:           2
        .value_kind:     hidden_remainder_z
      - .offset:         128
        .size:           8
        .value_kind:     hidden_global_offset_x
      - .offset:         136
        .size:           8
        .value_kind:     hidden_global_offset_y
      - .offset:         144
        .size:           8
        .value_kind:     hidden_global_offset_z
      - .offset:         152
        .size:           2
        .value_kind:     hidden_grid_dims
    .group_segment_fixed_size: 0
    .kernarg_segment_align: 8
    .kernarg_segment_size: 344
    .language:       OpenCL C
    .language_version:
      - 2
      - 0
    .max_flat_workgroup_size: 64
    .name:           _ZL36rocblas_hemvn_kernel_upper_block_sumILi64ElPK19rocblas_complex_numIfEPS1_S1_EviT1_lS5_lT2_lT0_lPT3_i
    .private_segment_fixed_size: 0
    .sgpr_count:     30
    .sgpr_spill_count: 0
    .symbol:         _ZL36rocblas_hemvn_kernel_upper_block_sumILi64ElPK19rocblas_complex_numIfEPS1_S1_EviT1_lS5_lT2_lT0_lPT3_i.kd
    .uniform_work_group_size: 1
    .uses_dynamic_stack: false
    .vgpr_count:     14
    .vgpr_spill_count: 0
    .wavefront_size: 64
  - .agpr_count:     0
    .args:
      - .offset:         0
        .size:           4
        .value_kind:     by_value
      - .address_space:  global
        .offset:         8
        .size:           8
        .value_kind:     global_buffer
      - .offset:         16
        .size:           8
        .value_kind:     by_value
      - .address_space:  global
        .offset:         24
        .size:           8
        .value_kind:     global_buffer
      - .offset:         32
        .size:           8
        .value_kind:     by_value
      - .offset:         40
        .size:           4
        .value_kind:     by_value
      - .offset:         48
        .size:           8
        .value_kind:     by_value
      - .address_space:  global
        .offset:         56
        .size:           8
        .value_kind:     global_buffer
      - .offset:         64
        .size:           8
        .value_kind:     by_value
      - .offset:         72
        .size:           4
        .value_kind:     by_value
      - .offset:         80
        .size:           8
        .value_kind:     by_value
      - .address_space:  global
        .offset:         88
        .size:           8
        .value_kind:     global_buffer
      - .offset:         96
        .size:           8
        .value_kind:     by_value
      - .address_space:  global
        .offset:         104
        .size:           8
        .value_kind:     global_buffer
      - .offset:         112
        .size:           4
        .value_kind:     by_value
      - .offset:         120
        .size:           4
        .value_kind:     hidden_block_count_x
      - .offset:         124
        .size:           4
        .value_kind:     hidden_block_count_y
      - .offset:         128
        .size:           4
        .value_kind:     hidden_block_count_z
      - .offset:         132
        .size:           2
        .value_kind:     hidden_group_size_x
      - .offset:         134
        .size:           2
        .value_kind:     hidden_group_size_y
      - .offset:         136
        .size:           2
        .value_kind:     hidden_group_size_z
      - .offset:         138
        .size:           2
        .value_kind:     hidden_remainder_x
      - .offset:         140
        .size:           2
        .value_kind:     hidden_remainder_y
      - .offset:         142
        .size:           2
        .value_kind:     hidden_remainder_z
      - .offset:         160
        .size:           8
        .value_kind:     hidden_global_offset_x
      - .offset:         168
        .size:           8
        .value_kind:     hidden_global_offset_y
      - .offset:         176
        .size:           8
        .value_kind:     hidden_global_offset_z
      - .offset:         184
        .size:           2
        .value_kind:     hidden_grid_dims
    .group_segment_fixed_size: 9600
    .kernarg_segment_align: 8
    .kernarg_segment_size: 376
    .language:       OpenCL C
    .language_version:
      - 2
      - 0
    .max_flat_workgroup_size: 256
    .name:           _ZL26rocblas_hemvn_kernel_upperILb1ELi64ELi4ELi33ELi32ELi16EiPK19rocblas_complex_numIfES3_PS1_EviT6_lT7_lT5_lS6_lS7_lS5_lT8_i
    .private_segment_fixed_size: 0
    .sgpr_count:     50
    .sgpr_spill_count: 0
    .symbol:         _ZL26rocblas_hemvn_kernel_upperILb1ELi64ELi4ELi33ELi32ELi16EiPK19rocblas_complex_numIfES3_PS1_EviT6_lT7_lT5_lS6_lS7_lS5_lT8_i.kd
    .uniform_work_group_size: 1
    .uses_dynamic_stack: false
    .vgpr_count:     170
    .vgpr_spill_count: 0
    .wavefront_size: 64
  - .agpr_count:     0
    .args:
      - .offset:         0
        .size:           4
        .value_kind:     by_value
      - .address_space:  global
        .offset:         8
        .size:           8
        .value_kind:     global_buffer
      - .offset:         16
        .size:           8
        .value_kind:     by_value
      - .address_space:  global
        .offset:         24
        .size:           8
        .value_kind:     global_buffer
      - .offset:         32
        .size:           8
        .value_kind:     by_value
      - .address_space:  global
        .offset:         40
        .size:           8
        .value_kind:     global_buffer
      - .offset:         48
        .size:           8
        .value_kind:     by_value
      - .offset:         56
        .size:           4
        .value_kind:     by_value
      - .offset:         64
        .size:           8
        .value_kind:     by_value
      - .address_space:  global
        .offset:         72
        .size:           8
        .value_kind:     global_buffer
      - .offset:         80
        .size:           4
        .value_kind:     by_value
      - .offset:         88
        .size:           4
        .value_kind:     hidden_block_count_x
      - .offset:         92
        .size:           4
        .value_kind:     hidden_block_count_y
      - .offset:         96
        .size:           4
        .value_kind:     hidden_block_count_z
      - .offset:         100
        .size:           2
        .value_kind:     hidden_group_size_x
      - .offset:         102
        .size:           2
        .value_kind:     hidden_group_size_y
      - .offset:         104
        .size:           2
        .value_kind:     hidden_group_size_z
      - .offset:         106
        .size:           2
        .value_kind:     hidden_remainder_x
      - .offset:         108
        .size:           2
        .value_kind:     hidden_remainder_y
      - .offset:         110
        .size:           2
        .value_kind:     hidden_remainder_z
      - .offset:         128
        .size:           8
        .value_kind:     hidden_global_offset_x
      - .offset:         136
        .size:           8
        .value_kind:     hidden_global_offset_y
      - .offset:         144
        .size:           8
        .value_kind:     hidden_global_offset_z
      - .offset:         152
        .size:           2
        .value_kind:     hidden_grid_dims
    .group_segment_fixed_size: 0
    .kernarg_segment_align: 8
    .kernarg_segment_size: 344
    .language:       OpenCL C
    .language_version:
      - 2
      - 0
    .max_flat_workgroup_size: 64
    .name:           _ZL36rocblas_hemvn_kernel_upper_block_sumILi64EiPK19rocblas_complex_numIfEPS1_S1_EviT1_lS5_lT2_lT0_lPT3_i
    .private_segment_fixed_size: 0
    .sgpr_count:     34
    .sgpr_spill_count: 0
    .symbol:         _ZL36rocblas_hemvn_kernel_upper_block_sumILi64EiPK19rocblas_complex_numIfEPS1_S1_EviT1_lS5_lT2_lT0_lPT3_i.kd
    .uniform_work_group_size: 1
    .uses_dynamic_stack: false
    .vgpr_count:     12
    .vgpr_spill_count: 0
    .wavefront_size: 64
  - .agpr_count:     0
    .args:
      - .offset:         0
        .size:           4
        .value_kind:     by_value
      - .offset:         4
        .size:           8
        .value_kind:     by_value
      - .offset:         16
        .size:           8
        .value_kind:     by_value
      - .address_space:  global
        .offset:         24
        .size:           8
        .value_kind:     global_buffer
      - .offset:         32
        .size:           8
        .value_kind:     by_value
      - .offset:         40
        .size:           8
        .value_kind:     by_value
      - .offset:         48
        .size:           8
        .value_kind:     by_value
      - .address_space:  global
        .offset:         56
        .size:           8
        .value_kind:     global_buffer
      - .offset:         64
        .size:           8
        .value_kind:     by_value
      - .offset:         72
        .size:           8
        .value_kind:     by_value
      - .offset:         80
        .size:           8
        .value_kind:     by_value
      - .offset:         88
        .size:           8
        .value_kind:     by_value
      - .offset:         96
        .size:           8
        .value_kind:     by_value
      - .address_space:  global
        .offset:         104
        .size:           8
        .value_kind:     global_buffer
      - .offset:         112
        .size:           4
        .value_kind:     by_value
      - .offset:         120
        .size:           4
        .value_kind:     hidden_block_count_x
      - .offset:         124
        .size:           4
        .value_kind:     hidden_block_count_y
      - .offset:         128
        .size:           4
        .value_kind:     hidden_block_count_z
      - .offset:         132
        .size:           2
        .value_kind:     hidden_group_size_x
      - .offset:         134
        .size:           2
        .value_kind:     hidden_group_size_y
      - .offset:         136
        .size:           2
        .value_kind:     hidden_group_size_z
      - .offset:         138
        .size:           2
        .value_kind:     hidden_remainder_x
      - .offset:         140
        .size:           2
        .value_kind:     hidden_remainder_y
      - .offset:         142
        .size:           2
        .value_kind:     hidden_remainder_z
      - .offset:         160
        .size:           8
        .value_kind:     hidden_global_offset_x
      - .offset:         168
        .size:           8
        .value_kind:     hidden_global_offset_y
      - .offset:         176
        .size:           8
        .value_kind:     hidden_global_offset_z
      - .offset:         184
        .size:           2
        .value_kind:     hidden_grid_dims
    .group_segment_fixed_size: 9600
    .kernarg_segment_align: 8
    .kernarg_segment_size: 376
    .language:       OpenCL C
    .language_version:
      - 2
      - 0
    .max_flat_workgroup_size: 256
    .name:           _ZL26rocblas_hemvn_kernel_upperILb1ELi64ELi4ELi33ELi32ELi16El19rocblas_complex_numIfEPKS1_PS1_EviT6_lT7_lT5_lS6_lS7_lS5_lT8_i
    .private_segment_fixed_size: 0
    .sgpr_count:     44
    .sgpr_spill_count: 0
    .symbol:         _ZL26rocblas_hemvn_kernel_upperILb1ELi64ELi4ELi33ELi32ELi16El19rocblas_complex_numIfEPKS1_PS1_EviT6_lT7_lT5_lS6_lS7_lS5_lT8_i.kd
    .uniform_work_group_size: 1
    .uses_dynamic_stack: false
    .vgpr_count:     160
    .vgpr_spill_count: 0
    .wavefront_size: 64
  - .agpr_count:     0
    .args:
      - .offset:         0
        .size:           4
        .value_kind:     by_value
      - .offset:         4
        .size:           8
        .value_kind:     by_value
      - .offset:         16
        .size:           8
        .value_kind:     by_value
      - .offset:         24
        .size:           8
        .value_kind:     by_value
      - .offset:         32
        .size:           8
        .value_kind:     by_value
      - .address_space:  global
        .offset:         40
        .size:           8
        .value_kind:     global_buffer
      - .offset:         48
        .size:           8
        .value_kind:     by_value
      - .offset:         56
        .size:           8
        .value_kind:     by_value
      - .offset:         64
        .size:           8
        .value_kind:     by_value
      - .address_space:  global
        .offset:         72
        .size:           8
        .value_kind:     global_buffer
      - .offset:         80
        .size:           4
        .value_kind:     by_value
      - .offset:         88
        .size:           4
        .value_kind:     hidden_block_count_x
      - .offset:         92
        .size:           4
        .value_kind:     hidden_block_count_y
      - .offset:         96
        .size:           4
        .value_kind:     hidden_block_count_z
      - .offset:         100
        .size:           2
        .value_kind:     hidden_group_size_x
      - .offset:         102
        .size:           2
        .value_kind:     hidden_group_size_y
      - .offset:         104
        .size:           2
        .value_kind:     hidden_group_size_z
      - .offset:         106
        .size:           2
        .value_kind:     hidden_remainder_x
      - .offset:         108
        .size:           2
        .value_kind:     hidden_remainder_y
      - .offset:         110
        .size:           2
        .value_kind:     hidden_remainder_z
      - .offset:         128
        .size:           8
        .value_kind:     hidden_global_offset_x
      - .offset:         136
        .size:           8
        .value_kind:     hidden_global_offset_y
      - .offset:         144
        .size:           8
        .value_kind:     hidden_global_offset_z
      - .offset:         152
        .size:           2
        .value_kind:     hidden_grid_dims
    .group_segment_fixed_size: 0
    .kernarg_segment_align: 8
    .kernarg_segment_size: 344
    .language:       OpenCL C
    .language_version:
      - 2
      - 0
    .max_flat_workgroup_size: 64
    .name:           _ZL36rocblas_hemvn_kernel_upper_block_sumILi64El19rocblas_complex_numIfEPS1_S1_EviT1_lS3_lT2_lT0_lPT3_i
    .private_segment_fixed_size: 0
    .sgpr_count:     30
    .sgpr_spill_count: 0
    .symbol:         _ZL36rocblas_hemvn_kernel_upper_block_sumILi64El19rocblas_complex_numIfEPS1_S1_EviT1_lS3_lT2_lT0_lPT3_i.kd
    .uniform_work_group_size: 1
    .uses_dynamic_stack: false
    .vgpr_count:     14
    .vgpr_spill_count: 0
    .wavefront_size: 64
  - .agpr_count:     0
    .args:
      - .offset:         0
        .size:           4
        .value_kind:     by_value
      - .offset:         4
        .size:           8
        .value_kind:     by_value
      - .offset:         16
        .size:           8
        .value_kind:     by_value
      - .address_space:  global
        .offset:         24
        .size:           8
        .value_kind:     global_buffer
      - .offset:         32
        .size:           8
        .value_kind:     by_value
      - .offset:         40
        .size:           4
        .value_kind:     by_value
      - .offset:         48
        .size:           8
        .value_kind:     by_value
      - .address_space:  global
        .offset:         56
        .size:           8
        .value_kind:     global_buffer
      - .offset:         64
        .size:           8
        .value_kind:     by_value
      - .offset:         72
        .size:           4
        .value_kind:     by_value
      - .offset:         80
        .size:           8
        .value_kind:     by_value
      - .offset:         88
        .size:           8
        .value_kind:     by_value
      - .offset:         96
        .size:           8
        .value_kind:     by_value
      - .address_space:  global
        .offset:         104
        .size:           8
        .value_kind:     global_buffer
      - .offset:         112
        .size:           4
        .value_kind:     by_value
      - .offset:         120
        .size:           4
        .value_kind:     hidden_block_count_x
      - .offset:         124
        .size:           4
        .value_kind:     hidden_block_count_y
      - .offset:         128
        .size:           4
        .value_kind:     hidden_block_count_z
      - .offset:         132
        .size:           2
        .value_kind:     hidden_group_size_x
      - .offset:         134
        .size:           2
        .value_kind:     hidden_group_size_y
      - .offset:         136
        .size:           2
        .value_kind:     hidden_group_size_z
      - .offset:         138
        .size:           2
        .value_kind:     hidden_remainder_x
      - .offset:         140
        .size:           2
        .value_kind:     hidden_remainder_y
      - .offset:         142
        .size:           2
        .value_kind:     hidden_remainder_z
      - .offset:         160
        .size:           8
        .value_kind:     hidden_global_offset_x
      - .offset:         168
        .size:           8
        .value_kind:     hidden_global_offset_y
      - .offset:         176
        .size:           8
        .value_kind:     hidden_global_offset_z
      - .offset:         184
        .size:           2
        .value_kind:     hidden_grid_dims
    .group_segment_fixed_size: 9600
    .kernarg_segment_align: 8
    .kernarg_segment_size: 376
    .language:       OpenCL C
    .language_version:
      - 2
      - 0
    .max_flat_workgroup_size: 256
    .name:           _ZL26rocblas_hemvn_kernel_upperILb1ELi64ELi4ELi33ELi32ELi16Ei19rocblas_complex_numIfEPKS1_PS1_EviT6_lT7_lT5_lS6_lS7_lS5_lT8_i
    .private_segment_fixed_size: 0
    .sgpr_count:     50
    .sgpr_spill_count: 0
    .symbol:         _ZL26rocblas_hemvn_kernel_upperILb1ELi64ELi4ELi33ELi32ELi16Ei19rocblas_complex_numIfEPKS1_PS1_EviT6_lT7_lT5_lS6_lS7_lS5_lT8_i.kd
    .uniform_work_group_size: 1
    .uses_dynamic_stack: false
    .vgpr_count:     170
    .vgpr_spill_count: 0
    .wavefront_size: 64
  - .agpr_count:     0
    .args:
      - .offset:         0
        .size:           4
        .value_kind:     by_value
      - .offset:         4
        .size:           8
        .value_kind:     by_value
      - .offset:         16
        .size:           8
        .value_kind:     by_value
      - .offset:         24
        .size:           8
        .value_kind:     by_value
      - .offset:         32
        .size:           8
        .value_kind:     by_value
      - .address_space:  global
        .offset:         40
        .size:           8
        .value_kind:     global_buffer
      - .offset:         48
        .size:           8
        .value_kind:     by_value
      - .offset:         56
        .size:           4
        .value_kind:     by_value
      - .offset:         64
        .size:           8
        .value_kind:     by_value
      - .address_space:  global
        .offset:         72
        .size:           8
        .value_kind:     global_buffer
      - .offset:         80
        .size:           4
        .value_kind:     by_value
      - .offset:         88
        .size:           4
        .value_kind:     hidden_block_count_x
      - .offset:         92
        .size:           4
        .value_kind:     hidden_block_count_y
      - .offset:         96
        .size:           4
        .value_kind:     hidden_block_count_z
      - .offset:         100
        .size:           2
        .value_kind:     hidden_group_size_x
      - .offset:         102
        .size:           2
        .value_kind:     hidden_group_size_y
      - .offset:         104
        .size:           2
        .value_kind:     hidden_group_size_z
      - .offset:         106
        .size:           2
        .value_kind:     hidden_remainder_x
      - .offset:         108
        .size:           2
        .value_kind:     hidden_remainder_y
      - .offset:         110
        .size:           2
        .value_kind:     hidden_remainder_z
      - .offset:         128
        .size:           8
        .value_kind:     hidden_global_offset_x
      - .offset:         136
        .size:           8
        .value_kind:     hidden_global_offset_y
      - .offset:         144
        .size:           8
        .value_kind:     hidden_global_offset_z
      - .offset:         152
        .size:           2
        .value_kind:     hidden_grid_dims
    .group_segment_fixed_size: 0
    .kernarg_segment_align: 8
    .kernarg_segment_size: 344
    .language:       OpenCL C
    .language_version:
      - 2
      - 0
    .max_flat_workgroup_size: 64
    .name:           _ZL36rocblas_hemvn_kernel_upper_block_sumILi64Ei19rocblas_complex_numIfEPS1_S1_EviT1_lS3_lT2_lT0_lPT3_i
    .private_segment_fixed_size: 0
    .sgpr_count:     34
    .sgpr_spill_count: 0
    .symbol:         _ZL36rocblas_hemvn_kernel_upper_block_sumILi64Ei19rocblas_complex_numIfEPS1_S1_EviT1_lS3_lT2_lT0_lPT3_i.kd
    .uniform_work_group_size: 1
    .uses_dynamic_stack: false
    .vgpr_count:     12
    .vgpr_spill_count: 0
    .wavefront_size: 64
  - .agpr_count:     0
    .args:
      - .offset:         0
        .size:           4
        .value_kind:     by_value
      - .address_space:  global
        .offset:         8
        .size:           8
        .value_kind:     global_buffer
      - .offset:         16
        .size:           8
        .value_kind:     by_value
      - .address_space:  global
        .offset:         24
        .size:           8
        .value_kind:     global_buffer
      - .offset:         32
        .size:           8
        .value_kind:     by_value
      - .offset:         40
        .size:           8
        .value_kind:     by_value
      - .offset:         48
        .size:           8
        .value_kind:     by_value
      - .address_space:  global
        .offset:         56
        .size:           8
        .value_kind:     global_buffer
      - .offset:         64
        .size:           8
        .value_kind:     by_value
      - .offset:         72
        .size:           8
        .value_kind:     by_value
      - .offset:         80
        .size:           8
        .value_kind:     by_value
      - .address_space:  global
        .offset:         88
        .size:           8
        .value_kind:     global_buffer
      - .offset:         96
        .size:           8
        .value_kind:     by_value
      - .address_space:  global
        .offset:         104
        .size:           8
        .value_kind:     global_buffer
      - .offset:         112
        .size:           4
        .value_kind:     by_value
      - .offset:         120
        .size:           4
        .value_kind:     hidden_block_count_x
      - .offset:         124
        .size:           4
        .value_kind:     hidden_block_count_y
      - .offset:         128
        .size:           4
        .value_kind:     hidden_block_count_z
      - .offset:         132
        .size:           2
        .value_kind:     hidden_group_size_x
      - .offset:         134
        .size:           2
        .value_kind:     hidden_group_size_y
      - .offset:         136
        .size:           2
        .value_kind:     hidden_group_size_z
      - .offset:         138
        .size:           2
        .value_kind:     hidden_remainder_x
      - .offset:         140
        .size:           2
        .value_kind:     hidden_remainder_y
      - .offset:         142
        .size:           2
        .value_kind:     hidden_remainder_z
      - .offset:         160
        .size:           8
        .value_kind:     hidden_global_offset_x
      - .offset:         168
        .size:           8
        .value_kind:     hidden_global_offset_y
      - .offset:         176
        .size:           8
        .value_kind:     hidden_global_offset_z
      - .offset:         184
        .size:           2
        .value_kind:     hidden_grid_dims
    .group_segment_fixed_size: 9600
    .kernarg_segment_align: 8
    .kernarg_segment_size: 376
    .language:       OpenCL C
    .language_version:
      - 2
      - 0
    .max_flat_workgroup_size: 256
    .name:           _ZL26rocblas_hemvn_kernel_lowerILb1ELi64ELi4ELi33ELi32ELi16ElPK19rocblas_complex_numIfES3_PS1_EviT6_lT7_lT5_lS6_lS7_lS5_lT8_i
    .private_segment_fixed_size: 0
    .sgpr_count:     56
    .sgpr_spill_count: 0
    .symbol:         _ZL26rocblas_hemvn_kernel_lowerILb1ELi64ELi4ELi33ELi32ELi16ElPK19rocblas_complex_numIfES3_PS1_EviT6_lT7_lT5_lS6_lS7_lS5_lT8_i.kd
    .uniform_work_group_size: 1
    .uses_dynamic_stack: false
    .vgpr_count:     106
    .vgpr_spill_count: 0
    .wavefront_size: 64
  - .agpr_count:     0
    .args:
      - .offset:         0
        .size:           4
        .value_kind:     by_value
      - .address_space:  global
        .offset:         8
        .size:           8
        .value_kind:     global_buffer
      - .offset:         16
        .size:           8
        .value_kind:     by_value
      - .address_space:  global
        .offset:         24
        .size:           8
        .value_kind:     global_buffer
      - .offset:         32
        .size:           8
        .value_kind:     by_value
      - .address_space:  global
        .offset:         40
        .size:           8
        .value_kind:     global_buffer
      - .offset:         48
        .size:           8
        .value_kind:     by_value
      - .offset:         56
        .size:           8
        .value_kind:     by_value
      - .offset:         64
        .size:           8
        .value_kind:     by_value
      - .actual_access:  read_only
        .address_space:  global
        .offset:         72
        .size:           8
        .value_kind:     global_buffer
      - .offset:         80
        .size:           4
        .value_kind:     by_value
      - .offset:         88
        .size:           4
        .value_kind:     hidden_block_count_x
      - .offset:         92
        .size:           4
        .value_kind:     hidden_block_count_y
      - .offset:         96
        .size:           4
        .value_kind:     hidden_block_count_z
      - .offset:         100
        .size:           2
        .value_kind:     hidden_group_size_x
      - .offset:         102
        .size:           2
        .value_kind:     hidden_group_size_y
      - .offset:         104
        .size:           2
        .value_kind:     hidden_group_size_z
      - .offset:         106
        .size:           2
        .value_kind:     hidden_remainder_x
      - .offset:         108
        .size:           2
        .value_kind:     hidden_remainder_y
      - .offset:         110
        .size:           2
        .value_kind:     hidden_remainder_z
      - .offset:         128
        .size:           8
        .value_kind:     hidden_global_offset_x
      - .offset:         136
        .size:           8
        .value_kind:     hidden_global_offset_y
      - .offset:         144
        .size:           8
        .value_kind:     hidden_global_offset_z
      - .offset:         152
        .size:           2
        .value_kind:     hidden_grid_dims
    .group_segment_fixed_size: 0
    .kernarg_segment_align: 8
    .kernarg_segment_size: 344
    .language:       OpenCL C
    .language_version:
      - 2
      - 0
    .max_flat_workgroup_size: 64
    .name:           _ZL36rocblas_hemvn_kernel_lower_block_sumILi64ElPK19rocblas_complex_numIfEPS1_S1_EviT1_lS5_lT2_lT0_lPT3_i
    .private_segment_fixed_size: 0
    .sgpr_count:     28
    .sgpr_spill_count: 0
    .symbol:         _ZL36rocblas_hemvn_kernel_lower_block_sumILi64ElPK19rocblas_complex_numIfEPS1_S1_EviT1_lS5_lT2_lT0_lPT3_i.kd
    .uniform_work_group_size: 1
    .uses_dynamic_stack: false
    .vgpr_count:     14
    .vgpr_spill_count: 0
    .wavefront_size: 64
  - .agpr_count:     0
    .args:
      - .offset:         0
        .size:           4
        .value_kind:     by_value
      - .address_space:  global
        .offset:         8
        .size:           8
        .value_kind:     global_buffer
      - .offset:         16
        .size:           8
        .value_kind:     by_value
      - .address_space:  global
        .offset:         24
        .size:           8
        .value_kind:     global_buffer
      - .offset:         32
        .size:           8
        .value_kind:     by_value
      - .offset:         40
        .size:           4
        .value_kind:     by_value
      - .offset:         48
        .size:           8
        .value_kind:     by_value
      - .address_space:  global
        .offset:         56
        .size:           8
        .value_kind:     global_buffer
      - .offset:         64
        .size:           8
        .value_kind:     by_value
      - .offset:         72
        .size:           4
        .value_kind:     by_value
      - .offset:         80
        .size:           8
        .value_kind:     by_value
      - .address_space:  global
        .offset:         88
        .size:           8
        .value_kind:     global_buffer
      - .offset:         96
        .size:           8
        .value_kind:     by_value
      - .address_space:  global
        .offset:         104
        .size:           8
        .value_kind:     global_buffer
      - .offset:         112
        .size:           4
        .value_kind:     by_value
      - .offset:         120
        .size:           4
        .value_kind:     hidden_block_count_x
      - .offset:         124
        .size:           4
        .value_kind:     hidden_block_count_y
      - .offset:         128
        .size:           4
        .value_kind:     hidden_block_count_z
      - .offset:         132
        .size:           2
        .value_kind:     hidden_group_size_x
      - .offset:         134
        .size:           2
        .value_kind:     hidden_group_size_y
      - .offset:         136
        .size:           2
        .value_kind:     hidden_group_size_z
      - .offset:         138
        .size:           2
        .value_kind:     hidden_remainder_x
      - .offset:         140
        .size:           2
        .value_kind:     hidden_remainder_y
      - .offset:         142
        .size:           2
        .value_kind:     hidden_remainder_z
      - .offset:         160
        .size:           8
        .value_kind:     hidden_global_offset_x
      - .offset:         168
        .size:           8
        .value_kind:     hidden_global_offset_y
      - .offset:         176
        .size:           8
        .value_kind:     hidden_global_offset_z
      - .offset:         184
        .size:           2
        .value_kind:     hidden_grid_dims
    .group_segment_fixed_size: 9600
    .kernarg_segment_align: 8
    .kernarg_segment_size: 376
    .language:       OpenCL C
    .language_version:
      - 2
      - 0
    .max_flat_workgroup_size: 256
    .name:           _ZL26rocblas_hemvn_kernel_lowerILb1ELi64ELi4ELi33ELi32ELi16EiPK19rocblas_complex_numIfES3_PS1_EviT6_lT7_lT5_lS6_lS7_lS5_lT8_i
    .private_segment_fixed_size: 0
    .sgpr_count:     54
    .sgpr_spill_count: 0
    .symbol:         _ZL26rocblas_hemvn_kernel_lowerILb1ELi64ELi4ELi33ELi32ELi16EiPK19rocblas_complex_numIfES3_PS1_EviT6_lT7_lT5_lS6_lS7_lS5_lT8_i.kd
    .uniform_work_group_size: 1
    .uses_dynamic_stack: false
    .vgpr_count:     104
    .vgpr_spill_count: 0
    .wavefront_size: 64
  - .agpr_count:     0
    .args:
      - .offset:         0
        .size:           4
        .value_kind:     by_value
      - .address_space:  global
        .offset:         8
        .size:           8
        .value_kind:     global_buffer
      - .offset:         16
        .size:           8
        .value_kind:     by_value
      - .address_space:  global
        .offset:         24
        .size:           8
        .value_kind:     global_buffer
      - .offset:         32
        .size:           8
        .value_kind:     by_value
      - .address_space:  global
        .offset:         40
        .size:           8
        .value_kind:     global_buffer
      - .offset:         48
        .size:           8
        .value_kind:     by_value
      - .offset:         56
        .size:           4
        .value_kind:     by_value
      - .offset:         64
        .size:           8
        .value_kind:     by_value
      - .actual_access:  read_only
        .address_space:  global
        .offset:         72
        .size:           8
        .value_kind:     global_buffer
      - .offset:         80
        .size:           4
        .value_kind:     by_value
      - .offset:         88
        .size:           4
        .value_kind:     hidden_block_count_x
      - .offset:         92
        .size:           4
        .value_kind:     hidden_block_count_y
      - .offset:         96
        .size:           4
        .value_kind:     hidden_block_count_z
      - .offset:         100
        .size:           2
        .value_kind:     hidden_group_size_x
      - .offset:         102
        .size:           2
        .value_kind:     hidden_group_size_y
      - .offset:         104
        .size:           2
        .value_kind:     hidden_group_size_z
      - .offset:         106
        .size:           2
        .value_kind:     hidden_remainder_x
      - .offset:         108
        .size:           2
        .value_kind:     hidden_remainder_y
      - .offset:         110
        .size:           2
        .value_kind:     hidden_remainder_z
      - .offset:         128
        .size:           8
        .value_kind:     hidden_global_offset_x
      - .offset:         136
        .size:           8
        .value_kind:     hidden_global_offset_y
      - .offset:         144
        .size:           8
        .value_kind:     hidden_global_offset_z
      - .offset:         152
        .size:           2
        .value_kind:     hidden_grid_dims
    .group_segment_fixed_size: 0
    .kernarg_segment_align: 8
    .kernarg_segment_size: 344
    .language:       OpenCL C
    .language_version:
      - 2
      - 0
    .max_flat_workgroup_size: 64
    .name:           _ZL36rocblas_hemvn_kernel_lower_block_sumILi64EiPK19rocblas_complex_numIfEPS1_S1_EviT1_lS5_lT2_lT0_lPT3_i
    .private_segment_fixed_size: 0
    .sgpr_count:     30
    .sgpr_spill_count: 0
    .symbol:         _ZL36rocblas_hemvn_kernel_lower_block_sumILi64EiPK19rocblas_complex_numIfEPS1_S1_EviT1_lS5_lT2_lT0_lPT3_i.kd
    .uniform_work_group_size: 1
    .uses_dynamic_stack: false
    .vgpr_count:     12
    .vgpr_spill_count: 0
    .wavefront_size: 64
  - .agpr_count:     0
    .args:
      - .offset:         0
        .size:           4
        .value_kind:     by_value
      - .offset:         4
        .size:           8
        .value_kind:     by_value
      - .offset:         16
        .size:           8
        .value_kind:     by_value
      - .address_space:  global
        .offset:         24
        .size:           8
        .value_kind:     global_buffer
      - .offset:         32
        .size:           8
        .value_kind:     by_value
      - .offset:         40
        .size:           8
        .value_kind:     by_value
      - .offset:         48
        .size:           8
        .value_kind:     by_value
      - .address_space:  global
        .offset:         56
        .size:           8
        .value_kind:     global_buffer
      - .offset:         64
        .size:           8
        .value_kind:     by_value
      - .offset:         72
        .size:           8
        .value_kind:     by_value
      - .offset:         80
        .size:           8
        .value_kind:     by_value
      - .offset:         88
        .size:           8
        .value_kind:     by_value
      - .offset:         96
        .size:           8
        .value_kind:     by_value
      - .address_space:  global
        .offset:         104
        .size:           8
        .value_kind:     global_buffer
      - .offset:         112
        .size:           4
        .value_kind:     by_value
      - .offset:         120
        .size:           4
        .value_kind:     hidden_block_count_x
      - .offset:         124
        .size:           4
        .value_kind:     hidden_block_count_y
      - .offset:         128
        .size:           4
        .value_kind:     hidden_block_count_z
      - .offset:         132
        .size:           2
        .value_kind:     hidden_group_size_x
      - .offset:         134
        .size:           2
        .value_kind:     hidden_group_size_y
      - .offset:         136
        .size:           2
        .value_kind:     hidden_group_size_z
      - .offset:         138
        .size:           2
        .value_kind:     hidden_remainder_x
      - .offset:         140
        .size:           2
        .value_kind:     hidden_remainder_y
      - .offset:         142
        .size:           2
        .value_kind:     hidden_remainder_z
      - .offset:         160
        .size:           8
        .value_kind:     hidden_global_offset_x
      - .offset:         168
        .size:           8
        .value_kind:     hidden_global_offset_y
      - .offset:         176
        .size:           8
        .value_kind:     hidden_global_offset_z
      - .offset:         184
        .size:           2
        .value_kind:     hidden_grid_dims
    .group_segment_fixed_size: 9600
    .kernarg_segment_align: 8
    .kernarg_segment_size: 376
    .language:       OpenCL C
    .language_version:
      - 2
      - 0
    .max_flat_workgroup_size: 256
    .name:           _ZL26rocblas_hemvn_kernel_lowerILb1ELi64ELi4ELi33ELi32ELi16El19rocblas_complex_numIfEPKS1_PS1_EviT6_lT7_lT5_lS6_lS7_lS5_lT8_i
    .private_segment_fixed_size: 0
    .sgpr_count:     59
    .sgpr_spill_count: 0
    .symbol:         _ZL26rocblas_hemvn_kernel_lowerILb1ELi64ELi4ELi33ELi32ELi16El19rocblas_complex_numIfEPKS1_PS1_EviT6_lT7_lT5_lS6_lS7_lS5_lT8_i.kd
    .uniform_work_group_size: 1
    .uses_dynamic_stack: false
    .vgpr_count:     106
    .vgpr_spill_count: 0
    .wavefront_size: 64
  - .agpr_count:     0
    .args:
      - .offset:         0
        .size:           4
        .value_kind:     by_value
      - .offset:         4
        .size:           8
        .value_kind:     by_value
      - .offset:         16
        .size:           8
        .value_kind:     by_value
      - .offset:         24
        .size:           8
        .value_kind:     by_value
      - .offset:         32
        .size:           8
        .value_kind:     by_value
      - .address_space:  global
        .offset:         40
        .size:           8
        .value_kind:     global_buffer
      - .offset:         48
        .size:           8
        .value_kind:     by_value
      - .offset:         56
        .size:           8
        .value_kind:     by_value
      - .offset:         64
        .size:           8
        .value_kind:     by_value
      - .actual_access:  read_only
        .address_space:  global
        .offset:         72
        .size:           8
        .value_kind:     global_buffer
      - .offset:         80
        .size:           4
        .value_kind:     by_value
      - .offset:         88
        .size:           4
        .value_kind:     hidden_block_count_x
      - .offset:         92
        .size:           4
        .value_kind:     hidden_block_count_y
      - .offset:         96
        .size:           4
        .value_kind:     hidden_block_count_z
      - .offset:         100
        .size:           2
        .value_kind:     hidden_group_size_x
      - .offset:         102
        .size:           2
        .value_kind:     hidden_group_size_y
      - .offset:         104
        .size:           2
        .value_kind:     hidden_group_size_z
      - .offset:         106
        .size:           2
        .value_kind:     hidden_remainder_x
      - .offset:         108
        .size:           2
        .value_kind:     hidden_remainder_y
      - .offset:         110
        .size:           2
        .value_kind:     hidden_remainder_z
      - .offset:         128
        .size:           8
        .value_kind:     hidden_global_offset_x
      - .offset:         136
        .size:           8
        .value_kind:     hidden_global_offset_y
      - .offset:         144
        .size:           8
        .value_kind:     hidden_global_offset_z
      - .offset:         152
        .size:           2
        .value_kind:     hidden_grid_dims
    .group_segment_fixed_size: 0
    .kernarg_segment_align: 8
    .kernarg_segment_size: 344
    .language:       OpenCL C
    .language_version:
      - 2
      - 0
    .max_flat_workgroup_size: 64
    .name:           _ZL36rocblas_hemvn_kernel_lower_block_sumILi64El19rocblas_complex_numIfEPS1_S1_EviT1_lS3_lT2_lT0_lPT3_i
    .private_segment_fixed_size: 0
    .sgpr_count:     28
    .sgpr_spill_count: 0
    .symbol:         _ZL36rocblas_hemvn_kernel_lower_block_sumILi64El19rocblas_complex_numIfEPS1_S1_EviT1_lS3_lT2_lT0_lPT3_i.kd
    .uniform_work_group_size: 1
    .uses_dynamic_stack: false
    .vgpr_count:     14
    .vgpr_spill_count: 0
    .wavefront_size: 64
  - .agpr_count:     0
    .args:
      - .offset:         0
        .size:           4
        .value_kind:     by_value
      - .offset:         4
        .size:           8
        .value_kind:     by_value
      - .offset:         16
        .size:           8
        .value_kind:     by_value
      - .address_space:  global
        .offset:         24
        .size:           8
        .value_kind:     global_buffer
      - .offset:         32
        .size:           8
        .value_kind:     by_value
      - .offset:         40
        .size:           4
        .value_kind:     by_value
      - .offset:         48
        .size:           8
        .value_kind:     by_value
      - .address_space:  global
        .offset:         56
        .size:           8
        .value_kind:     global_buffer
      - .offset:         64
        .size:           8
        .value_kind:     by_value
      - .offset:         72
        .size:           4
        .value_kind:     by_value
      - .offset:         80
        .size:           8
        .value_kind:     by_value
      - .offset:         88
        .size:           8
        .value_kind:     by_value
      - .offset:         96
        .size:           8
        .value_kind:     by_value
      - .address_space:  global
        .offset:         104
        .size:           8
        .value_kind:     global_buffer
      - .offset:         112
        .size:           4
        .value_kind:     by_value
      - .offset:         120
        .size:           4
        .value_kind:     hidden_block_count_x
      - .offset:         124
        .size:           4
        .value_kind:     hidden_block_count_y
      - .offset:         128
        .size:           4
        .value_kind:     hidden_block_count_z
      - .offset:         132
        .size:           2
        .value_kind:     hidden_group_size_x
      - .offset:         134
        .size:           2
        .value_kind:     hidden_group_size_y
      - .offset:         136
        .size:           2
        .value_kind:     hidden_group_size_z
      - .offset:         138
        .size:           2
        .value_kind:     hidden_remainder_x
      - .offset:         140
        .size:           2
        .value_kind:     hidden_remainder_y
      - .offset:         142
        .size:           2
        .value_kind:     hidden_remainder_z
      - .offset:         160
        .size:           8
        .value_kind:     hidden_global_offset_x
      - .offset:         168
        .size:           8
        .value_kind:     hidden_global_offset_y
      - .offset:         176
        .size:           8
        .value_kind:     hidden_global_offset_z
      - .offset:         184
        .size:           2
        .value_kind:     hidden_grid_dims
    .group_segment_fixed_size: 9600
    .kernarg_segment_align: 8
    .kernarg_segment_size: 376
    .language:       OpenCL C
    .language_version:
      - 2
      - 0
    .max_flat_workgroup_size: 256
    .name:           _ZL26rocblas_hemvn_kernel_lowerILb1ELi64ELi4ELi33ELi32ELi16Ei19rocblas_complex_numIfEPKS1_PS1_EviT6_lT7_lT5_lS6_lS7_lS5_lT8_i
    .private_segment_fixed_size: 0
    .sgpr_count:     54
    .sgpr_spill_count: 0
    .symbol:         _ZL26rocblas_hemvn_kernel_lowerILb1ELi64ELi4ELi33ELi32ELi16Ei19rocblas_complex_numIfEPKS1_PS1_EviT6_lT7_lT5_lS6_lS7_lS5_lT8_i.kd
    .uniform_work_group_size: 1
    .uses_dynamic_stack: false
    .vgpr_count:     104
    .vgpr_spill_count: 0
    .wavefront_size: 64
  - .agpr_count:     0
    .args:
      - .offset:         0
        .size:           4
        .value_kind:     by_value
      - .offset:         4
        .size:           8
        .value_kind:     by_value
      - .offset:         16
        .size:           8
        .value_kind:     by_value
      - .offset:         24
        .size:           8
        .value_kind:     by_value
      - .offset:         32
        .size:           8
        .value_kind:     by_value
      - .address_space:  global
        .offset:         40
        .size:           8
        .value_kind:     global_buffer
      - .offset:         48
        .size:           8
        .value_kind:     by_value
      - .offset:         56
        .size:           4
        .value_kind:     by_value
      - .offset:         64
        .size:           8
        .value_kind:     by_value
      - .actual_access:  read_only
        .address_space:  global
        .offset:         72
        .size:           8
        .value_kind:     global_buffer
      - .offset:         80
        .size:           4
        .value_kind:     by_value
      - .offset:         88
        .size:           4
        .value_kind:     hidden_block_count_x
      - .offset:         92
        .size:           4
        .value_kind:     hidden_block_count_y
      - .offset:         96
        .size:           4
        .value_kind:     hidden_block_count_z
      - .offset:         100
        .size:           2
        .value_kind:     hidden_group_size_x
      - .offset:         102
        .size:           2
        .value_kind:     hidden_group_size_y
      - .offset:         104
        .size:           2
        .value_kind:     hidden_group_size_z
      - .offset:         106
        .size:           2
        .value_kind:     hidden_remainder_x
      - .offset:         108
        .size:           2
        .value_kind:     hidden_remainder_y
      - .offset:         110
        .size:           2
        .value_kind:     hidden_remainder_z
      - .offset:         128
        .size:           8
        .value_kind:     hidden_global_offset_x
      - .offset:         136
        .size:           8
        .value_kind:     hidden_global_offset_y
      - .offset:         144
        .size:           8
        .value_kind:     hidden_global_offset_z
      - .offset:         152
        .size:           2
        .value_kind:     hidden_grid_dims
    .group_segment_fixed_size: 0
    .kernarg_segment_align: 8
    .kernarg_segment_size: 344
    .language:       OpenCL C
    .language_version:
      - 2
      - 0
    .max_flat_workgroup_size: 64
    .name:           _ZL36rocblas_hemvn_kernel_lower_block_sumILi64Ei19rocblas_complex_numIfEPS1_S1_EviT1_lS3_lT2_lT0_lPT3_i
    .private_segment_fixed_size: 0
    .sgpr_count:     30
    .sgpr_spill_count: 0
    .symbol:         _ZL36rocblas_hemvn_kernel_lower_block_sumILi64Ei19rocblas_complex_numIfEPS1_S1_EviT1_lS3_lT2_lT0_lPT3_i.kd
    .uniform_work_group_size: 1
    .uses_dynamic_stack: false
    .vgpr_count:     12
    .vgpr_spill_count: 0
    .wavefront_size: 64
  - .agpr_count:     0
    .args:
      - .offset:         0
        .size:           4
        .value_kind:     by_value
      - .address_space:  global
        .offset:         8
        .size:           8
        .value_kind:     global_buffer
      - .offset:         16
        .size:           8
        .value_kind:     by_value
      - .address_space:  global
        .offset:         24
        .size:           8
        .value_kind:     global_buffer
      - .offset:         32
        .size:           8
        .value_kind:     by_value
      - .offset:         40
        .size:           8
        .value_kind:     by_value
      - .offset:         48
        .size:           8
        .value_kind:     by_value
      - .address_space:  global
        .offset:         56
        .size:           8
        .value_kind:     global_buffer
      - .offset:         64
        .size:           8
        .value_kind:     by_value
      - .offset:         72
        .size:           8
        .value_kind:     by_value
      - .offset:         80
        .size:           8
        .value_kind:     by_value
      - .address_space:  global
        .offset:         88
        .size:           8
        .value_kind:     global_buffer
      - .offset:         96
        .size:           8
        .value_kind:     by_value
      - .address_space:  global
        .offset:         104
        .size:           8
        .value_kind:     global_buffer
      - .offset:         112
        .size:           4
        .value_kind:     by_value
      - .offset:         120
        .size:           4
        .value_kind:     hidden_block_count_x
      - .offset:         124
        .size:           4
        .value_kind:     hidden_block_count_y
      - .offset:         128
        .size:           4
        .value_kind:     hidden_block_count_z
      - .offset:         132
        .size:           2
        .value_kind:     hidden_group_size_x
      - .offset:         134
        .size:           2
        .value_kind:     hidden_group_size_y
      - .offset:         136
        .size:           2
        .value_kind:     hidden_group_size_z
      - .offset:         138
        .size:           2
        .value_kind:     hidden_remainder_x
      - .offset:         140
        .size:           2
        .value_kind:     hidden_remainder_y
      - .offset:         142
        .size:           2
        .value_kind:     hidden_remainder_z
      - .offset:         160
        .size:           8
        .value_kind:     hidden_global_offset_x
      - .offset:         168
        .size:           8
        .value_kind:     hidden_global_offset_y
      - .offset:         176
        .size:           8
        .value_kind:     hidden_global_offset_z
      - .offset:         184
        .size:           2
        .value_kind:     hidden_grid_dims
    .group_segment_fixed_size: 19200
    .kernarg_segment_align: 8
    .kernarg_segment_size: 376
    .language:       OpenCL C
    .language_version:
      - 2
      - 0
    .max_flat_workgroup_size: 256
    .name:           _ZL26rocblas_hemvn_kernel_upperILb1ELi64ELi4ELi33ELi32ELi16ElPK19rocblas_complex_numIdES3_PS1_EviT6_lT7_lT5_lS6_lS7_lS5_lT8_i
    .private_segment_fixed_size: 0
    .sgpr_count:     46
    .sgpr_spill_count: 0
    .symbol:         _ZL26rocblas_hemvn_kernel_upperILb1ELi64ELi4ELi33ELi32ELi16ElPK19rocblas_complex_numIdES3_PS1_EviT6_lT7_lT5_lS6_lS7_lS5_lT8_i.kd
    .uniform_work_group_size: 1
    .uses_dynamic_stack: false
    .vgpr_count:     232
    .vgpr_spill_count: 0
    .wavefront_size: 64
  - .agpr_count:     0
    .args:
      - .offset:         0
        .size:           4
        .value_kind:     by_value
      - .address_space:  global
        .offset:         8
        .size:           8
        .value_kind:     global_buffer
      - .offset:         16
        .size:           8
        .value_kind:     by_value
      - .address_space:  global
        .offset:         24
        .size:           8
        .value_kind:     global_buffer
      - .offset:         32
        .size:           8
        .value_kind:     by_value
      - .address_space:  global
        .offset:         40
        .size:           8
        .value_kind:     global_buffer
      - .offset:         48
        .size:           8
        .value_kind:     by_value
      - .offset:         56
        .size:           8
        .value_kind:     by_value
      - .offset:         64
        .size:           8
        .value_kind:     by_value
      - .address_space:  global
        .offset:         72
        .size:           8
        .value_kind:     global_buffer
      - .offset:         80
        .size:           4
        .value_kind:     by_value
      - .offset:         88
        .size:           4
        .value_kind:     hidden_block_count_x
      - .offset:         92
        .size:           4
        .value_kind:     hidden_block_count_y
      - .offset:         96
        .size:           4
        .value_kind:     hidden_block_count_z
      - .offset:         100
        .size:           2
        .value_kind:     hidden_group_size_x
      - .offset:         102
        .size:           2
        .value_kind:     hidden_group_size_y
      - .offset:         104
        .size:           2
        .value_kind:     hidden_group_size_z
      - .offset:         106
        .size:           2
        .value_kind:     hidden_remainder_x
      - .offset:         108
        .size:           2
        .value_kind:     hidden_remainder_y
      - .offset:         110
        .size:           2
        .value_kind:     hidden_remainder_z
      - .offset:         128
        .size:           8
        .value_kind:     hidden_global_offset_x
      - .offset:         136
        .size:           8
        .value_kind:     hidden_global_offset_y
      - .offset:         144
        .size:           8
        .value_kind:     hidden_global_offset_z
      - .offset:         152
        .size:           2
        .value_kind:     hidden_grid_dims
    .group_segment_fixed_size: 0
    .kernarg_segment_align: 8
    .kernarg_segment_size: 344
    .language:       OpenCL C
    .language_version:
      - 2
      - 0
    .max_flat_workgroup_size: 64
    .name:           _ZL36rocblas_hemvn_kernel_upper_block_sumILi64ElPK19rocblas_complex_numIdEPS1_S1_EviT1_lS5_lT2_lT0_lPT3_i
    .private_segment_fixed_size: 0
    .sgpr_count:     36
    .sgpr_spill_count: 0
    .symbol:         _ZL36rocblas_hemvn_kernel_upper_block_sumILi64ElPK19rocblas_complex_numIdEPS1_S1_EviT1_lS5_lT2_lT0_lPT3_i.kd
    .uniform_work_group_size: 1
    .uses_dynamic_stack: false
    .vgpr_count:     12
    .vgpr_spill_count: 0
    .wavefront_size: 64
  - .agpr_count:     0
    .args:
      - .offset:         0
        .size:           4
        .value_kind:     by_value
      - .address_space:  global
        .offset:         8
        .size:           8
        .value_kind:     global_buffer
      - .offset:         16
        .size:           8
        .value_kind:     by_value
      - .address_space:  global
        .offset:         24
        .size:           8
        .value_kind:     global_buffer
      - .offset:         32
        .size:           8
        .value_kind:     by_value
      - .offset:         40
        .size:           4
        .value_kind:     by_value
      - .offset:         48
        .size:           8
        .value_kind:     by_value
      - .address_space:  global
        .offset:         56
        .size:           8
        .value_kind:     global_buffer
      - .offset:         64
        .size:           8
        .value_kind:     by_value
      - .offset:         72
        .size:           4
        .value_kind:     by_value
      - .offset:         80
        .size:           8
        .value_kind:     by_value
      - .address_space:  global
        .offset:         88
        .size:           8
        .value_kind:     global_buffer
      - .offset:         96
        .size:           8
        .value_kind:     by_value
      - .address_space:  global
        .offset:         104
        .size:           8
        .value_kind:     global_buffer
      - .offset:         112
        .size:           4
        .value_kind:     by_value
      - .offset:         120
        .size:           4
        .value_kind:     hidden_block_count_x
      - .offset:         124
        .size:           4
        .value_kind:     hidden_block_count_y
      - .offset:         128
        .size:           4
        .value_kind:     hidden_block_count_z
      - .offset:         132
        .size:           2
        .value_kind:     hidden_group_size_x
      - .offset:         134
        .size:           2
        .value_kind:     hidden_group_size_y
      - .offset:         136
        .size:           2
        .value_kind:     hidden_group_size_z
      - .offset:         138
        .size:           2
        .value_kind:     hidden_remainder_x
      - .offset:         140
        .size:           2
        .value_kind:     hidden_remainder_y
      - .offset:         142
        .size:           2
        .value_kind:     hidden_remainder_z
      - .offset:         160
        .size:           8
        .value_kind:     hidden_global_offset_x
      - .offset:         168
        .size:           8
        .value_kind:     hidden_global_offset_y
      - .offset:         176
        .size:           8
        .value_kind:     hidden_global_offset_z
      - .offset:         184
        .size:           2
        .value_kind:     hidden_grid_dims
    .group_segment_fixed_size: 19200
    .kernarg_segment_align: 8
    .kernarg_segment_size: 376
    .language:       OpenCL C
    .language_version:
      - 2
      - 0
    .max_flat_workgroup_size: 256
    .name:           _ZL26rocblas_hemvn_kernel_upperILb1ELi64ELi4ELi33ELi32ELi16EiPK19rocblas_complex_numIdES3_PS1_EviT6_lT7_lT5_lS6_lS7_lS5_lT8_i
    .private_segment_fixed_size: 0
    .sgpr_count:     46
    .sgpr_spill_count: 0
    .symbol:         _ZL26rocblas_hemvn_kernel_upperILb1ELi64ELi4ELi33ELi32ELi16EiPK19rocblas_complex_numIdES3_PS1_EviT6_lT7_lT5_lS6_lS7_lS5_lT8_i.kd
    .uniform_work_group_size: 1
    .uses_dynamic_stack: false
    .vgpr_count:     242
    .vgpr_spill_count: 0
    .wavefront_size: 64
  - .agpr_count:     0
    .args:
      - .offset:         0
        .size:           4
        .value_kind:     by_value
      - .address_space:  global
        .offset:         8
        .size:           8
        .value_kind:     global_buffer
      - .offset:         16
        .size:           8
        .value_kind:     by_value
      - .address_space:  global
        .offset:         24
        .size:           8
        .value_kind:     global_buffer
      - .offset:         32
        .size:           8
        .value_kind:     by_value
      - .address_space:  global
        .offset:         40
        .size:           8
        .value_kind:     global_buffer
      - .offset:         48
        .size:           8
        .value_kind:     by_value
      - .offset:         56
        .size:           4
        .value_kind:     by_value
      - .offset:         64
        .size:           8
        .value_kind:     by_value
      - .address_space:  global
        .offset:         72
        .size:           8
        .value_kind:     global_buffer
      - .offset:         80
        .size:           4
        .value_kind:     by_value
      - .offset:         88
        .size:           4
        .value_kind:     hidden_block_count_x
      - .offset:         92
        .size:           4
        .value_kind:     hidden_block_count_y
      - .offset:         96
        .size:           4
        .value_kind:     hidden_block_count_z
      - .offset:         100
        .size:           2
        .value_kind:     hidden_group_size_x
      - .offset:         102
        .size:           2
        .value_kind:     hidden_group_size_y
      - .offset:         104
        .size:           2
        .value_kind:     hidden_group_size_z
      - .offset:         106
        .size:           2
        .value_kind:     hidden_remainder_x
      - .offset:         108
        .size:           2
        .value_kind:     hidden_remainder_y
      - .offset:         110
        .size:           2
        .value_kind:     hidden_remainder_z
      - .offset:         128
        .size:           8
        .value_kind:     hidden_global_offset_x
      - .offset:         136
        .size:           8
        .value_kind:     hidden_global_offset_y
      - .offset:         144
        .size:           8
        .value_kind:     hidden_global_offset_z
      - .offset:         152
        .size:           2
        .value_kind:     hidden_grid_dims
    .group_segment_fixed_size: 0
    .kernarg_segment_align: 8
    .kernarg_segment_size: 344
    .language:       OpenCL C
    .language_version:
      - 2
      - 0
    .max_flat_workgroup_size: 64
    .name:           _ZL36rocblas_hemvn_kernel_upper_block_sumILi64EiPK19rocblas_complex_numIdEPS1_S1_EviT1_lS5_lT2_lT0_lPT3_i
    .private_segment_fixed_size: 0
    .sgpr_count:     33
    .sgpr_spill_count: 0
    .symbol:         _ZL36rocblas_hemvn_kernel_upper_block_sumILi64EiPK19rocblas_complex_numIdEPS1_S1_EviT1_lS5_lT2_lT0_lPT3_i.kd
    .uniform_work_group_size: 1
    .uses_dynamic_stack: false
    .vgpr_count:     14
    .vgpr_spill_count: 0
    .wavefront_size: 64
  - .agpr_count:     0
    .args:
      - .offset:         0
        .size:           4
        .value_kind:     by_value
      - .offset:         8
        .size:           16
        .value_kind:     by_value
      - .offset:         24
        .size:           8
        .value_kind:     by_value
      - .address_space:  global
        .offset:         32
        .size:           8
        .value_kind:     global_buffer
      - .offset:         40
        .size:           8
        .value_kind:     by_value
      - .offset:         48
        .size:           8
        .value_kind:     by_value
      - .offset:         56
        .size:           8
        .value_kind:     by_value
      - .address_space:  global
        .offset:         64
        .size:           8
        .value_kind:     global_buffer
      - .offset:         72
        .size:           8
        .value_kind:     by_value
      - .offset:         80
        .size:           8
        .value_kind:     by_value
      - .offset:         88
        .size:           8
        .value_kind:     by_value
      - .offset:         96
        .size:           16
        .value_kind:     by_value
      - .offset:         112
        .size:           8
        .value_kind:     by_value
      - .address_space:  global
        .offset:         120
        .size:           8
        .value_kind:     global_buffer
      - .offset:         128
        .size:           4
        .value_kind:     by_value
      - .offset:         136
        .size:           4
        .value_kind:     hidden_block_count_x
      - .offset:         140
        .size:           4
        .value_kind:     hidden_block_count_y
      - .offset:         144
        .size:           4
        .value_kind:     hidden_block_count_z
      - .offset:         148
        .size:           2
        .value_kind:     hidden_group_size_x
      - .offset:         150
        .size:           2
        .value_kind:     hidden_group_size_y
      - .offset:         152
        .size:           2
        .value_kind:     hidden_group_size_z
      - .offset:         154
        .size:           2
        .value_kind:     hidden_remainder_x
      - .offset:         156
        .size:           2
        .value_kind:     hidden_remainder_y
      - .offset:         158
        .size:           2
        .value_kind:     hidden_remainder_z
      - .offset:         176
        .size:           8
        .value_kind:     hidden_global_offset_x
      - .offset:         184
        .size:           8
        .value_kind:     hidden_global_offset_y
      - .offset:         192
        .size:           8
        .value_kind:     hidden_global_offset_z
      - .offset:         200
        .size:           2
        .value_kind:     hidden_grid_dims
    .group_segment_fixed_size: 19200
    .kernarg_segment_align: 8
    .kernarg_segment_size: 392
    .language:       OpenCL C
    .language_version:
      - 2
      - 0
    .max_flat_workgroup_size: 256
    .name:           _ZL26rocblas_hemvn_kernel_upperILb1ELi64ELi4ELi33ELi32ELi16El19rocblas_complex_numIdEPKS1_PS1_EviT6_lT7_lT5_lS6_lS7_lS5_lT8_i
    .private_segment_fixed_size: 0
    .sgpr_count:     46
    .sgpr_spill_count: 0
    .symbol:         _ZL26rocblas_hemvn_kernel_upperILb1ELi64ELi4ELi33ELi32ELi16El19rocblas_complex_numIdEPKS1_PS1_EviT6_lT7_lT5_lS6_lS7_lS5_lT8_i.kd
    .uniform_work_group_size: 1
    .uses_dynamic_stack: false
    .vgpr_count:     232
    .vgpr_spill_count: 0
    .wavefront_size: 64
  - .agpr_count:     0
    .args:
      - .offset:         0
        .size:           4
        .value_kind:     by_value
      - .offset:         8
        .size:           16
        .value_kind:     by_value
      - .offset:         24
        .size:           8
        .value_kind:     by_value
      - .offset:         32
        .size:           16
        .value_kind:     by_value
      - .offset:         48
        .size:           8
        .value_kind:     by_value
      - .address_space:  global
        .offset:         56
        .size:           8
        .value_kind:     global_buffer
      - .offset:         64
        .size:           8
        .value_kind:     by_value
      - .offset:         72
        .size:           8
        .value_kind:     by_value
      - .offset:         80
        .size:           8
        .value_kind:     by_value
      - .address_space:  global
        .offset:         88
        .size:           8
        .value_kind:     global_buffer
      - .offset:         96
        .size:           4
        .value_kind:     by_value
      - .offset:         104
        .size:           4
        .value_kind:     hidden_block_count_x
      - .offset:         108
        .size:           4
        .value_kind:     hidden_block_count_y
      - .offset:         112
        .size:           4
        .value_kind:     hidden_block_count_z
      - .offset:         116
        .size:           2
        .value_kind:     hidden_group_size_x
      - .offset:         118
        .size:           2
        .value_kind:     hidden_group_size_y
      - .offset:         120
        .size:           2
        .value_kind:     hidden_group_size_z
      - .offset:         122
        .size:           2
        .value_kind:     hidden_remainder_x
      - .offset:         124
        .size:           2
        .value_kind:     hidden_remainder_y
      - .offset:         126
        .size:           2
        .value_kind:     hidden_remainder_z
      - .offset:         144
        .size:           8
        .value_kind:     hidden_global_offset_x
      - .offset:         152
        .size:           8
        .value_kind:     hidden_global_offset_y
      - .offset:         160
        .size:           8
        .value_kind:     hidden_global_offset_z
      - .offset:         168
        .size:           2
        .value_kind:     hidden_grid_dims
    .group_segment_fixed_size: 0
    .kernarg_segment_align: 8
    .kernarg_segment_size: 360
    .language:       OpenCL C
    .language_version:
      - 2
      - 0
    .max_flat_workgroup_size: 64
    .name:           _ZL36rocblas_hemvn_kernel_upper_block_sumILi64El19rocblas_complex_numIdEPS1_S1_EviT1_lS3_lT2_lT0_lPT3_i
    .private_segment_fixed_size: 0
    .sgpr_count:     36
    .sgpr_spill_count: 0
    .symbol:         _ZL36rocblas_hemvn_kernel_upper_block_sumILi64El19rocblas_complex_numIdEPS1_S1_EviT1_lS3_lT2_lT0_lPT3_i.kd
    .uniform_work_group_size: 1
    .uses_dynamic_stack: false
    .vgpr_count:     12
    .vgpr_spill_count: 0
    .wavefront_size: 64
  - .agpr_count:     0
    .args:
      - .offset:         0
        .size:           4
        .value_kind:     by_value
      - .offset:         8
        .size:           16
        .value_kind:     by_value
      - .offset:         24
        .size:           8
        .value_kind:     by_value
      - .address_space:  global
        .offset:         32
        .size:           8
        .value_kind:     global_buffer
      - .offset:         40
        .size:           8
        .value_kind:     by_value
      - .offset:         48
        .size:           4
        .value_kind:     by_value
      - .offset:         56
        .size:           8
        .value_kind:     by_value
      - .address_space:  global
        .offset:         64
        .size:           8
        .value_kind:     global_buffer
      - .offset:         72
        .size:           8
        .value_kind:     by_value
      - .offset:         80
        .size:           4
        .value_kind:     by_value
      - .offset:         88
        .size:           8
        .value_kind:     by_value
      - .offset:         96
        .size:           16
        .value_kind:     by_value
      - .offset:         112
        .size:           8
        .value_kind:     by_value
      - .address_space:  global
        .offset:         120
        .size:           8
        .value_kind:     global_buffer
      - .offset:         128
        .size:           4
        .value_kind:     by_value
      - .offset:         136
        .size:           4
        .value_kind:     hidden_block_count_x
      - .offset:         140
        .size:           4
        .value_kind:     hidden_block_count_y
      - .offset:         144
        .size:           4
        .value_kind:     hidden_block_count_z
      - .offset:         148
        .size:           2
        .value_kind:     hidden_group_size_x
      - .offset:         150
        .size:           2
        .value_kind:     hidden_group_size_y
      - .offset:         152
        .size:           2
        .value_kind:     hidden_group_size_z
      - .offset:         154
        .size:           2
        .value_kind:     hidden_remainder_x
      - .offset:         156
        .size:           2
        .value_kind:     hidden_remainder_y
      - .offset:         158
        .size:           2
        .value_kind:     hidden_remainder_z
      - .offset:         176
        .size:           8
        .value_kind:     hidden_global_offset_x
      - .offset:         184
        .size:           8
        .value_kind:     hidden_global_offset_y
      - .offset:         192
        .size:           8
        .value_kind:     hidden_global_offset_z
      - .offset:         200
        .size:           2
        .value_kind:     hidden_grid_dims
    .group_segment_fixed_size: 19200
    .kernarg_segment_align: 8
    .kernarg_segment_size: 392
    .language:       OpenCL C
    .language_version:
      - 2
      - 0
    .max_flat_workgroup_size: 256
    .name:           _ZL26rocblas_hemvn_kernel_upperILb1ELi64ELi4ELi33ELi32ELi16Ei19rocblas_complex_numIdEPKS1_PS1_EviT6_lT7_lT5_lS6_lS7_lS5_lT8_i
    .private_segment_fixed_size: 0
    .sgpr_count:     46
    .sgpr_spill_count: 0
    .symbol:         _ZL26rocblas_hemvn_kernel_upperILb1ELi64ELi4ELi33ELi32ELi16Ei19rocblas_complex_numIdEPKS1_PS1_EviT6_lT7_lT5_lS6_lS7_lS5_lT8_i.kd
    .uniform_work_group_size: 1
    .uses_dynamic_stack: false
    .vgpr_count:     242
    .vgpr_spill_count: 0
    .wavefront_size: 64
  - .agpr_count:     0
    .args:
      - .offset:         0
        .size:           4
        .value_kind:     by_value
      - .offset:         8
        .size:           16
        .value_kind:     by_value
      - .offset:         24
        .size:           8
        .value_kind:     by_value
      - .offset:         32
        .size:           16
        .value_kind:     by_value
      - .offset:         48
        .size:           8
        .value_kind:     by_value
      - .address_space:  global
        .offset:         56
        .size:           8
        .value_kind:     global_buffer
      - .offset:         64
        .size:           8
        .value_kind:     by_value
      - .offset:         72
        .size:           4
        .value_kind:     by_value
      - .offset:         80
        .size:           8
        .value_kind:     by_value
      - .address_space:  global
        .offset:         88
        .size:           8
        .value_kind:     global_buffer
      - .offset:         96
        .size:           4
        .value_kind:     by_value
      - .offset:         104
        .size:           4
        .value_kind:     hidden_block_count_x
      - .offset:         108
        .size:           4
        .value_kind:     hidden_block_count_y
      - .offset:         112
        .size:           4
        .value_kind:     hidden_block_count_z
      - .offset:         116
        .size:           2
        .value_kind:     hidden_group_size_x
      - .offset:         118
        .size:           2
        .value_kind:     hidden_group_size_y
      - .offset:         120
        .size:           2
        .value_kind:     hidden_group_size_z
      - .offset:         122
        .size:           2
        .value_kind:     hidden_remainder_x
      - .offset:         124
        .size:           2
        .value_kind:     hidden_remainder_y
      - .offset:         126
        .size:           2
        .value_kind:     hidden_remainder_z
      - .offset:         144
        .size:           8
        .value_kind:     hidden_global_offset_x
      - .offset:         152
        .size:           8
        .value_kind:     hidden_global_offset_y
      - .offset:         160
        .size:           8
        .value_kind:     hidden_global_offset_z
      - .offset:         168
        .size:           2
        .value_kind:     hidden_grid_dims
    .group_segment_fixed_size: 0
    .kernarg_segment_align: 8
    .kernarg_segment_size: 360
    .language:       OpenCL C
    .language_version:
      - 2
      - 0
    .max_flat_workgroup_size: 64
    .name:           _ZL36rocblas_hemvn_kernel_upper_block_sumILi64Ei19rocblas_complex_numIdEPS1_S1_EviT1_lS3_lT2_lT0_lPT3_i
    .private_segment_fixed_size: 0
    .sgpr_count:     33
    .sgpr_spill_count: 0
    .symbol:         _ZL36rocblas_hemvn_kernel_upper_block_sumILi64Ei19rocblas_complex_numIdEPS1_S1_EviT1_lS3_lT2_lT0_lPT3_i.kd
    .uniform_work_group_size: 1
    .uses_dynamic_stack: false
    .vgpr_count:     14
    .vgpr_spill_count: 0
    .wavefront_size: 64
  - .agpr_count:     0
    .args:
      - .offset:         0
        .size:           4
        .value_kind:     by_value
      - .address_space:  global
        .offset:         8
        .size:           8
        .value_kind:     global_buffer
      - .offset:         16
        .size:           8
        .value_kind:     by_value
      - .address_space:  global
        .offset:         24
        .size:           8
        .value_kind:     global_buffer
      - .offset:         32
        .size:           8
        .value_kind:     by_value
      - .offset:         40
        .size:           8
        .value_kind:     by_value
      - .offset:         48
        .size:           8
        .value_kind:     by_value
      - .address_space:  global
        .offset:         56
        .size:           8
        .value_kind:     global_buffer
      - .offset:         64
        .size:           8
        .value_kind:     by_value
      - .offset:         72
        .size:           8
        .value_kind:     by_value
      - .offset:         80
        .size:           8
        .value_kind:     by_value
      - .address_space:  global
        .offset:         88
        .size:           8
        .value_kind:     global_buffer
      - .offset:         96
        .size:           8
        .value_kind:     by_value
      - .address_space:  global
        .offset:         104
        .size:           8
        .value_kind:     global_buffer
      - .offset:         112
        .size:           4
        .value_kind:     by_value
      - .offset:         120
        .size:           4
        .value_kind:     hidden_block_count_x
      - .offset:         124
        .size:           4
        .value_kind:     hidden_block_count_y
      - .offset:         128
        .size:           4
        .value_kind:     hidden_block_count_z
      - .offset:         132
        .size:           2
        .value_kind:     hidden_group_size_x
      - .offset:         134
        .size:           2
        .value_kind:     hidden_group_size_y
      - .offset:         136
        .size:           2
        .value_kind:     hidden_group_size_z
      - .offset:         138
        .size:           2
        .value_kind:     hidden_remainder_x
      - .offset:         140
        .size:           2
        .value_kind:     hidden_remainder_y
      - .offset:         142
        .size:           2
        .value_kind:     hidden_remainder_z
      - .offset:         160
        .size:           8
        .value_kind:     hidden_global_offset_x
      - .offset:         168
        .size:           8
        .value_kind:     hidden_global_offset_y
      - .offset:         176
        .size:           8
        .value_kind:     hidden_global_offset_z
      - .offset:         184
        .size:           2
        .value_kind:     hidden_grid_dims
    .group_segment_fixed_size: 19200
    .kernarg_segment_align: 8
    .kernarg_segment_size: 376
    .language:       OpenCL C
    .language_version:
      - 2
      - 0
    .max_flat_workgroup_size: 256
    .name:           _ZL26rocblas_hemvn_kernel_lowerILb1ELi64ELi4ELi33ELi32ELi16ElPK19rocblas_complex_numIdES3_PS1_EviT6_lT7_lT5_lS6_lS7_lS5_lT8_i
    .private_segment_fixed_size: 0
    .sgpr_count:     50
    .sgpr_spill_count: 0
    .symbol:         _ZL26rocblas_hemvn_kernel_lowerILb1ELi64ELi4ELi33ELi32ELi16ElPK19rocblas_complex_numIdES3_PS1_EviT6_lT7_lT5_lS6_lS7_lS5_lT8_i.kd
    .uniform_work_group_size: 1
    .uses_dynamic_stack: false
    .vgpr_count:     188
    .vgpr_spill_count: 0
    .wavefront_size: 64
  - .agpr_count:     0
    .args:
      - .offset:         0
        .size:           4
        .value_kind:     by_value
      - .address_space:  global
        .offset:         8
        .size:           8
        .value_kind:     global_buffer
      - .offset:         16
        .size:           8
        .value_kind:     by_value
      - .address_space:  global
        .offset:         24
        .size:           8
        .value_kind:     global_buffer
      - .offset:         32
        .size:           8
        .value_kind:     by_value
      - .address_space:  global
        .offset:         40
        .size:           8
        .value_kind:     global_buffer
      - .offset:         48
        .size:           8
        .value_kind:     by_value
      - .offset:         56
        .size:           8
        .value_kind:     by_value
      - .offset:         64
        .size:           8
        .value_kind:     by_value
      - .actual_access:  read_only
        .address_space:  global
        .offset:         72
        .size:           8
        .value_kind:     global_buffer
      - .offset:         80
        .size:           4
        .value_kind:     by_value
      - .offset:         88
        .size:           4
        .value_kind:     hidden_block_count_x
      - .offset:         92
        .size:           4
        .value_kind:     hidden_block_count_y
      - .offset:         96
        .size:           4
        .value_kind:     hidden_block_count_z
      - .offset:         100
        .size:           2
        .value_kind:     hidden_group_size_x
      - .offset:         102
        .size:           2
        .value_kind:     hidden_group_size_y
      - .offset:         104
        .size:           2
        .value_kind:     hidden_group_size_z
      - .offset:         106
        .size:           2
        .value_kind:     hidden_remainder_x
      - .offset:         108
        .size:           2
        .value_kind:     hidden_remainder_y
      - .offset:         110
        .size:           2
        .value_kind:     hidden_remainder_z
      - .offset:         128
        .size:           8
        .value_kind:     hidden_global_offset_x
      - .offset:         136
        .size:           8
        .value_kind:     hidden_global_offset_y
      - .offset:         144
        .size:           8
        .value_kind:     hidden_global_offset_z
      - .offset:         152
        .size:           2
        .value_kind:     hidden_grid_dims
    .group_segment_fixed_size: 0
    .kernarg_segment_align: 8
    .kernarg_segment_size: 344
    .language:       OpenCL C
    .language_version:
      - 2
      - 0
    .max_flat_workgroup_size: 64
    .name:           _ZL36rocblas_hemvn_kernel_lower_block_sumILi64ElPK19rocblas_complex_numIdEPS1_S1_EviT1_lS5_lT2_lT0_lPT3_i
    .private_segment_fixed_size: 0
    .sgpr_count:     34
    .sgpr_spill_count: 0
    .symbol:         _ZL36rocblas_hemvn_kernel_lower_block_sumILi64ElPK19rocblas_complex_numIdEPS1_S1_EviT1_lS5_lT2_lT0_lPT3_i.kd
    .uniform_work_group_size: 1
    .uses_dynamic_stack: false
    .vgpr_count:     12
    .vgpr_spill_count: 0
    .wavefront_size: 64
  - .agpr_count:     0
    .args:
      - .offset:         0
        .size:           4
        .value_kind:     by_value
      - .address_space:  global
        .offset:         8
        .size:           8
        .value_kind:     global_buffer
      - .offset:         16
        .size:           8
        .value_kind:     by_value
      - .address_space:  global
        .offset:         24
        .size:           8
        .value_kind:     global_buffer
      - .offset:         32
        .size:           8
        .value_kind:     by_value
      - .offset:         40
        .size:           4
        .value_kind:     by_value
      - .offset:         48
        .size:           8
        .value_kind:     by_value
      - .address_space:  global
        .offset:         56
        .size:           8
        .value_kind:     global_buffer
      - .offset:         64
        .size:           8
        .value_kind:     by_value
      - .offset:         72
        .size:           4
        .value_kind:     by_value
      - .offset:         80
        .size:           8
        .value_kind:     by_value
      - .address_space:  global
        .offset:         88
        .size:           8
        .value_kind:     global_buffer
      - .offset:         96
        .size:           8
        .value_kind:     by_value
      - .address_space:  global
        .offset:         104
        .size:           8
        .value_kind:     global_buffer
      - .offset:         112
        .size:           4
        .value_kind:     by_value
      - .offset:         120
        .size:           4
        .value_kind:     hidden_block_count_x
      - .offset:         124
        .size:           4
        .value_kind:     hidden_block_count_y
      - .offset:         128
        .size:           4
        .value_kind:     hidden_block_count_z
      - .offset:         132
        .size:           2
        .value_kind:     hidden_group_size_x
      - .offset:         134
        .size:           2
        .value_kind:     hidden_group_size_y
      - .offset:         136
        .size:           2
        .value_kind:     hidden_group_size_z
      - .offset:         138
        .size:           2
        .value_kind:     hidden_remainder_x
      - .offset:         140
        .size:           2
        .value_kind:     hidden_remainder_y
      - .offset:         142
        .size:           2
        .value_kind:     hidden_remainder_z
      - .offset:         160
        .size:           8
        .value_kind:     hidden_global_offset_x
      - .offset:         168
        .size:           8
        .value_kind:     hidden_global_offset_y
      - .offset:         176
        .size:           8
        .value_kind:     hidden_global_offset_z
      - .offset:         184
        .size:           2
        .value_kind:     hidden_grid_dims
    .group_segment_fixed_size: 19200
    .kernarg_segment_align: 8
    .kernarg_segment_size: 376
    .language:       OpenCL C
    .language_version:
      - 2
      - 0
    .max_flat_workgroup_size: 256
    .name:           _ZL26rocblas_hemvn_kernel_lowerILb1ELi64ELi4ELi33ELi32ELi16EiPK19rocblas_complex_numIdES3_PS1_EviT6_lT7_lT5_lS6_lS7_lS5_lT8_i
    .private_segment_fixed_size: 0
    .sgpr_count:     47
    .sgpr_spill_count: 0
    .symbol:         _ZL26rocblas_hemvn_kernel_lowerILb1ELi64ELi4ELi33ELi32ELi16EiPK19rocblas_complex_numIdES3_PS1_EviT6_lT7_lT5_lS6_lS7_lS5_lT8_i.kd
    .uniform_work_group_size: 1
    .uses_dynamic_stack: false
    .vgpr_count:     186
    .vgpr_spill_count: 0
    .wavefront_size: 64
  - .agpr_count:     0
    .args:
      - .offset:         0
        .size:           4
        .value_kind:     by_value
      - .address_space:  global
        .offset:         8
        .size:           8
        .value_kind:     global_buffer
      - .offset:         16
        .size:           8
        .value_kind:     by_value
      - .address_space:  global
        .offset:         24
        .size:           8
        .value_kind:     global_buffer
      - .offset:         32
        .size:           8
        .value_kind:     by_value
      - .address_space:  global
        .offset:         40
        .size:           8
        .value_kind:     global_buffer
      - .offset:         48
        .size:           8
        .value_kind:     by_value
      - .offset:         56
        .size:           4
        .value_kind:     by_value
      - .offset:         64
        .size:           8
        .value_kind:     by_value
      - .actual_access:  read_only
        .address_space:  global
        .offset:         72
        .size:           8
        .value_kind:     global_buffer
      - .offset:         80
        .size:           4
        .value_kind:     by_value
      - .offset:         88
        .size:           4
        .value_kind:     hidden_block_count_x
      - .offset:         92
        .size:           4
        .value_kind:     hidden_block_count_y
      - .offset:         96
        .size:           4
        .value_kind:     hidden_block_count_z
      - .offset:         100
        .size:           2
        .value_kind:     hidden_group_size_x
      - .offset:         102
        .size:           2
        .value_kind:     hidden_group_size_y
      - .offset:         104
        .size:           2
        .value_kind:     hidden_group_size_z
      - .offset:         106
        .size:           2
        .value_kind:     hidden_remainder_x
      - .offset:         108
        .size:           2
        .value_kind:     hidden_remainder_y
      - .offset:         110
        .size:           2
        .value_kind:     hidden_remainder_z
      - .offset:         128
        .size:           8
        .value_kind:     hidden_global_offset_x
      - .offset:         136
        .size:           8
        .value_kind:     hidden_global_offset_y
      - .offset:         144
        .size:           8
        .value_kind:     hidden_global_offset_z
      - .offset:         152
        .size:           2
        .value_kind:     hidden_grid_dims
    .group_segment_fixed_size: 0
    .kernarg_segment_align: 8
    .kernarg_segment_size: 344
    .language:       OpenCL C
    .language_version:
      - 2
      - 0
    .max_flat_workgroup_size: 64
    .name:           _ZL36rocblas_hemvn_kernel_lower_block_sumILi64EiPK19rocblas_complex_numIdEPS1_S1_EviT1_lS5_lT2_lT0_lPT3_i
    .private_segment_fixed_size: 0
    .sgpr_count:     31
    .sgpr_spill_count: 0
    .symbol:         _ZL36rocblas_hemvn_kernel_lower_block_sumILi64EiPK19rocblas_complex_numIdEPS1_S1_EviT1_lS5_lT2_lT0_lPT3_i.kd
    .uniform_work_group_size: 1
    .uses_dynamic_stack: false
    .vgpr_count:     14
    .vgpr_spill_count: 0
    .wavefront_size: 64
  - .agpr_count:     0
    .args:
      - .offset:         0
        .size:           4
        .value_kind:     by_value
      - .offset:         8
        .size:           16
        .value_kind:     by_value
      - .offset:         24
        .size:           8
        .value_kind:     by_value
      - .address_space:  global
        .offset:         32
        .size:           8
        .value_kind:     global_buffer
      - .offset:         40
        .size:           8
        .value_kind:     by_value
      - .offset:         48
        .size:           8
        .value_kind:     by_value
      - .offset:         56
        .size:           8
        .value_kind:     by_value
      - .address_space:  global
        .offset:         64
        .size:           8
        .value_kind:     global_buffer
      - .offset:         72
        .size:           8
        .value_kind:     by_value
      - .offset:         80
        .size:           8
        .value_kind:     by_value
      - .offset:         88
        .size:           8
        .value_kind:     by_value
      - .offset:         96
        .size:           16
        .value_kind:     by_value
      - .offset:         112
        .size:           8
        .value_kind:     by_value
      - .address_space:  global
        .offset:         120
        .size:           8
        .value_kind:     global_buffer
      - .offset:         128
        .size:           4
        .value_kind:     by_value
      - .offset:         136
        .size:           4
        .value_kind:     hidden_block_count_x
      - .offset:         140
        .size:           4
        .value_kind:     hidden_block_count_y
      - .offset:         144
        .size:           4
        .value_kind:     hidden_block_count_z
      - .offset:         148
        .size:           2
        .value_kind:     hidden_group_size_x
      - .offset:         150
        .size:           2
        .value_kind:     hidden_group_size_y
      - .offset:         152
        .size:           2
        .value_kind:     hidden_group_size_z
      - .offset:         154
        .size:           2
        .value_kind:     hidden_remainder_x
      - .offset:         156
        .size:           2
        .value_kind:     hidden_remainder_y
      - .offset:         158
        .size:           2
        .value_kind:     hidden_remainder_z
      - .offset:         176
        .size:           8
        .value_kind:     hidden_global_offset_x
      - .offset:         184
        .size:           8
        .value_kind:     hidden_global_offset_y
      - .offset:         192
        .size:           8
        .value_kind:     hidden_global_offset_z
      - .offset:         200
        .size:           2
        .value_kind:     hidden_grid_dims
    .group_segment_fixed_size: 19200
    .kernarg_segment_align: 8
    .kernarg_segment_size: 392
    .language:       OpenCL C
    .language_version:
      - 2
      - 0
    .max_flat_workgroup_size: 256
    .name:           _ZL26rocblas_hemvn_kernel_lowerILb1ELi64ELi4ELi33ELi32ELi16El19rocblas_complex_numIdEPKS1_PS1_EviT6_lT7_lT5_lS6_lS7_lS5_lT8_i
    .private_segment_fixed_size: 0
    .sgpr_count:     59
    .sgpr_spill_count: 0
    .symbol:         _ZL26rocblas_hemvn_kernel_lowerILb1ELi64ELi4ELi33ELi32ELi16El19rocblas_complex_numIdEPKS1_PS1_EviT6_lT7_lT5_lS6_lS7_lS5_lT8_i.kd
    .uniform_work_group_size: 1
    .uses_dynamic_stack: false
    .vgpr_count:     188
    .vgpr_spill_count: 0
    .wavefront_size: 64
  - .agpr_count:     0
    .args:
      - .offset:         0
        .size:           4
        .value_kind:     by_value
      - .offset:         8
        .size:           16
        .value_kind:     by_value
      - .offset:         24
        .size:           8
        .value_kind:     by_value
      - .offset:         32
        .size:           16
        .value_kind:     by_value
      - .offset:         48
        .size:           8
        .value_kind:     by_value
      - .address_space:  global
        .offset:         56
        .size:           8
        .value_kind:     global_buffer
      - .offset:         64
        .size:           8
        .value_kind:     by_value
      - .offset:         72
        .size:           8
        .value_kind:     by_value
      - .offset:         80
        .size:           8
        .value_kind:     by_value
      - .actual_access:  read_only
        .address_space:  global
        .offset:         88
        .size:           8
        .value_kind:     global_buffer
      - .offset:         96
        .size:           4
        .value_kind:     by_value
      - .offset:         104
        .size:           4
        .value_kind:     hidden_block_count_x
      - .offset:         108
        .size:           4
        .value_kind:     hidden_block_count_y
      - .offset:         112
        .size:           4
        .value_kind:     hidden_block_count_z
      - .offset:         116
        .size:           2
        .value_kind:     hidden_group_size_x
      - .offset:         118
        .size:           2
        .value_kind:     hidden_group_size_y
      - .offset:         120
        .size:           2
        .value_kind:     hidden_group_size_z
      - .offset:         122
        .size:           2
        .value_kind:     hidden_remainder_x
      - .offset:         124
        .size:           2
        .value_kind:     hidden_remainder_y
      - .offset:         126
        .size:           2
        .value_kind:     hidden_remainder_z
      - .offset:         144
        .size:           8
        .value_kind:     hidden_global_offset_x
      - .offset:         152
        .size:           8
        .value_kind:     hidden_global_offset_y
      - .offset:         160
        .size:           8
        .value_kind:     hidden_global_offset_z
      - .offset:         168
        .size:           2
        .value_kind:     hidden_grid_dims
    .group_segment_fixed_size: 0
    .kernarg_segment_align: 8
    .kernarg_segment_size: 360
    .language:       OpenCL C
    .language_version:
      - 2
      - 0
    .max_flat_workgroup_size: 64
    .name:           _ZL36rocblas_hemvn_kernel_lower_block_sumILi64El19rocblas_complex_numIdEPS1_S1_EviT1_lS3_lT2_lT0_lPT3_i
    .private_segment_fixed_size: 0
    .sgpr_count:     34
    .sgpr_spill_count: 0
    .symbol:         _ZL36rocblas_hemvn_kernel_lower_block_sumILi64El19rocblas_complex_numIdEPS1_S1_EviT1_lS3_lT2_lT0_lPT3_i.kd
    .uniform_work_group_size: 1
    .uses_dynamic_stack: false
    .vgpr_count:     12
    .vgpr_spill_count: 0
    .wavefront_size: 64
  - .agpr_count:     0
    .args:
      - .offset:         0
        .size:           4
        .value_kind:     by_value
      - .offset:         8
        .size:           16
        .value_kind:     by_value
      - .offset:         24
        .size:           8
        .value_kind:     by_value
      - .address_space:  global
        .offset:         32
        .size:           8
        .value_kind:     global_buffer
      - .offset:         40
        .size:           8
        .value_kind:     by_value
      - .offset:         48
        .size:           4
        .value_kind:     by_value
      - .offset:         56
        .size:           8
        .value_kind:     by_value
      - .address_space:  global
        .offset:         64
        .size:           8
        .value_kind:     global_buffer
      - .offset:         72
        .size:           8
        .value_kind:     by_value
      - .offset:         80
        .size:           4
        .value_kind:     by_value
      - .offset:         88
        .size:           8
        .value_kind:     by_value
      - .offset:         96
        .size:           16
        .value_kind:     by_value
      - .offset:         112
        .size:           8
        .value_kind:     by_value
      - .address_space:  global
        .offset:         120
        .size:           8
        .value_kind:     global_buffer
      - .offset:         128
        .size:           4
        .value_kind:     by_value
      - .offset:         136
        .size:           4
        .value_kind:     hidden_block_count_x
      - .offset:         140
        .size:           4
        .value_kind:     hidden_block_count_y
      - .offset:         144
        .size:           4
        .value_kind:     hidden_block_count_z
      - .offset:         148
        .size:           2
        .value_kind:     hidden_group_size_x
      - .offset:         150
        .size:           2
        .value_kind:     hidden_group_size_y
      - .offset:         152
        .size:           2
        .value_kind:     hidden_group_size_z
      - .offset:         154
        .size:           2
        .value_kind:     hidden_remainder_x
      - .offset:         156
        .size:           2
        .value_kind:     hidden_remainder_y
      - .offset:         158
        .size:           2
        .value_kind:     hidden_remainder_z
      - .offset:         176
        .size:           8
        .value_kind:     hidden_global_offset_x
      - .offset:         184
        .size:           8
        .value_kind:     hidden_global_offset_y
      - .offset:         192
        .size:           8
        .value_kind:     hidden_global_offset_z
      - .offset:         200
        .size:           2
        .value_kind:     hidden_grid_dims
    .group_segment_fixed_size: 19200
    .kernarg_segment_align: 8
    .kernarg_segment_size: 392
    .language:       OpenCL C
    .language_version:
      - 2
      - 0
    .max_flat_workgroup_size: 256
    .name:           _ZL26rocblas_hemvn_kernel_lowerILb1ELi64ELi4ELi33ELi32ELi16Ei19rocblas_complex_numIdEPKS1_PS1_EviT6_lT7_lT5_lS6_lS7_lS5_lT8_i
    .private_segment_fixed_size: 0
    .sgpr_count:     47
    .sgpr_spill_count: 0
    .symbol:         _ZL26rocblas_hemvn_kernel_lowerILb1ELi64ELi4ELi33ELi32ELi16Ei19rocblas_complex_numIdEPKS1_PS1_EviT6_lT7_lT5_lS6_lS7_lS5_lT8_i.kd
    .uniform_work_group_size: 1
    .uses_dynamic_stack: false
    .vgpr_count:     186
    .vgpr_spill_count: 0
    .wavefront_size: 64
  - .agpr_count:     0
    .args:
      - .offset:         0
        .size:           4
        .value_kind:     by_value
      - .offset:         8
        .size:           16
        .value_kind:     by_value
      - .offset:         24
        .size:           8
        .value_kind:     by_value
      - .offset:         32
        .size:           16
        .value_kind:     by_value
      - .offset:         48
        .size:           8
        .value_kind:     by_value
      - .address_space:  global
        .offset:         56
        .size:           8
        .value_kind:     global_buffer
      - .offset:         64
        .size:           8
        .value_kind:     by_value
      - .offset:         72
        .size:           4
        .value_kind:     by_value
      - .offset:         80
        .size:           8
        .value_kind:     by_value
      - .actual_access:  read_only
        .address_space:  global
        .offset:         88
        .size:           8
        .value_kind:     global_buffer
      - .offset:         96
        .size:           4
        .value_kind:     by_value
      - .offset:         104
        .size:           4
        .value_kind:     hidden_block_count_x
      - .offset:         108
        .size:           4
        .value_kind:     hidden_block_count_y
      - .offset:         112
        .size:           4
        .value_kind:     hidden_block_count_z
      - .offset:         116
        .size:           2
        .value_kind:     hidden_group_size_x
      - .offset:         118
        .size:           2
        .value_kind:     hidden_group_size_y
      - .offset:         120
        .size:           2
        .value_kind:     hidden_group_size_z
      - .offset:         122
        .size:           2
        .value_kind:     hidden_remainder_x
      - .offset:         124
        .size:           2
        .value_kind:     hidden_remainder_y
      - .offset:         126
        .size:           2
        .value_kind:     hidden_remainder_z
      - .offset:         144
        .size:           8
        .value_kind:     hidden_global_offset_x
      - .offset:         152
        .size:           8
        .value_kind:     hidden_global_offset_y
      - .offset:         160
        .size:           8
        .value_kind:     hidden_global_offset_z
      - .offset:         168
        .size:           2
        .value_kind:     hidden_grid_dims
    .group_segment_fixed_size: 0
    .kernarg_segment_align: 8
    .kernarg_segment_size: 360
    .language:       OpenCL C
    .language_version:
      - 2
      - 0
    .max_flat_workgroup_size: 64
    .name:           _ZL36rocblas_hemvn_kernel_lower_block_sumILi64Ei19rocblas_complex_numIdEPS1_S1_EviT1_lS3_lT2_lT0_lPT3_i
    .private_segment_fixed_size: 0
    .sgpr_count:     31
    .sgpr_spill_count: 0
    .symbol:         _ZL36rocblas_hemvn_kernel_lower_block_sumILi64Ei19rocblas_complex_numIdEPS1_S1_EviT1_lS3_lT2_lT0_lPT3_i.kd
    .uniform_work_group_size: 1
    .uses_dynamic_stack: false
    .vgpr_count:     14
    .vgpr_spill_count: 0
    .wavefront_size: 64
  - .agpr_count:     0
    .args:
      - .offset:         0
        .size:           4
        .value_kind:     by_value
      - .address_space:  global
        .offset:         8
        .size:           8
        .value_kind:     global_buffer
      - .offset:         16
        .size:           8
        .value_kind:     by_value
      - .address_space:  global
        .offset:         24
        .size:           8
        .value_kind:     global_buffer
      - .offset:         32
        .size:           8
        .value_kind:     by_value
      - .offset:         40
        .size:           8
        .value_kind:     by_value
      - .offset:         48
        .size:           8
        .value_kind:     by_value
      - .address_space:  global
        .offset:         56
        .size:           8
        .value_kind:     global_buffer
      - .offset:         64
        .size:           8
        .value_kind:     by_value
      - .offset:         72
        .size:           8
        .value_kind:     by_value
      - .offset:         80
        .size:           8
        .value_kind:     by_value
      - .address_space:  global
        .offset:         88
        .size:           8
        .value_kind:     global_buffer
      - .offset:         96
        .size:           8
        .value_kind:     by_value
      - .address_space:  global
        .offset:         104
        .size:           8
        .value_kind:     global_buffer
      - .offset:         112
        .size:           4
        .value_kind:     by_value
      - .offset:         120
        .size:           4
        .value_kind:     hidden_block_count_x
      - .offset:         124
        .size:           4
        .value_kind:     hidden_block_count_y
      - .offset:         128
        .size:           4
        .value_kind:     hidden_block_count_z
      - .offset:         132
        .size:           2
        .value_kind:     hidden_group_size_x
      - .offset:         134
        .size:           2
        .value_kind:     hidden_group_size_y
      - .offset:         136
        .size:           2
        .value_kind:     hidden_group_size_z
      - .offset:         138
        .size:           2
        .value_kind:     hidden_remainder_x
      - .offset:         140
        .size:           2
        .value_kind:     hidden_remainder_y
      - .offset:         142
        .size:           2
        .value_kind:     hidden_remainder_z
      - .offset:         160
        .size:           8
        .value_kind:     hidden_global_offset_x
      - .offset:         168
        .size:           8
        .value_kind:     hidden_global_offset_y
      - .offset:         176
        .size:           8
        .value_kind:     hidden_global_offset_z
      - .offset:         184
        .size:           2
        .value_kind:     hidden_grid_dims
    .group_segment_fixed_size: 9600
    .kernarg_segment_align: 8
    .kernarg_segment_size: 376
    .language:       OpenCL C
    .language_version:
      - 2
      - 0
    .max_flat_workgroup_size: 256
    .name:           _ZL26rocblas_hemvn_kernel_upperILb1ELi64ELi4ELi33ELi32ELi16ElPK19rocblas_complex_numIfEPKS3_PS1_EviT6_lT7_lT5_lS8_lS9_lS7_lT8_i
    .private_segment_fixed_size: 0
    .sgpr_count:     44
    .sgpr_spill_count: 0
    .symbol:         _ZL26rocblas_hemvn_kernel_upperILb1ELi64ELi4ELi33ELi32ELi16ElPK19rocblas_complex_numIfEPKS3_PS1_EviT6_lT7_lT5_lS8_lS9_lS7_lT8_i.kd
    .uniform_work_group_size: 1
    .uses_dynamic_stack: false
    .vgpr_count:     160
    .vgpr_spill_count: 0
    .wavefront_size: 64
  - .agpr_count:     0
    .args:
      - .offset:         0
        .size:           4
        .value_kind:     by_value
      - .address_space:  global
        .offset:         8
        .size:           8
        .value_kind:     global_buffer
      - .offset:         16
        .size:           8
        .value_kind:     by_value
      - .address_space:  global
        .offset:         24
        .size:           8
        .value_kind:     global_buffer
      - .offset:         32
        .size:           8
        .value_kind:     by_value
      - .actual_access:  read_only
        .address_space:  global
        .offset:         40
        .size:           8
        .value_kind:     global_buffer
      - .offset:         48
        .size:           8
        .value_kind:     by_value
      - .offset:         56
        .size:           8
        .value_kind:     by_value
      - .offset:         64
        .size:           8
        .value_kind:     by_value
      - .address_space:  global
        .offset:         72
        .size:           8
        .value_kind:     global_buffer
      - .offset:         80
        .size:           4
        .value_kind:     by_value
      - .offset:         88
        .size:           4
        .value_kind:     hidden_block_count_x
      - .offset:         92
        .size:           4
        .value_kind:     hidden_block_count_y
      - .offset:         96
        .size:           4
        .value_kind:     hidden_block_count_z
      - .offset:         100
        .size:           2
        .value_kind:     hidden_group_size_x
      - .offset:         102
        .size:           2
        .value_kind:     hidden_group_size_y
      - .offset:         104
        .size:           2
        .value_kind:     hidden_group_size_z
      - .offset:         106
        .size:           2
        .value_kind:     hidden_remainder_x
      - .offset:         108
        .size:           2
        .value_kind:     hidden_remainder_y
      - .offset:         110
        .size:           2
        .value_kind:     hidden_remainder_z
      - .offset:         128
        .size:           8
        .value_kind:     hidden_global_offset_x
      - .offset:         136
        .size:           8
        .value_kind:     hidden_global_offset_y
      - .offset:         144
        .size:           8
        .value_kind:     hidden_global_offset_z
      - .offset:         152
        .size:           2
        .value_kind:     hidden_grid_dims
    .group_segment_fixed_size: 0
    .kernarg_segment_align: 8
    .kernarg_segment_size: 344
    .language:       OpenCL C
    .language_version:
      - 2
      - 0
    .max_flat_workgroup_size: 64
    .name:           _ZL36rocblas_hemvn_kernel_upper_block_sumILi64ElPK19rocblas_complex_numIfEPKPS1_S1_EviT1_lS7_lT2_lT0_lPT3_i
    .private_segment_fixed_size: 0
    .sgpr_count:     30
    .sgpr_spill_count: 0
    .symbol:         _ZL36rocblas_hemvn_kernel_upper_block_sumILi64ElPK19rocblas_complex_numIfEPKPS1_S1_EviT1_lS7_lT2_lT0_lPT3_i.kd
    .uniform_work_group_size: 1
    .uses_dynamic_stack: false
    .vgpr_count:     14
    .vgpr_spill_count: 0
    .wavefront_size: 64
  - .agpr_count:     0
    .args:
      - .offset:         0
        .size:           4
        .value_kind:     by_value
      - .address_space:  global
        .offset:         8
        .size:           8
        .value_kind:     global_buffer
      - .offset:         16
        .size:           8
        .value_kind:     by_value
      - .address_space:  global
        .offset:         24
        .size:           8
        .value_kind:     global_buffer
      - .offset:         32
        .size:           8
        .value_kind:     by_value
      - .offset:         40
        .size:           4
        .value_kind:     by_value
      - .offset:         48
        .size:           8
        .value_kind:     by_value
      - .address_space:  global
        .offset:         56
        .size:           8
        .value_kind:     global_buffer
      - .offset:         64
        .size:           8
        .value_kind:     by_value
      - .offset:         72
        .size:           4
        .value_kind:     by_value
      - .offset:         80
        .size:           8
        .value_kind:     by_value
      - .address_space:  global
        .offset:         88
        .size:           8
        .value_kind:     global_buffer
      - .offset:         96
        .size:           8
        .value_kind:     by_value
      - .address_space:  global
        .offset:         104
        .size:           8
        .value_kind:     global_buffer
      - .offset:         112
        .size:           4
        .value_kind:     by_value
      - .offset:         120
        .size:           4
        .value_kind:     hidden_block_count_x
      - .offset:         124
        .size:           4
        .value_kind:     hidden_block_count_y
      - .offset:         128
        .size:           4
        .value_kind:     hidden_block_count_z
      - .offset:         132
        .size:           2
        .value_kind:     hidden_group_size_x
      - .offset:         134
        .size:           2
        .value_kind:     hidden_group_size_y
      - .offset:         136
        .size:           2
        .value_kind:     hidden_group_size_z
      - .offset:         138
        .size:           2
        .value_kind:     hidden_remainder_x
      - .offset:         140
        .size:           2
        .value_kind:     hidden_remainder_y
      - .offset:         142
        .size:           2
        .value_kind:     hidden_remainder_z
      - .offset:         160
        .size:           8
        .value_kind:     hidden_global_offset_x
      - .offset:         168
        .size:           8
        .value_kind:     hidden_global_offset_y
      - .offset:         176
        .size:           8
        .value_kind:     hidden_global_offset_z
      - .offset:         184
        .size:           2
        .value_kind:     hidden_grid_dims
    .group_segment_fixed_size: 9600
    .kernarg_segment_align: 8
    .kernarg_segment_size: 376
    .language:       OpenCL C
    .language_version:
      - 2
      - 0
    .max_flat_workgroup_size: 256
    .name:           _ZL26rocblas_hemvn_kernel_upperILb1ELi64ELi4ELi33ELi32ELi16EiPK19rocblas_complex_numIfEPKS3_PS1_EviT6_lT7_lT5_lS8_lS9_lS7_lT8_i
    .private_segment_fixed_size: 0
    .sgpr_count:     52
    .sgpr_spill_count: 0
    .symbol:         _ZL26rocblas_hemvn_kernel_upperILb1ELi64ELi4ELi33ELi32ELi16EiPK19rocblas_complex_numIfEPKS3_PS1_EviT6_lT7_lT5_lS8_lS9_lS7_lT8_i.kd
    .uniform_work_group_size: 1
    .uses_dynamic_stack: false
    .vgpr_count:     170
    .vgpr_spill_count: 0
    .wavefront_size: 64
  - .agpr_count:     0
    .args:
      - .offset:         0
        .size:           4
        .value_kind:     by_value
      - .address_space:  global
        .offset:         8
        .size:           8
        .value_kind:     global_buffer
      - .offset:         16
        .size:           8
        .value_kind:     by_value
      - .address_space:  global
        .offset:         24
        .size:           8
        .value_kind:     global_buffer
      - .offset:         32
        .size:           8
        .value_kind:     by_value
      - .actual_access:  read_only
        .address_space:  global
        .offset:         40
        .size:           8
        .value_kind:     global_buffer
      - .offset:         48
        .size:           8
        .value_kind:     by_value
      - .offset:         56
        .size:           4
        .value_kind:     by_value
      - .offset:         64
        .size:           8
        .value_kind:     by_value
      - .address_space:  global
        .offset:         72
        .size:           8
        .value_kind:     global_buffer
      - .offset:         80
        .size:           4
        .value_kind:     by_value
      - .offset:         88
        .size:           4
        .value_kind:     hidden_block_count_x
      - .offset:         92
        .size:           4
        .value_kind:     hidden_block_count_y
      - .offset:         96
        .size:           4
        .value_kind:     hidden_block_count_z
      - .offset:         100
        .size:           2
        .value_kind:     hidden_group_size_x
      - .offset:         102
        .size:           2
        .value_kind:     hidden_group_size_y
      - .offset:         104
        .size:           2
        .value_kind:     hidden_group_size_z
      - .offset:         106
        .size:           2
        .value_kind:     hidden_remainder_x
      - .offset:         108
        .size:           2
        .value_kind:     hidden_remainder_y
      - .offset:         110
        .size:           2
        .value_kind:     hidden_remainder_z
      - .offset:         128
        .size:           8
        .value_kind:     hidden_global_offset_x
      - .offset:         136
        .size:           8
        .value_kind:     hidden_global_offset_y
      - .offset:         144
        .size:           8
        .value_kind:     hidden_global_offset_z
      - .offset:         152
        .size:           2
        .value_kind:     hidden_grid_dims
    .group_segment_fixed_size: 0
    .kernarg_segment_align: 8
    .kernarg_segment_size: 344
    .language:       OpenCL C
    .language_version:
      - 2
      - 0
    .max_flat_workgroup_size: 64
    .name:           _ZL36rocblas_hemvn_kernel_upper_block_sumILi64EiPK19rocblas_complex_numIfEPKPS1_S1_EviT1_lS7_lT2_lT0_lPT3_i
    .private_segment_fixed_size: 0
    .sgpr_count:     26
    .sgpr_spill_count: 0
    .symbol:         _ZL36rocblas_hemvn_kernel_upper_block_sumILi64EiPK19rocblas_complex_numIfEPKPS1_S1_EviT1_lS7_lT2_lT0_lPT3_i.kd
    .uniform_work_group_size: 1
    .uses_dynamic_stack: false
    .vgpr_count:     12
    .vgpr_spill_count: 0
    .wavefront_size: 64
  - .agpr_count:     0
    .args:
      - .offset:         0
        .size:           4
        .value_kind:     by_value
      - .offset:         4
        .size:           8
        .value_kind:     by_value
      - .offset:         16
        .size:           8
        .value_kind:     by_value
      - .address_space:  global
        .offset:         24
        .size:           8
        .value_kind:     global_buffer
      - .offset:         32
        .size:           8
        .value_kind:     by_value
      - .offset:         40
        .size:           8
        .value_kind:     by_value
      - .offset:         48
        .size:           8
        .value_kind:     by_value
      - .address_space:  global
        .offset:         56
        .size:           8
        .value_kind:     global_buffer
      - .offset:         64
        .size:           8
        .value_kind:     by_value
      - .offset:         72
        .size:           8
        .value_kind:     by_value
      - .offset:         80
        .size:           8
        .value_kind:     by_value
      - .offset:         88
        .size:           8
        .value_kind:     by_value
      - .offset:         96
        .size:           8
        .value_kind:     by_value
      - .address_space:  global
        .offset:         104
        .size:           8
        .value_kind:     global_buffer
      - .offset:         112
        .size:           4
        .value_kind:     by_value
      - .offset:         120
        .size:           4
        .value_kind:     hidden_block_count_x
      - .offset:         124
        .size:           4
        .value_kind:     hidden_block_count_y
      - .offset:         128
        .size:           4
        .value_kind:     hidden_block_count_z
      - .offset:         132
        .size:           2
        .value_kind:     hidden_group_size_x
      - .offset:         134
        .size:           2
        .value_kind:     hidden_group_size_y
      - .offset:         136
        .size:           2
        .value_kind:     hidden_group_size_z
      - .offset:         138
        .size:           2
        .value_kind:     hidden_remainder_x
      - .offset:         140
        .size:           2
        .value_kind:     hidden_remainder_y
      - .offset:         142
        .size:           2
        .value_kind:     hidden_remainder_z
      - .offset:         160
        .size:           8
        .value_kind:     hidden_global_offset_x
      - .offset:         168
        .size:           8
        .value_kind:     hidden_global_offset_y
      - .offset:         176
        .size:           8
        .value_kind:     hidden_global_offset_z
      - .offset:         184
        .size:           2
        .value_kind:     hidden_grid_dims
    .group_segment_fixed_size: 9600
    .kernarg_segment_align: 8
    .kernarg_segment_size: 376
    .language:       OpenCL C
    .language_version:
      - 2
      - 0
    .max_flat_workgroup_size: 256
    .name:           _ZL26rocblas_hemvn_kernel_upperILb1ELi64ELi4ELi33ELi32ELi16El19rocblas_complex_numIfEPKPKS1_PS1_EviT6_lT7_lT5_lS8_lS9_lS7_lT8_i
    .private_segment_fixed_size: 0
    .sgpr_count:     44
    .sgpr_spill_count: 0
    .symbol:         _ZL26rocblas_hemvn_kernel_upperILb1ELi64ELi4ELi33ELi32ELi16El19rocblas_complex_numIfEPKPKS1_PS1_EviT6_lT7_lT5_lS8_lS9_lS7_lT8_i.kd
    .uniform_work_group_size: 1
    .uses_dynamic_stack: false
    .vgpr_count:     160
    .vgpr_spill_count: 0
    .wavefront_size: 64
  - .agpr_count:     0
    .args:
      - .offset:         0
        .size:           4
        .value_kind:     by_value
      - .offset:         4
        .size:           8
        .value_kind:     by_value
      - .offset:         16
        .size:           8
        .value_kind:     by_value
      - .offset:         24
        .size:           8
        .value_kind:     by_value
      - .offset:         32
        .size:           8
        .value_kind:     by_value
      - .actual_access:  read_only
        .address_space:  global
        .offset:         40
        .size:           8
        .value_kind:     global_buffer
      - .offset:         48
        .size:           8
        .value_kind:     by_value
      - .offset:         56
        .size:           8
        .value_kind:     by_value
      - .offset:         64
        .size:           8
        .value_kind:     by_value
      - .address_space:  global
        .offset:         72
        .size:           8
        .value_kind:     global_buffer
      - .offset:         80
        .size:           4
        .value_kind:     by_value
      - .offset:         88
        .size:           4
        .value_kind:     hidden_block_count_x
      - .offset:         92
        .size:           4
        .value_kind:     hidden_block_count_y
      - .offset:         96
        .size:           4
        .value_kind:     hidden_block_count_z
      - .offset:         100
        .size:           2
        .value_kind:     hidden_group_size_x
      - .offset:         102
        .size:           2
        .value_kind:     hidden_group_size_y
      - .offset:         104
        .size:           2
        .value_kind:     hidden_group_size_z
      - .offset:         106
        .size:           2
        .value_kind:     hidden_remainder_x
      - .offset:         108
        .size:           2
        .value_kind:     hidden_remainder_y
      - .offset:         110
        .size:           2
        .value_kind:     hidden_remainder_z
      - .offset:         128
        .size:           8
        .value_kind:     hidden_global_offset_x
      - .offset:         136
        .size:           8
        .value_kind:     hidden_global_offset_y
      - .offset:         144
        .size:           8
        .value_kind:     hidden_global_offset_z
      - .offset:         152
        .size:           2
        .value_kind:     hidden_grid_dims
    .group_segment_fixed_size: 0
    .kernarg_segment_align: 8
    .kernarg_segment_size: 344
    .language:       OpenCL C
    .language_version:
      - 2
      - 0
    .max_flat_workgroup_size: 64
    .name:           _ZL36rocblas_hemvn_kernel_upper_block_sumILi64El19rocblas_complex_numIfEPKPS1_S1_EviT1_lS5_lT2_lT0_lPT3_i
    .private_segment_fixed_size: 0
    .sgpr_count:     30
    .sgpr_spill_count: 0
    .symbol:         _ZL36rocblas_hemvn_kernel_upper_block_sumILi64El19rocblas_complex_numIfEPKPS1_S1_EviT1_lS5_lT2_lT0_lPT3_i.kd
    .uniform_work_group_size: 1
    .uses_dynamic_stack: false
    .vgpr_count:     14
    .vgpr_spill_count: 0
    .wavefront_size: 64
  - .agpr_count:     0
    .args:
      - .offset:         0
        .size:           4
        .value_kind:     by_value
      - .offset:         4
        .size:           8
        .value_kind:     by_value
      - .offset:         16
        .size:           8
        .value_kind:     by_value
      - .address_space:  global
        .offset:         24
        .size:           8
        .value_kind:     global_buffer
      - .offset:         32
        .size:           8
        .value_kind:     by_value
      - .offset:         40
        .size:           4
        .value_kind:     by_value
      - .offset:         48
        .size:           8
        .value_kind:     by_value
      - .address_space:  global
        .offset:         56
        .size:           8
        .value_kind:     global_buffer
      - .offset:         64
        .size:           8
        .value_kind:     by_value
      - .offset:         72
        .size:           4
        .value_kind:     by_value
      - .offset:         80
        .size:           8
        .value_kind:     by_value
      - .offset:         88
        .size:           8
        .value_kind:     by_value
      - .offset:         96
        .size:           8
        .value_kind:     by_value
      - .address_space:  global
        .offset:         104
        .size:           8
        .value_kind:     global_buffer
      - .offset:         112
        .size:           4
        .value_kind:     by_value
      - .offset:         120
        .size:           4
        .value_kind:     hidden_block_count_x
      - .offset:         124
        .size:           4
        .value_kind:     hidden_block_count_y
      - .offset:         128
        .size:           4
        .value_kind:     hidden_block_count_z
      - .offset:         132
        .size:           2
        .value_kind:     hidden_group_size_x
      - .offset:         134
        .size:           2
        .value_kind:     hidden_group_size_y
      - .offset:         136
        .size:           2
        .value_kind:     hidden_group_size_z
      - .offset:         138
        .size:           2
        .value_kind:     hidden_remainder_x
      - .offset:         140
        .size:           2
        .value_kind:     hidden_remainder_y
      - .offset:         142
        .size:           2
        .value_kind:     hidden_remainder_z
      - .offset:         160
        .size:           8
        .value_kind:     hidden_global_offset_x
      - .offset:         168
        .size:           8
        .value_kind:     hidden_global_offset_y
      - .offset:         176
        .size:           8
        .value_kind:     hidden_global_offset_z
      - .offset:         184
        .size:           2
        .value_kind:     hidden_grid_dims
    .group_segment_fixed_size: 9600
    .kernarg_segment_align: 8
    .kernarg_segment_size: 376
    .language:       OpenCL C
    .language_version:
      - 2
      - 0
    .max_flat_workgroup_size: 256
    .name:           _ZL26rocblas_hemvn_kernel_upperILb1ELi64ELi4ELi33ELi32ELi16Ei19rocblas_complex_numIfEPKPKS1_PS1_EviT6_lT7_lT5_lS8_lS9_lS7_lT8_i
    .private_segment_fixed_size: 0
    .sgpr_count:     52
    .sgpr_spill_count: 0
    .symbol:         _ZL26rocblas_hemvn_kernel_upperILb1ELi64ELi4ELi33ELi32ELi16Ei19rocblas_complex_numIfEPKPKS1_PS1_EviT6_lT7_lT5_lS8_lS9_lS7_lT8_i.kd
    .uniform_work_group_size: 1
    .uses_dynamic_stack: false
    .vgpr_count:     170
    .vgpr_spill_count: 0
    .wavefront_size: 64
  - .agpr_count:     0
    .args:
      - .offset:         0
        .size:           4
        .value_kind:     by_value
      - .offset:         4
        .size:           8
        .value_kind:     by_value
      - .offset:         16
        .size:           8
        .value_kind:     by_value
      - .offset:         24
        .size:           8
        .value_kind:     by_value
      - .offset:         32
        .size:           8
        .value_kind:     by_value
      - .actual_access:  read_only
        .address_space:  global
        .offset:         40
        .size:           8
        .value_kind:     global_buffer
      - .offset:         48
        .size:           8
        .value_kind:     by_value
      - .offset:         56
        .size:           4
        .value_kind:     by_value
      - .offset:         64
        .size:           8
        .value_kind:     by_value
      - .address_space:  global
        .offset:         72
        .size:           8
        .value_kind:     global_buffer
      - .offset:         80
        .size:           4
        .value_kind:     by_value
      - .offset:         88
        .size:           4
        .value_kind:     hidden_block_count_x
      - .offset:         92
        .size:           4
        .value_kind:     hidden_block_count_y
      - .offset:         96
        .size:           4
        .value_kind:     hidden_block_count_z
      - .offset:         100
        .size:           2
        .value_kind:     hidden_group_size_x
      - .offset:         102
        .size:           2
        .value_kind:     hidden_group_size_y
      - .offset:         104
        .size:           2
        .value_kind:     hidden_group_size_z
      - .offset:         106
        .size:           2
        .value_kind:     hidden_remainder_x
      - .offset:         108
        .size:           2
        .value_kind:     hidden_remainder_y
      - .offset:         110
        .size:           2
        .value_kind:     hidden_remainder_z
      - .offset:         128
        .size:           8
        .value_kind:     hidden_global_offset_x
      - .offset:         136
        .size:           8
        .value_kind:     hidden_global_offset_y
      - .offset:         144
        .size:           8
        .value_kind:     hidden_global_offset_z
      - .offset:         152
        .size:           2
        .value_kind:     hidden_grid_dims
    .group_segment_fixed_size: 0
    .kernarg_segment_align: 8
    .kernarg_segment_size: 344
    .language:       OpenCL C
    .language_version:
      - 2
      - 0
    .max_flat_workgroup_size: 64
    .name:           _ZL36rocblas_hemvn_kernel_upper_block_sumILi64Ei19rocblas_complex_numIfEPKPS1_S1_EviT1_lS5_lT2_lT0_lPT3_i
    .private_segment_fixed_size: 0
    .sgpr_count:     26
    .sgpr_spill_count: 0
    .symbol:         _ZL36rocblas_hemvn_kernel_upper_block_sumILi64Ei19rocblas_complex_numIfEPKPS1_S1_EviT1_lS5_lT2_lT0_lPT3_i.kd
    .uniform_work_group_size: 1
    .uses_dynamic_stack: false
    .vgpr_count:     12
    .vgpr_spill_count: 0
    .wavefront_size: 64
  - .agpr_count:     0
    .args:
      - .offset:         0
        .size:           4
        .value_kind:     by_value
      - .address_space:  global
        .offset:         8
        .size:           8
        .value_kind:     global_buffer
      - .offset:         16
        .size:           8
        .value_kind:     by_value
      - .address_space:  global
        .offset:         24
        .size:           8
        .value_kind:     global_buffer
      - .offset:         32
        .size:           8
        .value_kind:     by_value
      - .offset:         40
        .size:           8
        .value_kind:     by_value
      - .offset:         48
        .size:           8
        .value_kind:     by_value
      - .address_space:  global
        .offset:         56
        .size:           8
        .value_kind:     global_buffer
      - .offset:         64
        .size:           8
        .value_kind:     by_value
      - .offset:         72
        .size:           8
        .value_kind:     by_value
      - .offset:         80
        .size:           8
        .value_kind:     by_value
      - .address_space:  global
        .offset:         88
        .size:           8
        .value_kind:     global_buffer
      - .offset:         96
        .size:           8
        .value_kind:     by_value
      - .address_space:  global
        .offset:         104
        .size:           8
        .value_kind:     global_buffer
      - .offset:         112
        .size:           4
        .value_kind:     by_value
      - .offset:         120
        .size:           4
        .value_kind:     hidden_block_count_x
      - .offset:         124
        .size:           4
        .value_kind:     hidden_block_count_y
      - .offset:         128
        .size:           4
        .value_kind:     hidden_block_count_z
      - .offset:         132
        .size:           2
        .value_kind:     hidden_group_size_x
      - .offset:         134
        .size:           2
        .value_kind:     hidden_group_size_y
      - .offset:         136
        .size:           2
        .value_kind:     hidden_group_size_z
      - .offset:         138
        .size:           2
        .value_kind:     hidden_remainder_x
      - .offset:         140
        .size:           2
        .value_kind:     hidden_remainder_y
      - .offset:         142
        .size:           2
        .value_kind:     hidden_remainder_z
      - .offset:         160
        .size:           8
        .value_kind:     hidden_global_offset_x
      - .offset:         168
        .size:           8
        .value_kind:     hidden_global_offset_y
      - .offset:         176
        .size:           8
        .value_kind:     hidden_global_offset_z
      - .offset:         184
        .size:           2
        .value_kind:     hidden_grid_dims
    .group_segment_fixed_size: 9600
    .kernarg_segment_align: 8
    .kernarg_segment_size: 376
    .language:       OpenCL C
    .language_version:
      - 2
      - 0
    .max_flat_workgroup_size: 256
    .name:           _ZL26rocblas_hemvn_kernel_lowerILb1ELi64ELi4ELi33ELi32ELi16ElPK19rocblas_complex_numIfEPKS3_PS1_EviT6_lT7_lT5_lS8_lS9_lS7_lT8_i
    .private_segment_fixed_size: 0
    .sgpr_count:     56
    .sgpr_spill_count: 0
    .symbol:         _ZL26rocblas_hemvn_kernel_lowerILb1ELi64ELi4ELi33ELi32ELi16ElPK19rocblas_complex_numIfEPKS3_PS1_EviT6_lT7_lT5_lS8_lS9_lS7_lT8_i.kd
    .uniform_work_group_size: 1
    .uses_dynamic_stack: false
    .vgpr_count:     106
    .vgpr_spill_count: 0
    .wavefront_size: 64
  - .agpr_count:     0
    .args:
      - .offset:         0
        .size:           4
        .value_kind:     by_value
      - .address_space:  global
        .offset:         8
        .size:           8
        .value_kind:     global_buffer
      - .offset:         16
        .size:           8
        .value_kind:     by_value
      - .address_space:  global
        .offset:         24
        .size:           8
        .value_kind:     global_buffer
      - .offset:         32
        .size:           8
        .value_kind:     by_value
      - .actual_access:  read_only
        .address_space:  global
        .offset:         40
        .size:           8
        .value_kind:     global_buffer
      - .offset:         48
        .size:           8
        .value_kind:     by_value
      - .offset:         56
        .size:           8
        .value_kind:     by_value
      - .offset:         64
        .size:           8
        .value_kind:     by_value
      - .actual_access:  read_only
        .address_space:  global
        .offset:         72
        .size:           8
        .value_kind:     global_buffer
      - .offset:         80
        .size:           4
        .value_kind:     by_value
      - .offset:         88
        .size:           4
        .value_kind:     hidden_block_count_x
      - .offset:         92
        .size:           4
        .value_kind:     hidden_block_count_y
      - .offset:         96
        .size:           4
        .value_kind:     hidden_block_count_z
      - .offset:         100
        .size:           2
        .value_kind:     hidden_group_size_x
      - .offset:         102
        .size:           2
        .value_kind:     hidden_group_size_y
      - .offset:         104
        .size:           2
        .value_kind:     hidden_group_size_z
      - .offset:         106
        .size:           2
        .value_kind:     hidden_remainder_x
      - .offset:         108
        .size:           2
        .value_kind:     hidden_remainder_y
      - .offset:         110
        .size:           2
        .value_kind:     hidden_remainder_z
      - .offset:         128
        .size:           8
        .value_kind:     hidden_global_offset_x
      - .offset:         136
        .size:           8
        .value_kind:     hidden_global_offset_y
      - .offset:         144
        .size:           8
        .value_kind:     hidden_global_offset_z
      - .offset:         152
        .size:           2
        .value_kind:     hidden_grid_dims
    .group_segment_fixed_size: 0
    .kernarg_segment_align: 8
    .kernarg_segment_size: 344
    .language:       OpenCL C
    .language_version:
      - 2
      - 0
    .max_flat_workgroup_size: 64
    .name:           _ZL36rocblas_hemvn_kernel_lower_block_sumILi64ElPK19rocblas_complex_numIfEPKPS1_S1_EviT1_lS7_lT2_lT0_lPT3_i
    .private_segment_fixed_size: 0
    .sgpr_count:     30
    .sgpr_spill_count: 0
    .symbol:         _ZL36rocblas_hemvn_kernel_lower_block_sumILi64ElPK19rocblas_complex_numIfEPKPS1_S1_EviT1_lS7_lT2_lT0_lPT3_i.kd
    .uniform_work_group_size: 1
    .uses_dynamic_stack: false
    .vgpr_count:     14
    .vgpr_spill_count: 0
    .wavefront_size: 64
  - .agpr_count:     0
    .args:
      - .offset:         0
        .size:           4
        .value_kind:     by_value
      - .address_space:  global
        .offset:         8
        .size:           8
        .value_kind:     global_buffer
      - .offset:         16
        .size:           8
        .value_kind:     by_value
      - .address_space:  global
        .offset:         24
        .size:           8
        .value_kind:     global_buffer
      - .offset:         32
        .size:           8
        .value_kind:     by_value
      - .offset:         40
        .size:           4
        .value_kind:     by_value
      - .offset:         48
        .size:           8
        .value_kind:     by_value
      - .address_space:  global
        .offset:         56
        .size:           8
        .value_kind:     global_buffer
      - .offset:         64
        .size:           8
        .value_kind:     by_value
      - .offset:         72
        .size:           4
        .value_kind:     by_value
      - .offset:         80
        .size:           8
        .value_kind:     by_value
      - .address_space:  global
        .offset:         88
        .size:           8
        .value_kind:     global_buffer
      - .offset:         96
        .size:           8
        .value_kind:     by_value
      - .address_space:  global
        .offset:         104
        .size:           8
        .value_kind:     global_buffer
      - .offset:         112
        .size:           4
        .value_kind:     by_value
      - .offset:         120
        .size:           4
        .value_kind:     hidden_block_count_x
      - .offset:         124
        .size:           4
        .value_kind:     hidden_block_count_y
      - .offset:         128
        .size:           4
        .value_kind:     hidden_block_count_z
      - .offset:         132
        .size:           2
        .value_kind:     hidden_group_size_x
      - .offset:         134
        .size:           2
        .value_kind:     hidden_group_size_y
      - .offset:         136
        .size:           2
        .value_kind:     hidden_group_size_z
      - .offset:         138
        .size:           2
        .value_kind:     hidden_remainder_x
      - .offset:         140
        .size:           2
        .value_kind:     hidden_remainder_y
      - .offset:         142
        .size:           2
        .value_kind:     hidden_remainder_z
      - .offset:         160
        .size:           8
        .value_kind:     hidden_global_offset_x
      - .offset:         168
        .size:           8
        .value_kind:     hidden_global_offset_y
      - .offset:         176
        .size:           8
        .value_kind:     hidden_global_offset_z
      - .offset:         184
        .size:           2
        .value_kind:     hidden_grid_dims
    .group_segment_fixed_size: 9600
    .kernarg_segment_align: 8
    .kernarg_segment_size: 376
    .language:       OpenCL C
    .language_version:
      - 2
      - 0
    .max_flat_workgroup_size: 256
    .name:           _ZL26rocblas_hemvn_kernel_lowerILb1ELi64ELi4ELi33ELi32ELi16EiPK19rocblas_complex_numIfEPKS3_PS1_EviT6_lT7_lT5_lS8_lS9_lS7_lT8_i
    .private_segment_fixed_size: 0
    .sgpr_count:     54
    .sgpr_spill_count: 0
    .symbol:         _ZL26rocblas_hemvn_kernel_lowerILb1ELi64ELi4ELi33ELi32ELi16EiPK19rocblas_complex_numIfEPKS3_PS1_EviT6_lT7_lT5_lS8_lS9_lS7_lT8_i.kd
    .uniform_work_group_size: 1
    .uses_dynamic_stack: false
    .vgpr_count:     104
    .vgpr_spill_count: 0
    .wavefront_size: 64
  - .agpr_count:     0
    .args:
      - .offset:         0
        .size:           4
        .value_kind:     by_value
      - .address_space:  global
        .offset:         8
        .size:           8
        .value_kind:     global_buffer
      - .offset:         16
        .size:           8
        .value_kind:     by_value
      - .address_space:  global
        .offset:         24
        .size:           8
        .value_kind:     global_buffer
      - .offset:         32
        .size:           8
        .value_kind:     by_value
      - .actual_access:  read_only
        .address_space:  global
        .offset:         40
        .size:           8
        .value_kind:     global_buffer
      - .offset:         48
        .size:           8
        .value_kind:     by_value
      - .offset:         56
        .size:           4
        .value_kind:     by_value
      - .offset:         64
        .size:           8
        .value_kind:     by_value
      - .actual_access:  read_only
        .address_space:  global
        .offset:         72
        .size:           8
        .value_kind:     global_buffer
      - .offset:         80
        .size:           4
        .value_kind:     by_value
      - .offset:         88
        .size:           4
        .value_kind:     hidden_block_count_x
      - .offset:         92
        .size:           4
        .value_kind:     hidden_block_count_y
      - .offset:         96
        .size:           4
        .value_kind:     hidden_block_count_z
      - .offset:         100
        .size:           2
        .value_kind:     hidden_group_size_x
      - .offset:         102
        .size:           2
        .value_kind:     hidden_group_size_y
      - .offset:         104
        .size:           2
        .value_kind:     hidden_group_size_z
      - .offset:         106
        .size:           2
        .value_kind:     hidden_remainder_x
      - .offset:         108
        .size:           2
        .value_kind:     hidden_remainder_y
      - .offset:         110
        .size:           2
        .value_kind:     hidden_remainder_z
      - .offset:         128
        .size:           8
        .value_kind:     hidden_global_offset_x
      - .offset:         136
        .size:           8
        .value_kind:     hidden_global_offset_y
      - .offset:         144
        .size:           8
        .value_kind:     hidden_global_offset_z
      - .offset:         152
        .size:           2
        .value_kind:     hidden_grid_dims
    .group_segment_fixed_size: 0
    .kernarg_segment_align: 8
    .kernarg_segment_size: 344
    .language:       OpenCL C
    .language_version:
      - 2
      - 0
    .max_flat_workgroup_size: 64
    .name:           _ZL36rocblas_hemvn_kernel_lower_block_sumILi64EiPK19rocblas_complex_numIfEPKPS1_S1_EviT1_lS7_lT2_lT0_lPT3_i
    .private_segment_fixed_size: 0
    .sgpr_count:     26
    .sgpr_spill_count: 0
    .symbol:         _ZL36rocblas_hemvn_kernel_lower_block_sumILi64EiPK19rocblas_complex_numIfEPKPS1_S1_EviT1_lS7_lT2_lT0_lPT3_i.kd
    .uniform_work_group_size: 1
    .uses_dynamic_stack: false
    .vgpr_count:     12
    .vgpr_spill_count: 0
    .wavefront_size: 64
  - .agpr_count:     0
    .args:
      - .offset:         0
        .size:           4
        .value_kind:     by_value
      - .offset:         4
        .size:           8
        .value_kind:     by_value
      - .offset:         16
        .size:           8
        .value_kind:     by_value
      - .address_space:  global
        .offset:         24
        .size:           8
        .value_kind:     global_buffer
      - .offset:         32
        .size:           8
        .value_kind:     by_value
      - .offset:         40
        .size:           8
        .value_kind:     by_value
      - .offset:         48
        .size:           8
        .value_kind:     by_value
      - .address_space:  global
        .offset:         56
        .size:           8
        .value_kind:     global_buffer
      - .offset:         64
        .size:           8
        .value_kind:     by_value
      - .offset:         72
        .size:           8
        .value_kind:     by_value
      - .offset:         80
        .size:           8
        .value_kind:     by_value
      - .offset:         88
        .size:           8
        .value_kind:     by_value
      - .offset:         96
        .size:           8
        .value_kind:     by_value
      - .address_space:  global
        .offset:         104
        .size:           8
        .value_kind:     global_buffer
      - .offset:         112
        .size:           4
        .value_kind:     by_value
      - .offset:         120
        .size:           4
        .value_kind:     hidden_block_count_x
      - .offset:         124
        .size:           4
        .value_kind:     hidden_block_count_y
      - .offset:         128
        .size:           4
        .value_kind:     hidden_block_count_z
      - .offset:         132
        .size:           2
        .value_kind:     hidden_group_size_x
      - .offset:         134
        .size:           2
        .value_kind:     hidden_group_size_y
      - .offset:         136
        .size:           2
        .value_kind:     hidden_group_size_z
      - .offset:         138
        .size:           2
        .value_kind:     hidden_remainder_x
      - .offset:         140
        .size:           2
        .value_kind:     hidden_remainder_y
      - .offset:         142
        .size:           2
        .value_kind:     hidden_remainder_z
      - .offset:         160
        .size:           8
        .value_kind:     hidden_global_offset_x
      - .offset:         168
        .size:           8
        .value_kind:     hidden_global_offset_y
      - .offset:         176
        .size:           8
        .value_kind:     hidden_global_offset_z
      - .offset:         184
        .size:           2
        .value_kind:     hidden_grid_dims
    .group_segment_fixed_size: 9600
    .kernarg_segment_align: 8
    .kernarg_segment_size: 376
    .language:       OpenCL C
    .language_version:
      - 2
      - 0
    .max_flat_workgroup_size: 256
    .name:           _ZL26rocblas_hemvn_kernel_lowerILb1ELi64ELi4ELi33ELi32ELi16El19rocblas_complex_numIfEPKPKS1_PS1_EviT6_lT7_lT5_lS8_lS9_lS7_lT8_i
    .private_segment_fixed_size: 0
    .sgpr_count:     56
    .sgpr_spill_count: 0
    .symbol:         _ZL26rocblas_hemvn_kernel_lowerILb1ELi64ELi4ELi33ELi32ELi16El19rocblas_complex_numIfEPKPKS1_PS1_EviT6_lT7_lT5_lS8_lS9_lS7_lT8_i.kd
    .uniform_work_group_size: 1
    .uses_dynamic_stack: false
    .vgpr_count:     106
    .vgpr_spill_count: 0
    .wavefront_size: 64
  - .agpr_count:     0
    .args:
      - .offset:         0
        .size:           4
        .value_kind:     by_value
      - .offset:         4
        .size:           8
        .value_kind:     by_value
      - .offset:         16
        .size:           8
        .value_kind:     by_value
      - .offset:         24
        .size:           8
        .value_kind:     by_value
      - .offset:         32
        .size:           8
        .value_kind:     by_value
      - .actual_access:  read_only
        .address_space:  global
        .offset:         40
        .size:           8
        .value_kind:     global_buffer
      - .offset:         48
        .size:           8
        .value_kind:     by_value
      - .offset:         56
        .size:           8
        .value_kind:     by_value
      - .offset:         64
        .size:           8
        .value_kind:     by_value
      - .actual_access:  read_only
        .address_space:  global
        .offset:         72
        .size:           8
        .value_kind:     global_buffer
      - .offset:         80
        .size:           4
        .value_kind:     by_value
      - .offset:         88
        .size:           4
        .value_kind:     hidden_block_count_x
      - .offset:         92
        .size:           4
        .value_kind:     hidden_block_count_y
      - .offset:         96
        .size:           4
        .value_kind:     hidden_block_count_z
      - .offset:         100
        .size:           2
        .value_kind:     hidden_group_size_x
      - .offset:         102
        .size:           2
        .value_kind:     hidden_group_size_y
      - .offset:         104
        .size:           2
        .value_kind:     hidden_group_size_z
      - .offset:         106
        .size:           2
        .value_kind:     hidden_remainder_x
      - .offset:         108
        .size:           2
        .value_kind:     hidden_remainder_y
      - .offset:         110
        .size:           2
        .value_kind:     hidden_remainder_z
      - .offset:         128
        .size:           8
        .value_kind:     hidden_global_offset_x
      - .offset:         136
        .size:           8
        .value_kind:     hidden_global_offset_y
      - .offset:         144
        .size:           8
        .value_kind:     hidden_global_offset_z
      - .offset:         152
        .size:           2
        .value_kind:     hidden_grid_dims
    .group_segment_fixed_size: 0
    .kernarg_segment_align: 8
    .kernarg_segment_size: 344
    .language:       OpenCL C
    .language_version:
      - 2
      - 0
    .max_flat_workgroup_size: 64
    .name:           _ZL36rocblas_hemvn_kernel_lower_block_sumILi64El19rocblas_complex_numIfEPKPS1_S1_EviT1_lS5_lT2_lT0_lPT3_i
    .private_segment_fixed_size: 0
    .sgpr_count:     30
    .sgpr_spill_count: 0
    .symbol:         _ZL36rocblas_hemvn_kernel_lower_block_sumILi64El19rocblas_complex_numIfEPKPS1_S1_EviT1_lS5_lT2_lT0_lPT3_i.kd
    .uniform_work_group_size: 1
    .uses_dynamic_stack: false
    .vgpr_count:     14
    .vgpr_spill_count: 0
    .wavefront_size: 64
  - .agpr_count:     0
    .args:
      - .offset:         0
        .size:           4
        .value_kind:     by_value
      - .offset:         4
        .size:           8
        .value_kind:     by_value
      - .offset:         16
        .size:           8
        .value_kind:     by_value
      - .address_space:  global
        .offset:         24
        .size:           8
        .value_kind:     global_buffer
      - .offset:         32
        .size:           8
        .value_kind:     by_value
      - .offset:         40
        .size:           4
        .value_kind:     by_value
      - .offset:         48
        .size:           8
        .value_kind:     by_value
      - .address_space:  global
        .offset:         56
        .size:           8
        .value_kind:     global_buffer
      - .offset:         64
        .size:           8
        .value_kind:     by_value
      - .offset:         72
        .size:           4
        .value_kind:     by_value
      - .offset:         80
        .size:           8
        .value_kind:     by_value
      - .offset:         88
        .size:           8
        .value_kind:     by_value
      - .offset:         96
        .size:           8
        .value_kind:     by_value
      - .address_space:  global
        .offset:         104
        .size:           8
        .value_kind:     global_buffer
      - .offset:         112
        .size:           4
        .value_kind:     by_value
      - .offset:         120
        .size:           4
        .value_kind:     hidden_block_count_x
      - .offset:         124
        .size:           4
        .value_kind:     hidden_block_count_y
      - .offset:         128
        .size:           4
        .value_kind:     hidden_block_count_z
      - .offset:         132
        .size:           2
        .value_kind:     hidden_group_size_x
      - .offset:         134
        .size:           2
        .value_kind:     hidden_group_size_y
      - .offset:         136
        .size:           2
        .value_kind:     hidden_group_size_z
      - .offset:         138
        .size:           2
        .value_kind:     hidden_remainder_x
      - .offset:         140
        .size:           2
        .value_kind:     hidden_remainder_y
      - .offset:         142
        .size:           2
        .value_kind:     hidden_remainder_z
      - .offset:         160
        .size:           8
        .value_kind:     hidden_global_offset_x
      - .offset:         168
        .size:           8
        .value_kind:     hidden_global_offset_y
      - .offset:         176
        .size:           8
        .value_kind:     hidden_global_offset_z
      - .offset:         184
        .size:           2
        .value_kind:     hidden_grid_dims
    .group_segment_fixed_size: 9600
    .kernarg_segment_align: 8
    .kernarg_segment_size: 376
    .language:       OpenCL C
    .language_version:
      - 2
      - 0
    .max_flat_workgroup_size: 256
    .name:           _ZL26rocblas_hemvn_kernel_lowerILb1ELi64ELi4ELi33ELi32ELi16Ei19rocblas_complex_numIfEPKPKS1_PS1_EviT6_lT7_lT5_lS8_lS9_lS7_lT8_i
    .private_segment_fixed_size: 0
    .sgpr_count:     54
    .sgpr_spill_count: 0
    .symbol:         _ZL26rocblas_hemvn_kernel_lowerILb1ELi64ELi4ELi33ELi32ELi16Ei19rocblas_complex_numIfEPKPKS1_PS1_EviT6_lT7_lT5_lS8_lS9_lS7_lT8_i.kd
    .uniform_work_group_size: 1
    .uses_dynamic_stack: false
    .vgpr_count:     104
    .vgpr_spill_count: 0
    .wavefront_size: 64
  - .agpr_count:     0
    .args:
      - .offset:         0
        .size:           4
        .value_kind:     by_value
      - .offset:         4
        .size:           8
        .value_kind:     by_value
      - .offset:         16
        .size:           8
        .value_kind:     by_value
      - .offset:         24
        .size:           8
        .value_kind:     by_value
      - .offset:         32
        .size:           8
        .value_kind:     by_value
      - .actual_access:  read_only
        .address_space:  global
        .offset:         40
        .size:           8
        .value_kind:     global_buffer
      - .offset:         48
        .size:           8
        .value_kind:     by_value
      - .offset:         56
        .size:           4
        .value_kind:     by_value
      - .offset:         64
        .size:           8
        .value_kind:     by_value
      - .actual_access:  read_only
        .address_space:  global
        .offset:         72
        .size:           8
        .value_kind:     global_buffer
      - .offset:         80
        .size:           4
        .value_kind:     by_value
      - .offset:         88
        .size:           4
        .value_kind:     hidden_block_count_x
      - .offset:         92
        .size:           4
        .value_kind:     hidden_block_count_y
      - .offset:         96
        .size:           4
        .value_kind:     hidden_block_count_z
      - .offset:         100
        .size:           2
        .value_kind:     hidden_group_size_x
      - .offset:         102
        .size:           2
        .value_kind:     hidden_group_size_y
      - .offset:         104
        .size:           2
        .value_kind:     hidden_group_size_z
      - .offset:         106
        .size:           2
        .value_kind:     hidden_remainder_x
      - .offset:         108
        .size:           2
        .value_kind:     hidden_remainder_y
      - .offset:         110
        .size:           2
        .value_kind:     hidden_remainder_z
      - .offset:         128
        .size:           8
        .value_kind:     hidden_global_offset_x
      - .offset:         136
        .size:           8
        .value_kind:     hidden_global_offset_y
      - .offset:         144
        .size:           8
        .value_kind:     hidden_global_offset_z
      - .offset:         152
        .size:           2
        .value_kind:     hidden_grid_dims
    .group_segment_fixed_size: 0
    .kernarg_segment_align: 8
    .kernarg_segment_size: 344
    .language:       OpenCL C
    .language_version:
      - 2
      - 0
    .max_flat_workgroup_size: 64
    .name:           _ZL36rocblas_hemvn_kernel_lower_block_sumILi64Ei19rocblas_complex_numIfEPKPS1_S1_EviT1_lS5_lT2_lT0_lPT3_i
    .private_segment_fixed_size: 0
    .sgpr_count:     26
    .sgpr_spill_count: 0
    .symbol:         _ZL36rocblas_hemvn_kernel_lower_block_sumILi64Ei19rocblas_complex_numIfEPKPS1_S1_EviT1_lS5_lT2_lT0_lPT3_i.kd
    .uniform_work_group_size: 1
    .uses_dynamic_stack: false
    .vgpr_count:     12
    .vgpr_spill_count: 0
    .wavefront_size: 64
  - .agpr_count:     0
    .args:
      - .offset:         0
        .size:           4
        .value_kind:     by_value
      - .address_space:  global
        .offset:         8
        .size:           8
        .value_kind:     global_buffer
      - .offset:         16
        .size:           8
        .value_kind:     by_value
      - .address_space:  global
        .offset:         24
        .size:           8
        .value_kind:     global_buffer
      - .offset:         32
        .size:           8
        .value_kind:     by_value
      - .offset:         40
        .size:           8
        .value_kind:     by_value
      - .offset:         48
        .size:           8
        .value_kind:     by_value
      - .address_space:  global
        .offset:         56
        .size:           8
        .value_kind:     global_buffer
      - .offset:         64
        .size:           8
        .value_kind:     by_value
      - .offset:         72
        .size:           8
        .value_kind:     by_value
      - .offset:         80
        .size:           8
        .value_kind:     by_value
      - .address_space:  global
        .offset:         88
        .size:           8
        .value_kind:     global_buffer
      - .offset:         96
        .size:           8
        .value_kind:     by_value
      - .address_space:  global
        .offset:         104
        .size:           8
        .value_kind:     global_buffer
      - .offset:         112
        .size:           4
        .value_kind:     by_value
      - .offset:         120
        .size:           4
        .value_kind:     hidden_block_count_x
      - .offset:         124
        .size:           4
        .value_kind:     hidden_block_count_y
      - .offset:         128
        .size:           4
        .value_kind:     hidden_block_count_z
      - .offset:         132
        .size:           2
        .value_kind:     hidden_group_size_x
      - .offset:         134
        .size:           2
        .value_kind:     hidden_group_size_y
      - .offset:         136
        .size:           2
        .value_kind:     hidden_group_size_z
      - .offset:         138
        .size:           2
        .value_kind:     hidden_remainder_x
      - .offset:         140
        .size:           2
        .value_kind:     hidden_remainder_y
      - .offset:         142
        .size:           2
        .value_kind:     hidden_remainder_z
      - .offset:         160
        .size:           8
        .value_kind:     hidden_global_offset_x
      - .offset:         168
        .size:           8
        .value_kind:     hidden_global_offset_y
      - .offset:         176
        .size:           8
        .value_kind:     hidden_global_offset_z
      - .offset:         184
        .size:           2
        .value_kind:     hidden_grid_dims
    .group_segment_fixed_size: 19200
    .kernarg_segment_align: 8
    .kernarg_segment_size: 376
    .language:       OpenCL C
    .language_version:
      - 2
      - 0
    .max_flat_workgroup_size: 256
    .name:           _ZL26rocblas_hemvn_kernel_upperILb1ELi64ELi4ELi33ELi32ELi16ElPK19rocblas_complex_numIdEPKS3_PS1_EviT6_lT7_lT5_lS8_lS9_lS7_lT8_i
    .private_segment_fixed_size: 0
    .sgpr_count:     46
    .sgpr_spill_count: 0
    .symbol:         _ZL26rocblas_hemvn_kernel_upperILb1ELi64ELi4ELi33ELi32ELi16ElPK19rocblas_complex_numIdEPKS3_PS1_EviT6_lT7_lT5_lS8_lS9_lS7_lT8_i.kd
    .uniform_work_group_size: 1
    .uses_dynamic_stack: false
    .vgpr_count:     232
    .vgpr_spill_count: 0
    .wavefront_size: 64
  - .agpr_count:     0
    .args:
      - .offset:         0
        .size:           4
        .value_kind:     by_value
      - .address_space:  global
        .offset:         8
        .size:           8
        .value_kind:     global_buffer
      - .offset:         16
        .size:           8
        .value_kind:     by_value
      - .address_space:  global
        .offset:         24
        .size:           8
        .value_kind:     global_buffer
      - .offset:         32
        .size:           8
        .value_kind:     by_value
      - .actual_access:  read_only
        .address_space:  global
        .offset:         40
        .size:           8
        .value_kind:     global_buffer
      - .offset:         48
        .size:           8
        .value_kind:     by_value
      - .offset:         56
        .size:           8
        .value_kind:     by_value
      - .offset:         64
        .size:           8
        .value_kind:     by_value
      - .address_space:  global
        .offset:         72
        .size:           8
        .value_kind:     global_buffer
      - .offset:         80
        .size:           4
        .value_kind:     by_value
      - .offset:         88
        .size:           4
        .value_kind:     hidden_block_count_x
      - .offset:         92
        .size:           4
        .value_kind:     hidden_block_count_y
      - .offset:         96
        .size:           4
        .value_kind:     hidden_block_count_z
      - .offset:         100
        .size:           2
        .value_kind:     hidden_group_size_x
      - .offset:         102
        .size:           2
        .value_kind:     hidden_group_size_y
      - .offset:         104
        .size:           2
        .value_kind:     hidden_group_size_z
      - .offset:         106
        .size:           2
        .value_kind:     hidden_remainder_x
      - .offset:         108
        .size:           2
        .value_kind:     hidden_remainder_y
      - .offset:         110
        .size:           2
        .value_kind:     hidden_remainder_z
      - .offset:         128
        .size:           8
        .value_kind:     hidden_global_offset_x
      - .offset:         136
        .size:           8
        .value_kind:     hidden_global_offset_y
      - .offset:         144
        .size:           8
        .value_kind:     hidden_global_offset_z
      - .offset:         152
        .size:           2
        .value_kind:     hidden_grid_dims
    .group_segment_fixed_size: 0
    .kernarg_segment_align: 8
    .kernarg_segment_size: 344
    .language:       OpenCL C
    .language_version:
      - 2
      - 0
    .max_flat_workgroup_size: 64
    .name:           _ZL36rocblas_hemvn_kernel_upper_block_sumILi64ElPK19rocblas_complex_numIdEPKPS1_S1_EviT1_lS7_lT2_lT0_lPT3_i
    .private_segment_fixed_size: 0
    .sgpr_count:     36
    .sgpr_spill_count: 0
    .symbol:         _ZL36rocblas_hemvn_kernel_upper_block_sumILi64ElPK19rocblas_complex_numIdEPKPS1_S1_EviT1_lS7_lT2_lT0_lPT3_i.kd
    .uniform_work_group_size: 1
    .uses_dynamic_stack: false
    .vgpr_count:     12
    .vgpr_spill_count: 0
    .wavefront_size: 64
  - .agpr_count:     0
    .args:
      - .offset:         0
        .size:           4
        .value_kind:     by_value
      - .address_space:  global
        .offset:         8
        .size:           8
        .value_kind:     global_buffer
      - .offset:         16
        .size:           8
        .value_kind:     by_value
      - .address_space:  global
        .offset:         24
        .size:           8
        .value_kind:     global_buffer
      - .offset:         32
        .size:           8
        .value_kind:     by_value
      - .offset:         40
        .size:           4
        .value_kind:     by_value
      - .offset:         48
        .size:           8
        .value_kind:     by_value
      - .address_space:  global
        .offset:         56
        .size:           8
        .value_kind:     global_buffer
      - .offset:         64
        .size:           8
        .value_kind:     by_value
      - .offset:         72
        .size:           4
        .value_kind:     by_value
      - .offset:         80
        .size:           8
        .value_kind:     by_value
      - .address_space:  global
        .offset:         88
        .size:           8
        .value_kind:     global_buffer
      - .offset:         96
        .size:           8
        .value_kind:     by_value
      - .address_space:  global
        .offset:         104
        .size:           8
        .value_kind:     global_buffer
      - .offset:         112
        .size:           4
        .value_kind:     by_value
      - .offset:         120
        .size:           4
        .value_kind:     hidden_block_count_x
      - .offset:         124
        .size:           4
        .value_kind:     hidden_block_count_y
      - .offset:         128
        .size:           4
        .value_kind:     hidden_block_count_z
      - .offset:         132
        .size:           2
        .value_kind:     hidden_group_size_x
      - .offset:         134
        .size:           2
        .value_kind:     hidden_group_size_y
      - .offset:         136
        .size:           2
        .value_kind:     hidden_group_size_z
      - .offset:         138
        .size:           2
        .value_kind:     hidden_remainder_x
      - .offset:         140
        .size:           2
        .value_kind:     hidden_remainder_y
      - .offset:         142
        .size:           2
        .value_kind:     hidden_remainder_z
      - .offset:         160
        .size:           8
        .value_kind:     hidden_global_offset_x
      - .offset:         168
        .size:           8
        .value_kind:     hidden_global_offset_y
      - .offset:         176
        .size:           8
        .value_kind:     hidden_global_offset_z
      - .offset:         184
        .size:           2
        .value_kind:     hidden_grid_dims
    .group_segment_fixed_size: 19200
    .kernarg_segment_align: 8
    .kernarg_segment_size: 376
    .language:       OpenCL C
    .language_version:
      - 2
      - 0
    .max_flat_workgroup_size: 256
    .name:           _ZL26rocblas_hemvn_kernel_upperILb1ELi64ELi4ELi33ELi32ELi16EiPK19rocblas_complex_numIdEPKS3_PS1_EviT6_lT7_lT5_lS8_lS9_lS7_lT8_i
    .private_segment_fixed_size: 0
    .sgpr_count:     46
    .sgpr_spill_count: 0
    .symbol:         _ZL26rocblas_hemvn_kernel_upperILb1ELi64ELi4ELi33ELi32ELi16EiPK19rocblas_complex_numIdEPKS3_PS1_EviT6_lT7_lT5_lS8_lS9_lS7_lT8_i.kd
    .uniform_work_group_size: 1
    .uses_dynamic_stack: false
    .vgpr_count:     242
    .vgpr_spill_count: 0
    .wavefront_size: 64
  - .agpr_count:     0
    .args:
      - .offset:         0
        .size:           4
        .value_kind:     by_value
      - .address_space:  global
        .offset:         8
        .size:           8
        .value_kind:     global_buffer
      - .offset:         16
        .size:           8
        .value_kind:     by_value
      - .address_space:  global
        .offset:         24
        .size:           8
        .value_kind:     global_buffer
      - .offset:         32
        .size:           8
        .value_kind:     by_value
      - .actual_access:  read_only
        .address_space:  global
        .offset:         40
        .size:           8
        .value_kind:     global_buffer
      - .offset:         48
        .size:           8
        .value_kind:     by_value
      - .offset:         56
        .size:           4
        .value_kind:     by_value
      - .offset:         64
        .size:           8
        .value_kind:     by_value
      - .address_space:  global
        .offset:         72
        .size:           8
        .value_kind:     global_buffer
      - .offset:         80
        .size:           4
        .value_kind:     by_value
      - .offset:         88
        .size:           4
        .value_kind:     hidden_block_count_x
      - .offset:         92
        .size:           4
        .value_kind:     hidden_block_count_y
      - .offset:         96
        .size:           4
        .value_kind:     hidden_block_count_z
      - .offset:         100
        .size:           2
        .value_kind:     hidden_group_size_x
      - .offset:         102
        .size:           2
        .value_kind:     hidden_group_size_y
      - .offset:         104
        .size:           2
        .value_kind:     hidden_group_size_z
      - .offset:         106
        .size:           2
        .value_kind:     hidden_remainder_x
      - .offset:         108
        .size:           2
        .value_kind:     hidden_remainder_y
      - .offset:         110
        .size:           2
        .value_kind:     hidden_remainder_z
      - .offset:         128
        .size:           8
        .value_kind:     hidden_global_offset_x
      - .offset:         136
        .size:           8
        .value_kind:     hidden_global_offset_y
      - .offset:         144
        .size:           8
        .value_kind:     hidden_global_offset_z
      - .offset:         152
        .size:           2
        .value_kind:     hidden_grid_dims
    .group_segment_fixed_size: 0
    .kernarg_segment_align: 8
    .kernarg_segment_size: 344
    .language:       OpenCL C
    .language_version:
      - 2
      - 0
    .max_flat_workgroup_size: 64
    .name:           _ZL36rocblas_hemvn_kernel_upper_block_sumILi64EiPK19rocblas_complex_numIdEPKPS1_S1_EviT1_lS7_lT2_lT0_lPT3_i
    .private_segment_fixed_size: 0
    .sgpr_count:     34
    .sgpr_spill_count: 0
    .symbol:         _ZL36rocblas_hemvn_kernel_upper_block_sumILi64EiPK19rocblas_complex_numIdEPKPS1_S1_EviT1_lS7_lT2_lT0_lPT3_i.kd
    .uniform_work_group_size: 1
    .uses_dynamic_stack: false
    .vgpr_count:     14
    .vgpr_spill_count: 0
    .wavefront_size: 64
  - .agpr_count:     0
    .args:
      - .offset:         0
        .size:           4
        .value_kind:     by_value
      - .offset:         8
        .size:           16
        .value_kind:     by_value
      - .offset:         24
        .size:           8
        .value_kind:     by_value
      - .address_space:  global
        .offset:         32
        .size:           8
        .value_kind:     global_buffer
      - .offset:         40
        .size:           8
        .value_kind:     by_value
      - .offset:         48
        .size:           8
        .value_kind:     by_value
      - .offset:         56
        .size:           8
        .value_kind:     by_value
      - .address_space:  global
        .offset:         64
        .size:           8
        .value_kind:     global_buffer
      - .offset:         72
        .size:           8
        .value_kind:     by_value
      - .offset:         80
        .size:           8
        .value_kind:     by_value
      - .offset:         88
        .size:           8
        .value_kind:     by_value
      - .offset:         96
        .size:           16
        .value_kind:     by_value
      - .offset:         112
        .size:           8
        .value_kind:     by_value
      - .address_space:  global
        .offset:         120
        .size:           8
        .value_kind:     global_buffer
      - .offset:         128
        .size:           4
        .value_kind:     by_value
      - .offset:         136
        .size:           4
        .value_kind:     hidden_block_count_x
      - .offset:         140
        .size:           4
        .value_kind:     hidden_block_count_y
      - .offset:         144
        .size:           4
        .value_kind:     hidden_block_count_z
      - .offset:         148
        .size:           2
        .value_kind:     hidden_group_size_x
      - .offset:         150
        .size:           2
        .value_kind:     hidden_group_size_y
      - .offset:         152
        .size:           2
        .value_kind:     hidden_group_size_z
      - .offset:         154
        .size:           2
        .value_kind:     hidden_remainder_x
      - .offset:         156
        .size:           2
        .value_kind:     hidden_remainder_y
      - .offset:         158
        .size:           2
        .value_kind:     hidden_remainder_z
      - .offset:         176
        .size:           8
        .value_kind:     hidden_global_offset_x
      - .offset:         184
        .size:           8
        .value_kind:     hidden_global_offset_y
      - .offset:         192
        .size:           8
        .value_kind:     hidden_global_offset_z
      - .offset:         200
        .size:           2
        .value_kind:     hidden_grid_dims
    .group_segment_fixed_size: 19200
    .kernarg_segment_align: 8
    .kernarg_segment_size: 392
    .language:       OpenCL C
    .language_version:
      - 2
      - 0
    .max_flat_workgroup_size: 256
    .name:           _ZL26rocblas_hemvn_kernel_upperILb1ELi64ELi4ELi33ELi32ELi16El19rocblas_complex_numIdEPKPKS1_PS1_EviT6_lT7_lT5_lS8_lS9_lS7_lT8_i
    .private_segment_fixed_size: 0
    .sgpr_count:     46
    .sgpr_spill_count: 0
    .symbol:         _ZL26rocblas_hemvn_kernel_upperILb1ELi64ELi4ELi33ELi32ELi16El19rocblas_complex_numIdEPKPKS1_PS1_EviT6_lT7_lT5_lS8_lS9_lS7_lT8_i.kd
    .uniform_work_group_size: 1
    .uses_dynamic_stack: false
    .vgpr_count:     232
    .vgpr_spill_count: 0
    .wavefront_size: 64
  - .agpr_count:     0
    .args:
      - .offset:         0
        .size:           4
        .value_kind:     by_value
      - .offset:         8
        .size:           16
        .value_kind:     by_value
      - .offset:         24
        .size:           8
        .value_kind:     by_value
      - .offset:         32
        .size:           16
        .value_kind:     by_value
      - .offset:         48
        .size:           8
        .value_kind:     by_value
      - .actual_access:  read_only
        .address_space:  global
        .offset:         56
        .size:           8
        .value_kind:     global_buffer
      - .offset:         64
        .size:           8
        .value_kind:     by_value
      - .offset:         72
        .size:           8
        .value_kind:     by_value
      - .offset:         80
        .size:           8
        .value_kind:     by_value
      - .address_space:  global
        .offset:         88
        .size:           8
        .value_kind:     global_buffer
      - .offset:         96
        .size:           4
        .value_kind:     by_value
      - .offset:         104
        .size:           4
        .value_kind:     hidden_block_count_x
      - .offset:         108
        .size:           4
        .value_kind:     hidden_block_count_y
      - .offset:         112
        .size:           4
        .value_kind:     hidden_block_count_z
      - .offset:         116
        .size:           2
        .value_kind:     hidden_group_size_x
      - .offset:         118
        .size:           2
        .value_kind:     hidden_group_size_y
      - .offset:         120
        .size:           2
        .value_kind:     hidden_group_size_z
      - .offset:         122
        .size:           2
        .value_kind:     hidden_remainder_x
      - .offset:         124
        .size:           2
        .value_kind:     hidden_remainder_y
      - .offset:         126
        .size:           2
        .value_kind:     hidden_remainder_z
      - .offset:         144
        .size:           8
        .value_kind:     hidden_global_offset_x
      - .offset:         152
        .size:           8
        .value_kind:     hidden_global_offset_y
      - .offset:         160
        .size:           8
        .value_kind:     hidden_global_offset_z
      - .offset:         168
        .size:           2
        .value_kind:     hidden_grid_dims
    .group_segment_fixed_size: 0
    .kernarg_segment_align: 8
    .kernarg_segment_size: 360
    .language:       OpenCL C
    .language_version:
      - 2
      - 0
    .max_flat_workgroup_size: 64
    .name:           _ZL36rocblas_hemvn_kernel_upper_block_sumILi64El19rocblas_complex_numIdEPKPS1_S1_EviT1_lS5_lT2_lT0_lPT3_i
    .private_segment_fixed_size: 0
    .sgpr_count:     36
    .sgpr_spill_count: 0
    .symbol:         _ZL36rocblas_hemvn_kernel_upper_block_sumILi64El19rocblas_complex_numIdEPKPS1_S1_EviT1_lS5_lT2_lT0_lPT3_i.kd
    .uniform_work_group_size: 1
    .uses_dynamic_stack: false
    .vgpr_count:     12
    .vgpr_spill_count: 0
    .wavefront_size: 64
  - .agpr_count:     0
    .args:
      - .offset:         0
        .size:           4
        .value_kind:     by_value
      - .offset:         8
        .size:           16
        .value_kind:     by_value
      - .offset:         24
        .size:           8
        .value_kind:     by_value
      - .address_space:  global
        .offset:         32
        .size:           8
        .value_kind:     global_buffer
      - .offset:         40
        .size:           8
        .value_kind:     by_value
      - .offset:         48
        .size:           4
        .value_kind:     by_value
      - .offset:         56
        .size:           8
        .value_kind:     by_value
      - .address_space:  global
        .offset:         64
        .size:           8
        .value_kind:     global_buffer
      - .offset:         72
        .size:           8
        .value_kind:     by_value
      - .offset:         80
        .size:           4
        .value_kind:     by_value
      - .offset:         88
        .size:           8
        .value_kind:     by_value
      - .offset:         96
        .size:           16
        .value_kind:     by_value
      - .offset:         112
        .size:           8
        .value_kind:     by_value
      - .address_space:  global
        .offset:         120
        .size:           8
        .value_kind:     global_buffer
      - .offset:         128
        .size:           4
        .value_kind:     by_value
      - .offset:         136
        .size:           4
        .value_kind:     hidden_block_count_x
      - .offset:         140
        .size:           4
        .value_kind:     hidden_block_count_y
      - .offset:         144
        .size:           4
        .value_kind:     hidden_block_count_z
      - .offset:         148
        .size:           2
        .value_kind:     hidden_group_size_x
      - .offset:         150
        .size:           2
        .value_kind:     hidden_group_size_y
      - .offset:         152
        .size:           2
        .value_kind:     hidden_group_size_z
      - .offset:         154
        .size:           2
        .value_kind:     hidden_remainder_x
      - .offset:         156
        .size:           2
        .value_kind:     hidden_remainder_y
      - .offset:         158
        .size:           2
        .value_kind:     hidden_remainder_z
      - .offset:         176
        .size:           8
        .value_kind:     hidden_global_offset_x
      - .offset:         184
        .size:           8
        .value_kind:     hidden_global_offset_y
      - .offset:         192
        .size:           8
        .value_kind:     hidden_global_offset_z
      - .offset:         200
        .size:           2
        .value_kind:     hidden_grid_dims
    .group_segment_fixed_size: 19200
    .kernarg_segment_align: 8
    .kernarg_segment_size: 392
    .language:       OpenCL C
    .language_version:
      - 2
      - 0
    .max_flat_workgroup_size: 256
    .name:           _ZL26rocblas_hemvn_kernel_upperILb1ELi64ELi4ELi33ELi32ELi16Ei19rocblas_complex_numIdEPKPKS1_PS1_EviT6_lT7_lT5_lS8_lS9_lS7_lT8_i
    .private_segment_fixed_size: 0
    .sgpr_count:     46
    .sgpr_spill_count: 0
    .symbol:         _ZL26rocblas_hemvn_kernel_upperILb1ELi64ELi4ELi33ELi32ELi16Ei19rocblas_complex_numIdEPKPKS1_PS1_EviT6_lT7_lT5_lS8_lS9_lS7_lT8_i.kd
    .uniform_work_group_size: 1
    .uses_dynamic_stack: false
    .vgpr_count:     242
    .vgpr_spill_count: 0
    .wavefront_size: 64
  - .agpr_count:     0
    .args:
      - .offset:         0
        .size:           4
        .value_kind:     by_value
      - .offset:         8
        .size:           16
        .value_kind:     by_value
      - .offset:         24
        .size:           8
        .value_kind:     by_value
      - .offset:         32
        .size:           16
        .value_kind:     by_value
      - .offset:         48
        .size:           8
        .value_kind:     by_value
      - .actual_access:  read_only
        .address_space:  global
        .offset:         56
        .size:           8
        .value_kind:     global_buffer
      - .offset:         64
        .size:           8
        .value_kind:     by_value
      - .offset:         72
        .size:           4
        .value_kind:     by_value
      - .offset:         80
        .size:           8
        .value_kind:     by_value
      - .address_space:  global
        .offset:         88
        .size:           8
        .value_kind:     global_buffer
      - .offset:         96
        .size:           4
        .value_kind:     by_value
      - .offset:         104
        .size:           4
        .value_kind:     hidden_block_count_x
      - .offset:         108
        .size:           4
        .value_kind:     hidden_block_count_y
      - .offset:         112
        .size:           4
        .value_kind:     hidden_block_count_z
      - .offset:         116
        .size:           2
        .value_kind:     hidden_group_size_x
      - .offset:         118
        .size:           2
        .value_kind:     hidden_group_size_y
      - .offset:         120
        .size:           2
        .value_kind:     hidden_group_size_z
      - .offset:         122
        .size:           2
        .value_kind:     hidden_remainder_x
      - .offset:         124
        .size:           2
        .value_kind:     hidden_remainder_y
      - .offset:         126
        .size:           2
        .value_kind:     hidden_remainder_z
      - .offset:         144
        .size:           8
        .value_kind:     hidden_global_offset_x
      - .offset:         152
        .size:           8
        .value_kind:     hidden_global_offset_y
      - .offset:         160
        .size:           8
        .value_kind:     hidden_global_offset_z
      - .offset:         168
        .size:           2
        .value_kind:     hidden_grid_dims
    .group_segment_fixed_size: 0
    .kernarg_segment_align: 8
    .kernarg_segment_size: 360
    .language:       OpenCL C
    .language_version:
      - 2
      - 0
    .max_flat_workgroup_size: 64
    .name:           _ZL36rocblas_hemvn_kernel_upper_block_sumILi64Ei19rocblas_complex_numIdEPKPS1_S1_EviT1_lS5_lT2_lT0_lPT3_i
    .private_segment_fixed_size: 0
    .sgpr_count:     32
    .sgpr_spill_count: 0
    .symbol:         _ZL36rocblas_hemvn_kernel_upper_block_sumILi64Ei19rocblas_complex_numIdEPKPS1_S1_EviT1_lS5_lT2_lT0_lPT3_i.kd
    .uniform_work_group_size: 1
    .uses_dynamic_stack: false
    .vgpr_count:     14
    .vgpr_spill_count: 0
    .wavefront_size: 64
  - .agpr_count:     0
    .args:
      - .offset:         0
        .size:           4
        .value_kind:     by_value
      - .address_space:  global
        .offset:         8
        .size:           8
        .value_kind:     global_buffer
      - .offset:         16
        .size:           8
        .value_kind:     by_value
      - .address_space:  global
        .offset:         24
        .size:           8
        .value_kind:     global_buffer
      - .offset:         32
        .size:           8
        .value_kind:     by_value
      - .offset:         40
        .size:           8
        .value_kind:     by_value
      - .offset:         48
        .size:           8
        .value_kind:     by_value
      - .address_space:  global
        .offset:         56
        .size:           8
        .value_kind:     global_buffer
      - .offset:         64
        .size:           8
        .value_kind:     by_value
      - .offset:         72
        .size:           8
        .value_kind:     by_value
      - .offset:         80
        .size:           8
        .value_kind:     by_value
      - .address_space:  global
        .offset:         88
        .size:           8
        .value_kind:     global_buffer
      - .offset:         96
        .size:           8
        .value_kind:     by_value
      - .address_space:  global
        .offset:         104
        .size:           8
        .value_kind:     global_buffer
      - .offset:         112
        .size:           4
        .value_kind:     by_value
      - .offset:         120
        .size:           4
        .value_kind:     hidden_block_count_x
      - .offset:         124
        .size:           4
        .value_kind:     hidden_block_count_y
      - .offset:         128
        .size:           4
        .value_kind:     hidden_block_count_z
      - .offset:         132
        .size:           2
        .value_kind:     hidden_group_size_x
      - .offset:         134
        .size:           2
        .value_kind:     hidden_group_size_y
      - .offset:         136
        .size:           2
        .value_kind:     hidden_group_size_z
      - .offset:         138
        .size:           2
        .value_kind:     hidden_remainder_x
      - .offset:         140
        .size:           2
        .value_kind:     hidden_remainder_y
      - .offset:         142
        .size:           2
        .value_kind:     hidden_remainder_z
      - .offset:         160
        .size:           8
        .value_kind:     hidden_global_offset_x
      - .offset:         168
        .size:           8
        .value_kind:     hidden_global_offset_y
      - .offset:         176
        .size:           8
        .value_kind:     hidden_global_offset_z
      - .offset:         184
        .size:           2
        .value_kind:     hidden_grid_dims
    .group_segment_fixed_size: 19200
    .kernarg_segment_align: 8
    .kernarg_segment_size: 376
    .language:       OpenCL C
    .language_version:
      - 2
      - 0
    .max_flat_workgroup_size: 256
    .name:           _ZL26rocblas_hemvn_kernel_lowerILb1ELi64ELi4ELi33ELi32ELi16ElPK19rocblas_complex_numIdEPKS3_PS1_EviT6_lT7_lT5_lS8_lS9_lS7_lT8_i
    .private_segment_fixed_size: 0
    .sgpr_count:     48
    .sgpr_spill_count: 0
    .symbol:         _ZL26rocblas_hemvn_kernel_lowerILb1ELi64ELi4ELi33ELi32ELi16ElPK19rocblas_complex_numIdEPKS3_PS1_EviT6_lT7_lT5_lS8_lS9_lS7_lT8_i.kd
    .uniform_work_group_size: 1
    .uses_dynamic_stack: false
    .vgpr_count:     188
    .vgpr_spill_count: 0
    .wavefront_size: 64
  - .agpr_count:     0
    .args:
      - .offset:         0
        .size:           4
        .value_kind:     by_value
      - .address_space:  global
        .offset:         8
        .size:           8
        .value_kind:     global_buffer
      - .offset:         16
        .size:           8
        .value_kind:     by_value
      - .address_space:  global
        .offset:         24
        .size:           8
        .value_kind:     global_buffer
      - .offset:         32
        .size:           8
        .value_kind:     by_value
      - .actual_access:  read_only
        .address_space:  global
        .offset:         40
        .size:           8
        .value_kind:     global_buffer
      - .offset:         48
        .size:           8
        .value_kind:     by_value
      - .offset:         56
        .size:           8
        .value_kind:     by_value
      - .offset:         64
        .size:           8
        .value_kind:     by_value
      - .actual_access:  read_only
        .address_space:  global
        .offset:         72
        .size:           8
        .value_kind:     global_buffer
      - .offset:         80
        .size:           4
        .value_kind:     by_value
      - .offset:         88
        .size:           4
        .value_kind:     hidden_block_count_x
      - .offset:         92
        .size:           4
        .value_kind:     hidden_block_count_y
      - .offset:         96
        .size:           4
        .value_kind:     hidden_block_count_z
      - .offset:         100
        .size:           2
        .value_kind:     hidden_group_size_x
      - .offset:         102
        .size:           2
        .value_kind:     hidden_group_size_y
      - .offset:         104
        .size:           2
        .value_kind:     hidden_group_size_z
      - .offset:         106
        .size:           2
        .value_kind:     hidden_remainder_x
      - .offset:         108
        .size:           2
        .value_kind:     hidden_remainder_y
      - .offset:         110
        .size:           2
        .value_kind:     hidden_remainder_z
      - .offset:         128
        .size:           8
        .value_kind:     hidden_global_offset_x
      - .offset:         136
        .size:           8
        .value_kind:     hidden_global_offset_y
      - .offset:         144
        .size:           8
        .value_kind:     hidden_global_offset_z
      - .offset:         152
        .size:           2
        .value_kind:     hidden_grid_dims
    .group_segment_fixed_size: 0
    .kernarg_segment_align: 8
    .kernarg_segment_size: 344
    .language:       OpenCL C
    .language_version:
      - 2
      - 0
    .max_flat_workgroup_size: 64
    .name:           _ZL36rocblas_hemvn_kernel_lower_block_sumILi64ElPK19rocblas_complex_numIdEPKPS1_S1_EviT1_lS7_lT2_lT0_lPT3_i
    .private_segment_fixed_size: 0
    .sgpr_count:     36
    .sgpr_spill_count: 0
    .symbol:         _ZL36rocblas_hemvn_kernel_lower_block_sumILi64ElPK19rocblas_complex_numIdEPKPS1_S1_EviT1_lS7_lT2_lT0_lPT3_i.kd
    .uniform_work_group_size: 1
    .uses_dynamic_stack: false
    .vgpr_count:     12
    .vgpr_spill_count: 0
    .wavefront_size: 64
  - .agpr_count:     0
    .args:
      - .offset:         0
        .size:           4
        .value_kind:     by_value
      - .address_space:  global
        .offset:         8
        .size:           8
        .value_kind:     global_buffer
      - .offset:         16
        .size:           8
        .value_kind:     by_value
      - .address_space:  global
        .offset:         24
        .size:           8
        .value_kind:     global_buffer
      - .offset:         32
        .size:           8
        .value_kind:     by_value
      - .offset:         40
        .size:           4
        .value_kind:     by_value
      - .offset:         48
        .size:           8
        .value_kind:     by_value
      - .address_space:  global
        .offset:         56
        .size:           8
        .value_kind:     global_buffer
      - .offset:         64
        .size:           8
        .value_kind:     by_value
      - .offset:         72
        .size:           4
        .value_kind:     by_value
      - .offset:         80
        .size:           8
        .value_kind:     by_value
      - .address_space:  global
        .offset:         88
        .size:           8
        .value_kind:     global_buffer
      - .offset:         96
        .size:           8
        .value_kind:     by_value
      - .address_space:  global
        .offset:         104
        .size:           8
        .value_kind:     global_buffer
      - .offset:         112
        .size:           4
        .value_kind:     by_value
      - .offset:         120
        .size:           4
        .value_kind:     hidden_block_count_x
      - .offset:         124
        .size:           4
        .value_kind:     hidden_block_count_y
      - .offset:         128
        .size:           4
        .value_kind:     hidden_block_count_z
      - .offset:         132
        .size:           2
        .value_kind:     hidden_group_size_x
      - .offset:         134
        .size:           2
        .value_kind:     hidden_group_size_y
      - .offset:         136
        .size:           2
        .value_kind:     hidden_group_size_z
      - .offset:         138
        .size:           2
        .value_kind:     hidden_remainder_x
      - .offset:         140
        .size:           2
        .value_kind:     hidden_remainder_y
      - .offset:         142
        .size:           2
        .value_kind:     hidden_remainder_z
      - .offset:         160
        .size:           8
        .value_kind:     hidden_global_offset_x
      - .offset:         168
        .size:           8
        .value_kind:     hidden_global_offset_y
      - .offset:         176
        .size:           8
        .value_kind:     hidden_global_offset_z
      - .offset:         184
        .size:           2
        .value_kind:     hidden_grid_dims
    .group_segment_fixed_size: 19200
    .kernarg_segment_align: 8
    .kernarg_segment_size: 376
    .language:       OpenCL C
    .language_version:
      - 2
      - 0
    .max_flat_workgroup_size: 256
    .name:           _ZL26rocblas_hemvn_kernel_lowerILb1ELi64ELi4ELi33ELi32ELi16EiPK19rocblas_complex_numIdEPKS3_PS1_EviT6_lT7_lT5_lS8_lS9_lS7_lT8_i
    .private_segment_fixed_size: 0
    .sgpr_count:     47
    .sgpr_spill_count: 0
    .symbol:         _ZL26rocblas_hemvn_kernel_lowerILb1ELi64ELi4ELi33ELi32ELi16EiPK19rocblas_complex_numIdEPKS3_PS1_EviT6_lT7_lT5_lS8_lS9_lS7_lT8_i.kd
    .uniform_work_group_size: 1
    .uses_dynamic_stack: false
    .vgpr_count:     186
    .vgpr_spill_count: 0
    .wavefront_size: 64
  - .agpr_count:     0
    .args:
      - .offset:         0
        .size:           4
        .value_kind:     by_value
      - .address_space:  global
        .offset:         8
        .size:           8
        .value_kind:     global_buffer
      - .offset:         16
        .size:           8
        .value_kind:     by_value
      - .address_space:  global
        .offset:         24
        .size:           8
        .value_kind:     global_buffer
      - .offset:         32
        .size:           8
        .value_kind:     by_value
      - .actual_access:  read_only
        .address_space:  global
        .offset:         40
        .size:           8
        .value_kind:     global_buffer
      - .offset:         48
        .size:           8
        .value_kind:     by_value
      - .offset:         56
        .size:           4
        .value_kind:     by_value
      - .offset:         64
        .size:           8
        .value_kind:     by_value
      - .actual_access:  read_only
        .address_space:  global
        .offset:         72
        .size:           8
        .value_kind:     global_buffer
      - .offset:         80
        .size:           4
        .value_kind:     by_value
      - .offset:         88
        .size:           4
        .value_kind:     hidden_block_count_x
      - .offset:         92
        .size:           4
        .value_kind:     hidden_block_count_y
      - .offset:         96
        .size:           4
        .value_kind:     hidden_block_count_z
      - .offset:         100
        .size:           2
        .value_kind:     hidden_group_size_x
      - .offset:         102
        .size:           2
        .value_kind:     hidden_group_size_y
      - .offset:         104
        .size:           2
        .value_kind:     hidden_group_size_z
      - .offset:         106
        .size:           2
        .value_kind:     hidden_remainder_x
      - .offset:         108
        .size:           2
        .value_kind:     hidden_remainder_y
      - .offset:         110
        .size:           2
        .value_kind:     hidden_remainder_z
      - .offset:         128
        .size:           8
        .value_kind:     hidden_global_offset_x
      - .offset:         136
        .size:           8
        .value_kind:     hidden_global_offset_y
      - .offset:         144
        .size:           8
        .value_kind:     hidden_global_offset_z
      - .offset:         152
        .size:           2
        .value_kind:     hidden_grid_dims
    .group_segment_fixed_size: 0
    .kernarg_segment_align: 8
    .kernarg_segment_size: 344
    .language:       OpenCL C
    .language_version:
      - 2
      - 0
    .max_flat_workgroup_size: 64
    .name:           _ZL36rocblas_hemvn_kernel_lower_block_sumILi64EiPK19rocblas_complex_numIdEPKPS1_S1_EviT1_lS7_lT2_lT0_lPT3_i
    .private_segment_fixed_size: 0
    .sgpr_count:     34
    .sgpr_spill_count: 0
    .symbol:         _ZL36rocblas_hemvn_kernel_lower_block_sumILi64EiPK19rocblas_complex_numIdEPKPS1_S1_EviT1_lS7_lT2_lT0_lPT3_i.kd
    .uniform_work_group_size: 1
    .uses_dynamic_stack: false
    .vgpr_count:     14
    .vgpr_spill_count: 0
    .wavefront_size: 64
  - .agpr_count:     0
    .args:
      - .offset:         0
        .size:           4
        .value_kind:     by_value
      - .offset:         8
        .size:           16
        .value_kind:     by_value
      - .offset:         24
        .size:           8
        .value_kind:     by_value
      - .address_space:  global
        .offset:         32
        .size:           8
        .value_kind:     global_buffer
      - .offset:         40
        .size:           8
        .value_kind:     by_value
      - .offset:         48
        .size:           8
        .value_kind:     by_value
      - .offset:         56
        .size:           8
        .value_kind:     by_value
      - .address_space:  global
        .offset:         64
        .size:           8
        .value_kind:     global_buffer
      - .offset:         72
        .size:           8
        .value_kind:     by_value
      - .offset:         80
        .size:           8
        .value_kind:     by_value
      - .offset:         88
        .size:           8
        .value_kind:     by_value
      - .offset:         96
        .size:           16
        .value_kind:     by_value
      - .offset:         112
        .size:           8
        .value_kind:     by_value
      - .address_space:  global
        .offset:         120
        .size:           8
        .value_kind:     global_buffer
      - .offset:         128
        .size:           4
        .value_kind:     by_value
      - .offset:         136
        .size:           4
        .value_kind:     hidden_block_count_x
      - .offset:         140
        .size:           4
        .value_kind:     hidden_block_count_y
      - .offset:         144
        .size:           4
        .value_kind:     hidden_block_count_z
      - .offset:         148
        .size:           2
        .value_kind:     hidden_group_size_x
      - .offset:         150
        .size:           2
        .value_kind:     hidden_group_size_y
      - .offset:         152
        .size:           2
        .value_kind:     hidden_group_size_z
      - .offset:         154
        .size:           2
        .value_kind:     hidden_remainder_x
      - .offset:         156
        .size:           2
        .value_kind:     hidden_remainder_y
      - .offset:         158
        .size:           2
        .value_kind:     hidden_remainder_z
      - .offset:         176
        .size:           8
        .value_kind:     hidden_global_offset_x
      - .offset:         184
        .size:           8
        .value_kind:     hidden_global_offset_y
      - .offset:         192
        .size:           8
        .value_kind:     hidden_global_offset_z
      - .offset:         200
        .size:           2
        .value_kind:     hidden_grid_dims
    .group_segment_fixed_size: 19200
    .kernarg_segment_align: 8
    .kernarg_segment_size: 392
    .language:       OpenCL C
    .language_version:
      - 2
      - 0
    .max_flat_workgroup_size: 256
    .name:           _ZL26rocblas_hemvn_kernel_lowerILb1ELi64ELi4ELi33ELi32ELi16El19rocblas_complex_numIdEPKPKS1_PS1_EviT6_lT7_lT5_lS8_lS9_lS7_lT8_i
    .private_segment_fixed_size: 0
    .sgpr_count:     48
    .sgpr_spill_count: 0
    .symbol:         _ZL26rocblas_hemvn_kernel_lowerILb1ELi64ELi4ELi33ELi32ELi16El19rocblas_complex_numIdEPKPKS1_PS1_EviT6_lT7_lT5_lS8_lS9_lS7_lT8_i.kd
    .uniform_work_group_size: 1
    .uses_dynamic_stack: false
    .vgpr_count:     188
    .vgpr_spill_count: 0
    .wavefront_size: 64
  - .agpr_count:     0
    .args:
      - .offset:         0
        .size:           4
        .value_kind:     by_value
      - .offset:         8
        .size:           16
        .value_kind:     by_value
      - .offset:         24
        .size:           8
        .value_kind:     by_value
      - .offset:         32
        .size:           16
        .value_kind:     by_value
      - .offset:         48
        .size:           8
        .value_kind:     by_value
      - .actual_access:  read_only
        .address_space:  global
        .offset:         56
        .size:           8
        .value_kind:     global_buffer
      - .offset:         64
        .size:           8
        .value_kind:     by_value
      - .offset:         72
        .size:           8
        .value_kind:     by_value
      - .offset:         80
        .size:           8
        .value_kind:     by_value
      - .actual_access:  read_only
        .address_space:  global
        .offset:         88
        .size:           8
        .value_kind:     global_buffer
      - .offset:         96
        .size:           4
        .value_kind:     by_value
      - .offset:         104
        .size:           4
        .value_kind:     hidden_block_count_x
      - .offset:         108
        .size:           4
        .value_kind:     hidden_block_count_y
      - .offset:         112
        .size:           4
        .value_kind:     hidden_block_count_z
      - .offset:         116
        .size:           2
        .value_kind:     hidden_group_size_x
      - .offset:         118
        .size:           2
        .value_kind:     hidden_group_size_y
      - .offset:         120
        .size:           2
        .value_kind:     hidden_group_size_z
      - .offset:         122
        .size:           2
        .value_kind:     hidden_remainder_x
      - .offset:         124
        .size:           2
        .value_kind:     hidden_remainder_y
      - .offset:         126
        .size:           2
        .value_kind:     hidden_remainder_z
      - .offset:         144
        .size:           8
        .value_kind:     hidden_global_offset_x
      - .offset:         152
        .size:           8
        .value_kind:     hidden_global_offset_y
      - .offset:         160
        .size:           8
        .value_kind:     hidden_global_offset_z
      - .offset:         168
        .size:           2
        .value_kind:     hidden_grid_dims
    .group_segment_fixed_size: 0
    .kernarg_segment_align: 8
    .kernarg_segment_size: 360
    .language:       OpenCL C
    .language_version:
      - 2
      - 0
    .max_flat_workgroup_size: 64
    .name:           _ZL36rocblas_hemvn_kernel_lower_block_sumILi64El19rocblas_complex_numIdEPKPS1_S1_EviT1_lS5_lT2_lT0_lPT3_i
    .private_segment_fixed_size: 0
    .sgpr_count:     36
    .sgpr_spill_count: 0
    .symbol:         _ZL36rocblas_hemvn_kernel_lower_block_sumILi64El19rocblas_complex_numIdEPKPS1_S1_EviT1_lS5_lT2_lT0_lPT3_i.kd
    .uniform_work_group_size: 1
    .uses_dynamic_stack: false
    .vgpr_count:     12
    .vgpr_spill_count: 0
    .wavefront_size: 64
  - .agpr_count:     0
    .args:
      - .offset:         0
        .size:           4
        .value_kind:     by_value
      - .offset:         8
        .size:           16
        .value_kind:     by_value
      - .offset:         24
        .size:           8
        .value_kind:     by_value
      - .address_space:  global
        .offset:         32
        .size:           8
        .value_kind:     global_buffer
      - .offset:         40
        .size:           8
        .value_kind:     by_value
      - .offset:         48
        .size:           4
        .value_kind:     by_value
      - .offset:         56
        .size:           8
        .value_kind:     by_value
      - .address_space:  global
        .offset:         64
        .size:           8
        .value_kind:     global_buffer
      - .offset:         72
        .size:           8
        .value_kind:     by_value
      - .offset:         80
        .size:           4
        .value_kind:     by_value
      - .offset:         88
        .size:           8
        .value_kind:     by_value
      - .offset:         96
        .size:           16
        .value_kind:     by_value
      - .offset:         112
        .size:           8
        .value_kind:     by_value
      - .address_space:  global
        .offset:         120
        .size:           8
        .value_kind:     global_buffer
      - .offset:         128
        .size:           4
        .value_kind:     by_value
      - .offset:         136
        .size:           4
        .value_kind:     hidden_block_count_x
      - .offset:         140
        .size:           4
        .value_kind:     hidden_block_count_y
      - .offset:         144
        .size:           4
        .value_kind:     hidden_block_count_z
      - .offset:         148
        .size:           2
        .value_kind:     hidden_group_size_x
      - .offset:         150
        .size:           2
        .value_kind:     hidden_group_size_y
      - .offset:         152
        .size:           2
        .value_kind:     hidden_group_size_z
      - .offset:         154
        .size:           2
        .value_kind:     hidden_remainder_x
      - .offset:         156
        .size:           2
        .value_kind:     hidden_remainder_y
      - .offset:         158
        .size:           2
        .value_kind:     hidden_remainder_z
      - .offset:         176
        .size:           8
        .value_kind:     hidden_global_offset_x
      - .offset:         184
        .size:           8
        .value_kind:     hidden_global_offset_y
      - .offset:         192
        .size:           8
        .value_kind:     hidden_global_offset_z
      - .offset:         200
        .size:           2
        .value_kind:     hidden_grid_dims
    .group_segment_fixed_size: 19200
    .kernarg_segment_align: 8
    .kernarg_segment_size: 392
    .language:       OpenCL C
    .language_version:
      - 2
      - 0
    .max_flat_workgroup_size: 256
    .name:           _ZL26rocblas_hemvn_kernel_lowerILb1ELi64ELi4ELi33ELi32ELi16Ei19rocblas_complex_numIdEPKPKS1_PS1_EviT6_lT7_lT5_lS8_lS9_lS7_lT8_i
    .private_segment_fixed_size: 0
    .sgpr_count:     47
    .sgpr_spill_count: 0
    .symbol:         _ZL26rocblas_hemvn_kernel_lowerILb1ELi64ELi4ELi33ELi32ELi16Ei19rocblas_complex_numIdEPKPKS1_PS1_EviT6_lT7_lT5_lS8_lS9_lS7_lT8_i.kd
    .uniform_work_group_size: 1
    .uses_dynamic_stack: false
    .vgpr_count:     186
    .vgpr_spill_count: 0
    .wavefront_size: 64
  - .agpr_count:     0
    .args:
      - .offset:         0
        .size:           4
        .value_kind:     by_value
      - .offset:         8
        .size:           16
        .value_kind:     by_value
      - .offset:         24
        .size:           8
        .value_kind:     by_value
      - .offset:         32
        .size:           16
        .value_kind:     by_value
      - .offset:         48
        .size:           8
        .value_kind:     by_value
      - .actual_access:  read_only
        .address_space:  global
        .offset:         56
        .size:           8
        .value_kind:     global_buffer
      - .offset:         64
        .size:           8
        .value_kind:     by_value
      - .offset:         72
        .size:           4
        .value_kind:     by_value
      - .offset:         80
        .size:           8
        .value_kind:     by_value
      - .actual_access:  read_only
        .address_space:  global
        .offset:         88
        .size:           8
        .value_kind:     global_buffer
      - .offset:         96
        .size:           4
        .value_kind:     by_value
      - .offset:         104
        .size:           4
        .value_kind:     hidden_block_count_x
      - .offset:         108
        .size:           4
        .value_kind:     hidden_block_count_y
      - .offset:         112
        .size:           4
        .value_kind:     hidden_block_count_z
      - .offset:         116
        .size:           2
        .value_kind:     hidden_group_size_x
      - .offset:         118
        .size:           2
        .value_kind:     hidden_group_size_y
      - .offset:         120
        .size:           2
        .value_kind:     hidden_group_size_z
      - .offset:         122
        .size:           2
        .value_kind:     hidden_remainder_x
      - .offset:         124
        .size:           2
        .value_kind:     hidden_remainder_y
      - .offset:         126
        .size:           2
        .value_kind:     hidden_remainder_z
      - .offset:         144
        .size:           8
        .value_kind:     hidden_global_offset_x
      - .offset:         152
        .size:           8
        .value_kind:     hidden_global_offset_y
      - .offset:         160
        .size:           8
        .value_kind:     hidden_global_offset_z
      - .offset:         168
        .size:           2
        .value_kind:     hidden_grid_dims
    .group_segment_fixed_size: 0
    .kernarg_segment_align: 8
    .kernarg_segment_size: 360
    .language:       OpenCL C
    .language_version:
      - 2
      - 0
    .max_flat_workgroup_size: 64
    .name:           _ZL36rocblas_hemvn_kernel_lower_block_sumILi64Ei19rocblas_complex_numIdEPKPS1_S1_EviT1_lS5_lT2_lT0_lPT3_i
    .private_segment_fixed_size: 0
    .sgpr_count:     32
    .sgpr_spill_count: 0
    .symbol:         _ZL36rocblas_hemvn_kernel_lower_block_sumILi64Ei19rocblas_complex_numIdEPKPS1_S1_EviT1_lS5_lT2_lT0_lPT3_i.kd
    .uniform_work_group_size: 1
    .uses_dynamic_stack: false
    .vgpr_count:     14
    .vgpr_spill_count: 0
    .wavefront_size: 64
  - .agpr_count:     0
    .args:
      - .offset:         0
        .size:           1
        .value_kind:     by_value
      - .offset:         4
        .size:           4
        .value_kind:     by_value
      - .offset:         8
        .size:           8
        .value_kind:     by_value
      - .offset:         16
        .size:           8
        .value_kind:     by_value
      - .address_space:  global
        .offset:         24
        .size:           8
        .value_kind:     global_buffer
      - .offset:         32
        .size:           8
        .value_kind:     by_value
      - .offset:         40
        .size:           8
        .value_kind:     by_value
      - .offset:         48
        .size:           8
        .value_kind:     by_value
      - .address_space:  global
        .offset:         56
        .size:           8
        .value_kind:     global_buffer
      - .offset:         64
        .size:           8
        .value_kind:     by_value
      - .offset:         72
        .size:           8
        .value_kind:     by_value
      - .offset:         80
        .size:           8
        .value_kind:     by_value
      - .offset:         88
        .size:           8
        .value_kind:     by_value
      - .offset:         96
        .size:           8
        .value_kind:     by_value
      - .address_space:  global
        .offset:         104
        .size:           8
        .value_kind:     global_buffer
      - .offset:         112
        .size:           8
        .value_kind:     by_value
      - .offset:         120
        .size:           8
        .value_kind:     by_value
      - .offset:         128
        .size:           8
        .value_kind:     by_value
      - .offset:         136
        .size:           4
        .value_kind:     by_value
    .group_segment_fixed_size: 5248
    .kernarg_segment_align: 8
    .kernarg_segment_size: 140
    .language:       OpenCL C
    .language_version:
      - 2
      - 0
    .max_flat_workgroup_size: 128
    .name:           _ZL50rocblas_symv_kernel_upper_double_buffered_diagonalILi32ELi4E24rocblas_internal_val_ptrIfEPKfPfEvbiT1_lT2_lllS6_lllS5_lT3_llli
    .private_segment_fixed_size: 0
    .sgpr_count:     40
    .sgpr_spill_count: 0
    .symbol:         _ZL50rocblas_symv_kernel_upper_double_buffered_diagonalILi32ELi4E24rocblas_internal_val_ptrIfEPKfPfEvbiT1_lT2_lllS6_lllS5_lT3_llli.kd
    .uniform_work_group_size: 1
    .uses_dynamic_stack: false
    .vgpr_count:     19
    .vgpr_spill_count: 0
    .wavefront_size: 64
  - .agpr_count:     0
    .args:
      - .offset:         0
        .size:           1
        .value_kind:     by_value
      - .offset:         4
        .size:           4
        .value_kind:     by_value
      - .offset:         8
        .size:           8
        .value_kind:     by_value
      - .offset:         16
        .size:           8
        .value_kind:     by_value
      - .address_space:  global
        .offset:         24
        .size:           8
        .value_kind:     global_buffer
      - .offset:         32
        .size:           8
        .value_kind:     by_value
      - .offset:         40
        .size:           8
        .value_kind:     by_value
      - .offset:         48
        .size:           8
        .value_kind:     by_value
      - .address_space:  global
        .offset:         56
        .size:           8
        .value_kind:     global_buffer
      - .offset:         64
        .size:           8
        .value_kind:     by_value
      - .offset:         72
        .size:           8
        .value_kind:     by_value
      - .offset:         80
        .size:           8
        .value_kind:     by_value
      - .address_space:  global
        .offset:         88
        .size:           8
        .value_kind:     global_buffer
      - .offset:         96
        .size:           8
        .value_kind:     by_value
      - .offset:         104
        .size:           8
        .value_kind:     by_value
      - .offset:         112
        .size:           8
        .value_kind:     by_value
      - .offset:         120
        .size:           4
        .value_kind:     by_value
      - .offset:         128
        .size:           4
        .value_kind:     hidden_block_count_x
      - .offset:         132
        .size:           4
        .value_kind:     hidden_block_count_y
      - .offset:         136
        .size:           4
        .value_kind:     hidden_block_count_z
      - .offset:         140
        .size:           2
        .value_kind:     hidden_group_size_x
      - .offset:         142
        .size:           2
        .value_kind:     hidden_group_size_y
      - .offset:         144
        .size:           2
        .value_kind:     hidden_group_size_z
      - .offset:         146
        .size:           2
        .value_kind:     hidden_remainder_x
      - .offset:         148
        .size:           2
        .value_kind:     hidden_remainder_y
      - .offset:         150
        .size:           2
        .value_kind:     hidden_remainder_z
      - .offset:         168
        .size:           8
        .value_kind:     hidden_global_offset_x
      - .offset:         176
        .size:           8
        .value_kind:     hidden_global_offset_y
      - .offset:         184
        .size:           8
        .value_kind:     hidden_global_offset_z
      - .offset:         192
        .size:           2
        .value_kind:     hidden_grid_dims
    .group_segment_fixed_size: 3200
    .kernarg_segment_align: 8
    .kernarg_segment_size: 384
    .language:       OpenCL C
    .language_version:
      - 2
      - 0
    .max_flat_workgroup_size: 128
    .name:           _ZL54rocblas_symv_kernel_upper_double_buffered_non_diagonalILi32ELi4ELi4E24rocblas_internal_val_ptrIfEPKfPfEvbiT2_lT3_lllS6_lllT4_llli
    .private_segment_fixed_size: 0
    .sgpr_count:     49
    .sgpr_spill_count: 0
    .symbol:         _ZL54rocblas_symv_kernel_upper_double_buffered_non_diagonalILi32ELi4ELi4E24rocblas_internal_val_ptrIfEPKfPfEvbiT2_lT3_lllS6_lllT4_llli.kd
    .uniform_work_group_size: 1
    .uses_dynamic_stack: false
    .vgpr_count:     52
    .vgpr_spill_count: 0
    .wavefront_size: 64
  - .agpr_count:     0
    .args:
      - .offset:         0
        .size:           1
        .value_kind:     by_value
      - .offset:         4
        .size:           4
        .value_kind:     by_value
      - .offset:         8
        .size:           8
        .value_kind:     by_value
      - .offset:         16
        .size:           8
        .value_kind:     by_value
      - .address_space:  global
        .offset:         24
        .size:           8
        .value_kind:     global_buffer
      - .offset:         32
        .size:           8
        .value_kind:     by_value
      - .offset:         40
        .size:           8
        .value_kind:     by_value
      - .offset:         48
        .size:           8
        .value_kind:     by_value
      - .address_space:  global
        .offset:         56
        .size:           8
        .value_kind:     global_buffer
      - .offset:         64
        .size:           8
        .value_kind:     by_value
      - .offset:         72
        .size:           8
        .value_kind:     by_value
      - .offset:         80
        .size:           8
        .value_kind:     by_value
      - .offset:         88
        .size:           8
        .value_kind:     by_value
      - .offset:         96
        .size:           8
        .value_kind:     by_value
      - .address_space:  global
        .offset:         104
        .size:           8
        .value_kind:     global_buffer
      - .offset:         112
        .size:           8
        .value_kind:     by_value
      - .offset:         120
        .size:           8
        .value_kind:     by_value
      - .offset:         128
        .size:           8
        .value_kind:     by_value
      - .offset:         136
        .size:           4
        .value_kind:     by_value
      - .offset:         140
        .size:           4
        .value_kind:     by_value
      - .offset:         144
        .size:           4
        .value_kind:     hidden_block_count_x
      - .offset:         148
        .size:           4
        .value_kind:     hidden_block_count_y
      - .offset:         152
        .size:           4
        .value_kind:     hidden_block_count_z
      - .offset:         156
        .size:           2
        .value_kind:     hidden_group_size_x
      - .offset:         158
        .size:           2
        .value_kind:     hidden_group_size_y
      - .offset:         160
        .size:           2
        .value_kind:     hidden_group_size_z
      - .offset:         162
        .size:           2
        .value_kind:     hidden_remainder_x
      - .offset:         164
        .size:           2
        .value_kind:     hidden_remainder_y
      - .offset:         166
        .size:           2
        .value_kind:     hidden_remainder_z
      - .offset:         184
        .size:           8
        .value_kind:     hidden_global_offset_x
      - .offset:         192
        .size:           8
        .value_kind:     hidden_global_offset_y
      - .offset:         200
        .size:           8
        .value_kind:     hidden_global_offset_z
      - .offset:         208
        .size:           2
        .value_kind:     hidden_grid_dims
    .group_segment_fixed_size: 6272
    .kernarg_segment_align: 8
    .kernarg_segment_size: 400
    .language:       OpenCL C
    .language_version:
      - 2
      - 0
    .max_flat_workgroup_size: 256
    .name:           _ZL58rocblas_symv_kernel_upper_double_buffered_diagonal_genericILi32ELi8E24rocblas_internal_val_ptrIfEPKfPfEvbiT1_lT2_lllS6_lllS5_lT3_lllii
    .private_segment_fixed_size: 0
    .sgpr_count:     48
    .sgpr_spill_count: 0
    .symbol:         _ZL58rocblas_symv_kernel_upper_double_buffered_diagonal_genericILi32ELi8E24rocblas_internal_val_ptrIfEPKfPfEvbiT1_lT2_lllS6_lllS5_lT3_lllii.kd
    .uniform_work_group_size: 1
    .uses_dynamic_stack: false
    .vgpr_count:     19
    .vgpr_spill_count: 0
    .wavefront_size: 64
  - .agpr_count:     0
    .args:
      - .offset:         0
        .size:           1
        .value_kind:     by_value
      - .offset:         4
        .size:           4
        .value_kind:     by_value
      - .offset:         8
        .size:           8
        .value_kind:     by_value
      - .offset:         16
        .size:           8
        .value_kind:     by_value
      - .address_space:  global
        .offset:         24
        .size:           8
        .value_kind:     global_buffer
      - .offset:         32
        .size:           8
        .value_kind:     by_value
      - .offset:         40
        .size:           8
        .value_kind:     by_value
      - .offset:         48
        .size:           8
        .value_kind:     by_value
      - .address_space:  global
        .offset:         56
        .size:           8
        .value_kind:     global_buffer
      - .offset:         64
        .size:           8
        .value_kind:     by_value
      - .offset:         72
        .size:           8
        .value_kind:     by_value
      - .offset:         80
        .size:           8
        .value_kind:     by_value
      - .address_space:  global
        .offset:         88
        .size:           8
        .value_kind:     global_buffer
      - .offset:         96
        .size:           8
        .value_kind:     by_value
      - .offset:         104
        .size:           8
        .value_kind:     by_value
      - .offset:         112
        .size:           8
        .value_kind:     by_value
      - .offset:         120
        .size:           4
        .value_kind:     by_value
      - .offset:         124
        .size:           4
        .value_kind:     by_value
      - .offset:         128
        .size:           4
        .value_kind:     hidden_block_count_x
      - .offset:         132
        .size:           4
        .value_kind:     hidden_block_count_y
      - .offset:         136
        .size:           4
        .value_kind:     hidden_block_count_z
      - .offset:         140
        .size:           2
        .value_kind:     hidden_group_size_x
      - .offset:         142
        .size:           2
        .value_kind:     hidden_group_size_y
      - .offset:         144
        .size:           2
        .value_kind:     hidden_group_size_z
      - .offset:         146
        .size:           2
        .value_kind:     hidden_remainder_x
      - .offset:         148
        .size:           2
        .value_kind:     hidden_remainder_y
      - .offset:         150
        .size:           2
        .value_kind:     hidden_remainder_z
      - .offset:         168
        .size:           8
        .value_kind:     hidden_global_offset_x
      - .offset:         176
        .size:           8
        .value_kind:     hidden_global_offset_y
      - .offset:         184
        .size:           8
        .value_kind:     hidden_global_offset_z
      - .offset:         192
        .size:           2
        .value_kind:     hidden_grid_dims
    .group_segment_fixed_size: 4224
    .kernarg_segment_align: 8
    .kernarg_segment_size: 384
    .language:       OpenCL C
    .language_version:
      - 2
      - 0
    .max_flat_workgroup_size: 256
    .name:           _ZL62rocblas_symv_kernel_upper_double_buffered_non_diagonal_genericILi32ELi8ELi2ELi0E24rocblas_internal_val_ptrIfEPKfPfEvbiT3_lT4_lllS6_lllT5_lllii
    .private_segment_fixed_size: 0
    .sgpr_count:     58
    .sgpr_spill_count: 0
    .symbol:         _ZL62rocblas_symv_kernel_upper_double_buffered_non_diagonal_genericILi32ELi8ELi2ELi0E24rocblas_internal_val_ptrIfEPKfPfEvbiT3_lT4_lllS6_lllT5_lllii.kd
    .uniform_work_group_size: 1
    .uses_dynamic_stack: false
    .vgpr_count:     40
    .vgpr_spill_count: 0
    .wavefront_size: 64
  - .agpr_count:     0
    .args:
      - .offset:         0
        .size:           1
        .value_kind:     by_value
      - .offset:         4
        .size:           4
        .value_kind:     by_value
      - .offset:         8
        .size:           8
        .value_kind:     by_value
      - .offset:         16
        .size:           8
        .value_kind:     by_value
      - .address_space:  global
        .offset:         24
        .size:           8
        .value_kind:     global_buffer
      - .offset:         32
        .size:           8
        .value_kind:     by_value
      - .offset:         40
        .size:           8
        .value_kind:     by_value
      - .offset:         48
        .size:           8
        .value_kind:     by_value
      - .address_space:  global
        .offset:         56
        .size:           8
        .value_kind:     global_buffer
      - .offset:         64
        .size:           8
        .value_kind:     by_value
      - .offset:         72
        .size:           8
        .value_kind:     by_value
      - .offset:         80
        .size:           8
        .value_kind:     by_value
      - .address_space:  global
        .offset:         88
        .size:           8
        .value_kind:     global_buffer
      - .offset:         96
        .size:           8
        .value_kind:     by_value
      - .offset:         104
        .size:           8
        .value_kind:     by_value
      - .offset:         112
        .size:           8
        .value_kind:     by_value
      - .offset:         120
        .size:           4
        .value_kind:     by_value
      - .offset:         124
        .size:           4
        .value_kind:     by_value
      - .offset:         128
        .size:           4
        .value_kind:     hidden_block_count_x
      - .offset:         132
        .size:           4
        .value_kind:     hidden_block_count_y
      - .offset:         136
        .size:           4
        .value_kind:     hidden_block_count_z
      - .offset:         140
        .size:           2
        .value_kind:     hidden_group_size_x
      - .offset:         142
        .size:           2
        .value_kind:     hidden_group_size_y
      - .offset:         144
        .size:           2
        .value_kind:     hidden_group_size_z
      - .offset:         146
        .size:           2
        .value_kind:     hidden_remainder_x
      - .offset:         148
        .size:           2
        .value_kind:     hidden_remainder_y
      - .offset:         150
        .size:           2
        .value_kind:     hidden_remainder_z
      - .offset:         168
        .size:           8
        .value_kind:     hidden_global_offset_x
      - .offset:         176
        .size:           8
        .value_kind:     hidden_global_offset_y
      - .offset:         184
        .size:           8
        .value_kind:     hidden_global_offset_z
      - .offset:         192
        .size:           2
        .value_kind:     hidden_grid_dims
    .group_segment_fixed_size: 4224
    .kernarg_segment_align: 8
    .kernarg_segment_size: 384
    .language:       OpenCL C
    .language_version:
      - 2
      - 0
    .max_flat_workgroup_size: 256
    .name:           _ZL62rocblas_symv_kernel_upper_double_buffered_non_diagonal_genericILi32ELi8ELi2ELi1E24rocblas_internal_val_ptrIfEPKfPfEvbiT3_lT4_lllS6_lllT5_lllii
    .private_segment_fixed_size: 0
    .sgpr_count:     59
    .sgpr_spill_count: 0
    .symbol:         _ZL62rocblas_symv_kernel_upper_double_buffered_non_diagonal_genericILi32ELi8ELi2ELi1E24rocblas_internal_val_ptrIfEPKfPfEvbiT3_lT4_lllS6_lllT5_lllii.kd
    .uniform_work_group_size: 1
    .uses_dynamic_stack: false
    .vgpr_count:     44
    .vgpr_spill_count: 0
    .wavefront_size: 64
  - .agpr_count:     0
    .args:
      - .offset:         0
        .size:           4
        .value_kind:     by_value
      - .address_space:  global
        .offset:         8
        .size:           8
        .value_kind:     global_buffer
      - .offset:         16
        .size:           8
        .value_kind:     by_value
      - .address_space:  global
        .offset:         24
        .size:           8
        .value_kind:     global_buffer
      - .offset:         32
        .size:           8
        .value_kind:     by_value
      - .offset:         40
        .size:           8
        .value_kind:     by_value
      - .offset:         48
        .size:           8
        .value_kind:     by_value
      - .address_space:  global
        .offset:         56
        .size:           8
        .value_kind:     global_buffer
      - .offset:         64
        .size:           8
        .value_kind:     by_value
      - .offset:         72
        .size:           8
        .value_kind:     by_value
      - .offset:         80
        .size:           8
        .value_kind:     by_value
      - .address_space:  global
        .offset:         88
        .size:           8
        .value_kind:     global_buffer
      - .offset:         96
        .size:           8
        .value_kind:     by_value
      - .address_space:  global
        .offset:         104
        .size:           8
        .value_kind:     global_buffer
      - .offset:         112
        .size:           4
        .value_kind:     by_value
      - .offset:         120
        .size:           4
        .value_kind:     hidden_block_count_x
      - .offset:         124
        .size:           4
        .value_kind:     hidden_block_count_y
      - .offset:         128
        .size:           4
        .value_kind:     hidden_block_count_z
      - .offset:         132
        .size:           2
        .value_kind:     hidden_group_size_x
      - .offset:         134
        .size:           2
        .value_kind:     hidden_group_size_y
      - .offset:         136
        .size:           2
        .value_kind:     hidden_group_size_z
      - .offset:         138
        .size:           2
        .value_kind:     hidden_remainder_x
      - .offset:         140
        .size:           2
        .value_kind:     hidden_remainder_y
      - .offset:         142
        .size:           2
        .value_kind:     hidden_remainder_z
      - .offset:         160
        .size:           8
        .value_kind:     hidden_global_offset_x
      - .offset:         168
        .size:           8
        .value_kind:     hidden_global_offset_y
      - .offset:         176
        .size:           8
        .value_kind:     hidden_global_offset_z
      - .offset:         184
        .size:           2
        .value_kind:     hidden_grid_dims
    .group_segment_fixed_size: 4800
    .kernarg_segment_align: 8
    .kernarg_segment_size: 376
    .language:       OpenCL C
    .language_version:
      - 2
      - 0
    .max_flat_workgroup_size: 256
    .name:           _ZL26rocblas_hemvn_kernel_upperILb0ELi64ELi4ELi33ELi32ELi16ElPKfS1_PfEviT6_lT7_lT5_lS4_lS5_lS3_lT8_i
    .private_segment_fixed_size: 0
    .sgpr_count:     46
    .sgpr_spill_count: 0
    .symbol:         _ZL26rocblas_hemvn_kernel_upperILb0ELi64ELi4ELi33ELi32ELi16ElPKfS1_PfEviT6_lT7_lT5_lS4_lS5_lS3_lT8_i.kd
    .uniform_work_group_size: 1
    .uses_dynamic_stack: false
    .vgpr_count:     96
    .vgpr_spill_count: 0
    .wavefront_size: 64
  - .agpr_count:     0
    .args:
      - .offset:         0
        .size:           4
        .value_kind:     by_value
      - .address_space:  global
        .offset:         8
        .size:           8
        .value_kind:     global_buffer
      - .offset:         16
        .size:           8
        .value_kind:     by_value
      - .address_space:  global
        .offset:         24
        .size:           8
        .value_kind:     global_buffer
      - .offset:         32
        .size:           8
        .value_kind:     by_value
      - .address_space:  global
        .offset:         40
        .size:           8
        .value_kind:     global_buffer
      - .offset:         48
        .size:           8
        .value_kind:     by_value
      - .offset:         56
        .size:           8
        .value_kind:     by_value
      - .offset:         64
        .size:           8
        .value_kind:     by_value
      - .address_space:  global
        .offset:         72
        .size:           8
        .value_kind:     global_buffer
      - .offset:         80
        .size:           4
        .value_kind:     by_value
      - .offset:         88
        .size:           4
        .value_kind:     hidden_block_count_x
      - .offset:         92
        .size:           4
        .value_kind:     hidden_block_count_y
      - .offset:         96
        .size:           4
        .value_kind:     hidden_block_count_z
      - .offset:         100
        .size:           2
        .value_kind:     hidden_group_size_x
      - .offset:         102
        .size:           2
        .value_kind:     hidden_group_size_y
      - .offset:         104
        .size:           2
        .value_kind:     hidden_group_size_z
      - .offset:         106
        .size:           2
        .value_kind:     hidden_remainder_x
      - .offset:         108
        .size:           2
        .value_kind:     hidden_remainder_y
      - .offset:         110
        .size:           2
        .value_kind:     hidden_remainder_z
      - .offset:         128
        .size:           8
        .value_kind:     hidden_global_offset_x
      - .offset:         136
        .size:           8
        .value_kind:     hidden_global_offset_y
      - .offset:         144
        .size:           8
        .value_kind:     hidden_global_offset_z
      - .offset:         152
        .size:           2
        .value_kind:     hidden_grid_dims
    .group_segment_fixed_size: 0
    .kernarg_segment_align: 8
    .kernarg_segment_size: 344
    .language:       OpenCL C
    .language_version:
      - 2
      - 0
    .max_flat_workgroup_size: 64
    .name:           _ZL36rocblas_hemvn_kernel_upper_block_sumILi64ElPKfPffEviT1_lS3_lT2_lT0_lPT3_i
    .private_segment_fixed_size: 0
    .sgpr_count:     28
    .sgpr_spill_count: 0
    .symbol:         _ZL36rocblas_hemvn_kernel_upper_block_sumILi64ElPKfPffEviT1_lS3_lT2_lT0_lPT3_i.kd
    .uniform_work_group_size: 1
    .uses_dynamic_stack: false
    .vgpr_count:     7
    .vgpr_spill_count: 0
    .wavefront_size: 64
  - .agpr_count:     0
    .args:
      - .offset:         0
        .size:           4
        .value_kind:     by_value
      - .address_space:  global
        .offset:         8
        .size:           8
        .value_kind:     global_buffer
      - .offset:         16
        .size:           8
        .value_kind:     by_value
      - .address_space:  global
        .offset:         24
        .size:           8
        .value_kind:     global_buffer
      - .offset:         32
        .size:           8
        .value_kind:     by_value
      - .offset:         40
        .size:           4
        .value_kind:     by_value
      - .offset:         48
        .size:           8
        .value_kind:     by_value
      - .address_space:  global
        .offset:         56
        .size:           8
        .value_kind:     global_buffer
      - .offset:         64
        .size:           8
        .value_kind:     by_value
      - .offset:         72
        .size:           4
        .value_kind:     by_value
      - .offset:         80
        .size:           8
        .value_kind:     by_value
      - .address_space:  global
        .offset:         88
        .size:           8
        .value_kind:     global_buffer
      - .offset:         96
        .size:           8
        .value_kind:     by_value
      - .address_space:  global
        .offset:         104
        .size:           8
        .value_kind:     global_buffer
      - .offset:         112
        .size:           4
        .value_kind:     by_value
      - .offset:         120
        .size:           4
        .value_kind:     hidden_block_count_x
      - .offset:         124
        .size:           4
        .value_kind:     hidden_block_count_y
      - .offset:         128
        .size:           4
        .value_kind:     hidden_block_count_z
      - .offset:         132
        .size:           2
        .value_kind:     hidden_group_size_x
      - .offset:         134
        .size:           2
        .value_kind:     hidden_group_size_y
      - .offset:         136
        .size:           2
        .value_kind:     hidden_group_size_z
      - .offset:         138
        .size:           2
        .value_kind:     hidden_remainder_x
      - .offset:         140
        .size:           2
        .value_kind:     hidden_remainder_y
      - .offset:         142
        .size:           2
        .value_kind:     hidden_remainder_z
      - .offset:         160
        .size:           8
        .value_kind:     hidden_global_offset_x
      - .offset:         168
        .size:           8
        .value_kind:     hidden_global_offset_y
      - .offset:         176
        .size:           8
        .value_kind:     hidden_global_offset_z
      - .offset:         184
        .size:           2
        .value_kind:     hidden_grid_dims
    .group_segment_fixed_size: 4800
    .kernarg_segment_align: 8
    .kernarg_segment_size: 376
    .language:       OpenCL C
    .language_version:
      - 2
      - 0
    .max_flat_workgroup_size: 256
    .name:           _ZL26rocblas_hemvn_kernel_upperILb0ELi64ELi4ELi33ELi32ELi16EiPKfS1_PfEviT6_lT7_lT5_lS4_lS5_lS3_lT8_i
    .private_segment_fixed_size: 0
    .sgpr_count:     51
    .sgpr_spill_count: 0
    .symbol:         _ZL26rocblas_hemvn_kernel_upperILb0ELi64ELi4ELi33ELi32ELi16EiPKfS1_PfEviT6_lT7_lT5_lS4_lS5_lS3_lT8_i.kd
    .uniform_work_group_size: 1
    .uses_dynamic_stack: false
    .vgpr_count:     130
    .vgpr_spill_count: 0
    .wavefront_size: 64
  - .agpr_count:     0
    .args:
      - .offset:         0
        .size:           4
        .value_kind:     by_value
      - .address_space:  global
        .offset:         8
        .size:           8
        .value_kind:     global_buffer
      - .offset:         16
        .size:           8
        .value_kind:     by_value
      - .address_space:  global
        .offset:         24
        .size:           8
        .value_kind:     global_buffer
      - .offset:         32
        .size:           8
        .value_kind:     by_value
      - .address_space:  global
        .offset:         40
        .size:           8
        .value_kind:     global_buffer
      - .offset:         48
        .size:           8
        .value_kind:     by_value
      - .offset:         56
        .size:           4
        .value_kind:     by_value
      - .offset:         64
        .size:           8
        .value_kind:     by_value
      - .address_space:  global
        .offset:         72
        .size:           8
        .value_kind:     global_buffer
      - .offset:         80
        .size:           4
        .value_kind:     by_value
      - .offset:         88
        .size:           4
        .value_kind:     hidden_block_count_x
      - .offset:         92
        .size:           4
        .value_kind:     hidden_block_count_y
      - .offset:         96
        .size:           4
        .value_kind:     hidden_block_count_z
      - .offset:         100
        .size:           2
        .value_kind:     hidden_group_size_x
      - .offset:         102
        .size:           2
        .value_kind:     hidden_group_size_y
      - .offset:         104
        .size:           2
        .value_kind:     hidden_group_size_z
      - .offset:         106
        .size:           2
        .value_kind:     hidden_remainder_x
      - .offset:         108
        .size:           2
        .value_kind:     hidden_remainder_y
      - .offset:         110
        .size:           2
        .value_kind:     hidden_remainder_z
      - .offset:         128
        .size:           8
        .value_kind:     hidden_global_offset_x
      - .offset:         136
        .size:           8
        .value_kind:     hidden_global_offset_y
      - .offset:         144
        .size:           8
        .value_kind:     hidden_global_offset_z
      - .offset:         152
        .size:           2
        .value_kind:     hidden_grid_dims
    .group_segment_fixed_size: 0
    .kernarg_segment_align: 8
    .kernarg_segment_size: 344
    .language:       OpenCL C
    .language_version:
      - 2
      - 0
    .max_flat_workgroup_size: 64
    .name:           _ZL36rocblas_hemvn_kernel_upper_block_sumILi64EiPKfPffEviT1_lS3_lT2_lT0_lPT3_i
    .private_segment_fixed_size: 0
    .sgpr_count:     27
    .sgpr_spill_count: 0
    .symbol:         _ZL36rocblas_hemvn_kernel_upper_block_sumILi64EiPKfPffEviT1_lS3_lT2_lT0_lPT3_i.kd
    .uniform_work_group_size: 1
    .uses_dynamic_stack: false
    .vgpr_count:     6
    .vgpr_spill_count: 0
    .wavefront_size: 64
  - .agpr_count:     0
    .args:
      - .offset:         0
        .size:           4
        .value_kind:     by_value
      - .offset:         4
        .size:           4
        .value_kind:     by_value
      - .offset:         8
        .size:           8
        .value_kind:     by_value
      - .address_space:  global
        .offset:         16
        .size:           8
        .value_kind:     global_buffer
      - .offset:         24
        .size:           8
        .value_kind:     by_value
      - .offset:         32
        .size:           8
        .value_kind:     by_value
      - .offset:         40
        .size:           8
        .value_kind:     by_value
      - .address_space:  global
        .offset:         48
        .size:           8
        .value_kind:     global_buffer
      - .offset:         56
        .size:           8
        .value_kind:     by_value
      - .offset:         64
        .size:           8
        .value_kind:     by_value
      - .offset:         72
        .size:           8
        .value_kind:     by_value
      - .offset:         80
        .size:           4
        .value_kind:     by_value
      - .offset:         88
        .size:           8
        .value_kind:     by_value
      - .address_space:  global
        .offset:         96
        .size:           8
        .value_kind:     global_buffer
      - .offset:         104
        .size:           4
        .value_kind:     by_value
      - .offset:         112
        .size:           4
        .value_kind:     hidden_block_count_x
      - .offset:         116
        .size:           4
        .value_kind:     hidden_block_count_y
      - .offset:         120
        .size:           4
        .value_kind:     hidden_block_count_z
      - .offset:         124
        .size:           2
        .value_kind:     hidden_group_size_x
      - .offset:         126
        .size:           2
        .value_kind:     hidden_group_size_y
      - .offset:         128
        .size:           2
        .value_kind:     hidden_group_size_z
      - .offset:         130
        .size:           2
        .value_kind:     hidden_remainder_x
      - .offset:         132
        .size:           2
        .value_kind:     hidden_remainder_y
      - .offset:         134
        .size:           2
        .value_kind:     hidden_remainder_z
      - .offset:         152
        .size:           8
        .value_kind:     hidden_global_offset_x
      - .offset:         160
        .size:           8
        .value_kind:     hidden_global_offset_y
      - .offset:         168
        .size:           8
        .value_kind:     hidden_global_offset_z
      - .offset:         176
        .size:           2
        .value_kind:     hidden_grid_dims
    .group_segment_fixed_size: 4800
    .kernarg_segment_align: 8
    .kernarg_segment_size: 368
    .language:       OpenCL C
    .language_version:
      - 2
      - 0
    .max_flat_workgroup_size: 256
    .name:           _ZL26rocblas_hemvn_kernel_upperILb0ELi64ELi4ELi33ELi32ELi16ElfPKfPfEviT6_lT7_lT5_lS4_lS5_lS3_lT8_i
    .private_segment_fixed_size: 0
    .sgpr_count:     46
    .sgpr_spill_count: 0
    .symbol:         _ZL26rocblas_hemvn_kernel_upperILb0ELi64ELi4ELi33ELi32ELi16ElfPKfPfEviT6_lT7_lT5_lS4_lS5_lS3_lT8_i.kd
    .uniform_work_group_size: 1
    .uses_dynamic_stack: false
    .vgpr_count:     96
    .vgpr_spill_count: 0
    .wavefront_size: 64
  - .agpr_count:     0
    .args:
      - .offset:         0
        .size:           4
        .value_kind:     by_value
      - .offset:         4
        .size:           4
        .value_kind:     by_value
      - .offset:         8
        .size:           8
        .value_kind:     by_value
      - .offset:         16
        .size:           4
        .value_kind:     by_value
      - .offset:         24
        .size:           8
        .value_kind:     by_value
      - .address_space:  global
        .offset:         32
        .size:           8
        .value_kind:     global_buffer
      - .offset:         40
        .size:           8
        .value_kind:     by_value
      - .offset:         48
        .size:           8
        .value_kind:     by_value
      - .offset:         56
        .size:           8
        .value_kind:     by_value
      - .address_space:  global
        .offset:         64
        .size:           8
        .value_kind:     global_buffer
      - .offset:         72
        .size:           4
        .value_kind:     by_value
      - .offset:         80
        .size:           4
        .value_kind:     hidden_block_count_x
      - .offset:         84
        .size:           4
        .value_kind:     hidden_block_count_y
      - .offset:         88
        .size:           4
        .value_kind:     hidden_block_count_z
      - .offset:         92
        .size:           2
        .value_kind:     hidden_group_size_x
      - .offset:         94
        .size:           2
        .value_kind:     hidden_group_size_y
      - .offset:         96
        .size:           2
        .value_kind:     hidden_group_size_z
      - .offset:         98
        .size:           2
        .value_kind:     hidden_remainder_x
      - .offset:         100
        .size:           2
        .value_kind:     hidden_remainder_y
      - .offset:         102
        .size:           2
        .value_kind:     hidden_remainder_z
      - .offset:         120
        .size:           8
        .value_kind:     hidden_global_offset_x
      - .offset:         128
        .size:           8
        .value_kind:     hidden_global_offset_y
      - .offset:         136
        .size:           8
        .value_kind:     hidden_global_offset_z
      - .offset:         144
        .size:           2
        .value_kind:     hidden_grid_dims
    .group_segment_fixed_size: 0
    .kernarg_segment_align: 8
    .kernarg_segment_size: 336
    .language:       OpenCL C
    .language_version:
      - 2
      - 0
    .max_flat_workgroup_size: 64
    .name:           _ZL36rocblas_hemvn_kernel_upper_block_sumILi64ElfPffEviT1_lS1_lT2_lT0_lPT3_i
    .private_segment_fixed_size: 0
    .sgpr_count:     28
    .sgpr_spill_count: 0
    .symbol:         _ZL36rocblas_hemvn_kernel_upper_block_sumILi64ElfPffEviT1_lS1_lT2_lT0_lPT3_i.kd
    .uniform_work_group_size: 1
    .uses_dynamic_stack: false
    .vgpr_count:     7
    .vgpr_spill_count: 0
    .wavefront_size: 64
  - .agpr_count:     0
    .args:
      - .offset:         0
        .size:           4
        .value_kind:     by_value
      - .offset:         4
        .size:           4
        .value_kind:     by_value
      - .offset:         8
        .size:           8
        .value_kind:     by_value
      - .address_space:  global
        .offset:         16
        .size:           8
        .value_kind:     global_buffer
      - .offset:         24
        .size:           8
        .value_kind:     by_value
      - .offset:         32
        .size:           4
        .value_kind:     by_value
      - .offset:         40
        .size:           8
        .value_kind:     by_value
      - .address_space:  global
        .offset:         48
        .size:           8
        .value_kind:     global_buffer
      - .offset:         56
        .size:           8
        .value_kind:     by_value
      - .offset:         64
        .size:           4
        .value_kind:     by_value
      - .offset:         72
        .size:           8
        .value_kind:     by_value
      - .offset:         80
        .size:           4
        .value_kind:     by_value
      - .offset:         88
        .size:           8
        .value_kind:     by_value
      - .address_space:  global
        .offset:         96
        .size:           8
        .value_kind:     global_buffer
      - .offset:         104
        .size:           4
        .value_kind:     by_value
      - .offset:         112
        .size:           4
        .value_kind:     hidden_block_count_x
      - .offset:         116
        .size:           4
        .value_kind:     hidden_block_count_y
      - .offset:         120
        .size:           4
        .value_kind:     hidden_block_count_z
      - .offset:         124
        .size:           2
        .value_kind:     hidden_group_size_x
      - .offset:         126
        .size:           2
        .value_kind:     hidden_group_size_y
      - .offset:         128
        .size:           2
        .value_kind:     hidden_group_size_z
      - .offset:         130
        .size:           2
        .value_kind:     hidden_remainder_x
      - .offset:         132
        .size:           2
        .value_kind:     hidden_remainder_y
      - .offset:         134
        .size:           2
        .value_kind:     hidden_remainder_z
      - .offset:         152
        .size:           8
        .value_kind:     hidden_global_offset_x
      - .offset:         160
        .size:           8
        .value_kind:     hidden_global_offset_y
      - .offset:         168
        .size:           8
        .value_kind:     hidden_global_offset_z
      - .offset:         176
        .size:           2
        .value_kind:     hidden_grid_dims
    .group_segment_fixed_size: 4800
    .kernarg_segment_align: 8
    .kernarg_segment_size: 368
    .language:       OpenCL C
    .language_version:
      - 2
      - 0
    .max_flat_workgroup_size: 256
    .name:           _ZL26rocblas_hemvn_kernel_upperILb0ELi64ELi4ELi33ELi32ELi16EifPKfPfEviT6_lT7_lT5_lS4_lS5_lS3_lT8_i
    .private_segment_fixed_size: 0
    .sgpr_count:     51
    .sgpr_spill_count: 0
    .symbol:         _ZL26rocblas_hemvn_kernel_upperILb0ELi64ELi4ELi33ELi32ELi16EifPKfPfEviT6_lT7_lT5_lS4_lS5_lS3_lT8_i.kd
    .uniform_work_group_size: 1
    .uses_dynamic_stack: false
    .vgpr_count:     130
    .vgpr_spill_count: 0
    .wavefront_size: 64
  - .agpr_count:     0
    .args:
      - .offset:         0
        .size:           4
        .value_kind:     by_value
      - .offset:         4
        .size:           4
        .value_kind:     by_value
      - .offset:         8
        .size:           8
        .value_kind:     by_value
      - .offset:         16
        .size:           4
        .value_kind:     by_value
      - .offset:         24
        .size:           8
        .value_kind:     by_value
      - .address_space:  global
        .offset:         32
        .size:           8
        .value_kind:     global_buffer
      - .offset:         40
        .size:           8
        .value_kind:     by_value
      - .offset:         48
        .size:           4
        .value_kind:     by_value
      - .offset:         56
        .size:           8
        .value_kind:     by_value
      - .address_space:  global
        .offset:         64
        .size:           8
        .value_kind:     global_buffer
      - .offset:         72
        .size:           4
        .value_kind:     by_value
      - .offset:         80
        .size:           4
        .value_kind:     hidden_block_count_x
      - .offset:         84
        .size:           4
        .value_kind:     hidden_block_count_y
      - .offset:         88
        .size:           4
        .value_kind:     hidden_block_count_z
      - .offset:         92
        .size:           2
        .value_kind:     hidden_group_size_x
      - .offset:         94
        .size:           2
        .value_kind:     hidden_group_size_y
      - .offset:         96
        .size:           2
        .value_kind:     hidden_group_size_z
      - .offset:         98
        .size:           2
        .value_kind:     hidden_remainder_x
      - .offset:         100
        .size:           2
        .value_kind:     hidden_remainder_y
      - .offset:         102
        .size:           2
        .value_kind:     hidden_remainder_z
      - .offset:         120
        .size:           8
        .value_kind:     hidden_global_offset_x
      - .offset:         128
        .size:           8
        .value_kind:     hidden_global_offset_y
      - .offset:         136
        .size:           8
        .value_kind:     hidden_global_offset_z
      - .offset:         144
        .size:           2
        .value_kind:     hidden_grid_dims
    .group_segment_fixed_size: 0
    .kernarg_segment_align: 8
    .kernarg_segment_size: 336
    .language:       OpenCL C
    .language_version:
      - 2
      - 0
    .max_flat_workgroup_size: 64
    .name:           _ZL36rocblas_hemvn_kernel_upper_block_sumILi64EifPffEviT1_lS1_lT2_lT0_lPT3_i
    .private_segment_fixed_size: 0
    .sgpr_count:     26
    .sgpr_spill_count: 0
    .symbol:         _ZL36rocblas_hemvn_kernel_upper_block_sumILi64EifPffEviT1_lS1_lT2_lT0_lPT3_i.kd
    .uniform_work_group_size: 1
    .uses_dynamic_stack: false
    .vgpr_count:     6
    .vgpr_spill_count: 0
    .wavefront_size: 64
  - .agpr_count:     0
    .args:
      - .offset:         0
        .size:           1
        .value_kind:     by_value
      - .offset:         4
        .size:           4
        .value_kind:     by_value
      - .offset:         8
        .size:           8
        .value_kind:     by_value
      - .offset:         16
        .size:           8
        .value_kind:     by_value
      - .address_space:  global
        .offset:         24
        .size:           8
        .value_kind:     global_buffer
      - .offset:         32
        .size:           8
        .value_kind:     by_value
      - .offset:         40
        .size:           8
        .value_kind:     by_value
      - .offset:         48
        .size:           8
        .value_kind:     by_value
      - .address_space:  global
        .offset:         56
        .size:           8
        .value_kind:     global_buffer
      - .offset:         64
        .size:           8
        .value_kind:     by_value
      - .offset:         72
        .size:           8
        .value_kind:     by_value
      - .offset:         80
        .size:           8
        .value_kind:     by_value
      - .offset:         88
        .size:           8
        .value_kind:     by_value
      - .offset:         96
        .size:           8
        .value_kind:     by_value
      - .address_space:  global
        .offset:         104
        .size:           8
        .value_kind:     global_buffer
      - .offset:         112
        .size:           8
        .value_kind:     by_value
      - .offset:         120
        .size:           8
        .value_kind:     by_value
      - .offset:         128
        .size:           8
        .value_kind:     by_value
      - .offset:         136
        .size:           4
        .value_kind:     by_value
    .group_segment_fixed_size: 5248
    .kernarg_segment_align: 8
    .kernarg_segment_size: 140
    .language:       OpenCL C
    .language_version:
      - 2
      - 0
    .max_flat_workgroup_size: 128
    .name:           _ZL50rocblas_symv_kernel_lower_double_buffered_diagonalILi32ELi4E24rocblas_internal_val_ptrIfEPKfPfEvbiT1_lT2_lllS6_lllS5_lT3_llli
    .private_segment_fixed_size: 0
    .sgpr_count:     40
    .sgpr_spill_count: 0
    .symbol:         _ZL50rocblas_symv_kernel_lower_double_buffered_diagonalILi32ELi4E24rocblas_internal_val_ptrIfEPKfPfEvbiT1_lT2_lllS6_lllS5_lT3_llli.kd
    .uniform_work_group_size: 1
    .uses_dynamic_stack: false
    .vgpr_count:     22
    .vgpr_spill_count: 0
    .wavefront_size: 64
  - .agpr_count:     0
    .args:
      - .offset:         0
        .size:           1
        .value_kind:     by_value
      - .offset:         4
        .size:           4
        .value_kind:     by_value
      - .offset:         8
        .size:           8
        .value_kind:     by_value
      - .offset:         16
        .size:           8
        .value_kind:     by_value
      - .address_space:  global
        .offset:         24
        .size:           8
        .value_kind:     global_buffer
      - .offset:         32
        .size:           8
        .value_kind:     by_value
      - .offset:         40
        .size:           8
        .value_kind:     by_value
      - .offset:         48
        .size:           8
        .value_kind:     by_value
      - .address_space:  global
        .offset:         56
        .size:           8
        .value_kind:     global_buffer
      - .offset:         64
        .size:           8
        .value_kind:     by_value
      - .offset:         72
        .size:           8
        .value_kind:     by_value
      - .offset:         80
        .size:           8
        .value_kind:     by_value
      - .address_space:  global
        .offset:         88
        .size:           8
        .value_kind:     global_buffer
      - .offset:         96
        .size:           8
        .value_kind:     by_value
      - .offset:         104
        .size:           8
        .value_kind:     by_value
      - .offset:         112
        .size:           8
        .value_kind:     by_value
      - .offset:         120
        .size:           4
        .value_kind:     by_value
      - .offset:         128
        .size:           4
        .value_kind:     hidden_block_count_x
      - .offset:         132
        .size:           4
        .value_kind:     hidden_block_count_y
      - .offset:         136
        .size:           4
        .value_kind:     hidden_block_count_z
      - .offset:         140
        .size:           2
        .value_kind:     hidden_group_size_x
      - .offset:         142
        .size:           2
        .value_kind:     hidden_group_size_y
      - .offset:         144
        .size:           2
        .value_kind:     hidden_group_size_z
      - .offset:         146
        .size:           2
        .value_kind:     hidden_remainder_x
      - .offset:         148
        .size:           2
        .value_kind:     hidden_remainder_y
      - .offset:         150
        .size:           2
        .value_kind:     hidden_remainder_z
      - .offset:         168
        .size:           8
        .value_kind:     hidden_global_offset_x
      - .offset:         176
        .size:           8
        .value_kind:     hidden_global_offset_y
      - .offset:         184
        .size:           8
        .value_kind:     hidden_global_offset_z
      - .offset:         192
        .size:           2
        .value_kind:     hidden_grid_dims
    .group_segment_fixed_size: 3200
    .kernarg_segment_align: 8
    .kernarg_segment_size: 384
    .language:       OpenCL C
    .language_version:
      - 2
      - 0
    .max_flat_workgroup_size: 128
    .name:           _ZL54rocblas_symv_kernel_lower_double_buffered_non_diagonalILi32ELi4ELi4E24rocblas_internal_val_ptrIfEPKfPfEvbiT2_lT3_lllS6_lllT4_llli
    .private_segment_fixed_size: 0
    .sgpr_count:     52
    .sgpr_spill_count: 0
    .symbol:         _ZL54rocblas_symv_kernel_lower_double_buffered_non_diagonalILi32ELi4ELi4E24rocblas_internal_val_ptrIfEPKfPfEvbiT2_lT3_lllS6_lllT4_llli.kd
    .uniform_work_group_size: 1
    .uses_dynamic_stack: false
    .vgpr_count:     56
    .vgpr_spill_count: 0
    .wavefront_size: 64
  - .agpr_count:     0
    .args:
      - .offset:         0
        .size:           1
        .value_kind:     by_value
      - .offset:         4
        .size:           4
        .value_kind:     by_value
      - .offset:         8
        .size:           8
        .value_kind:     by_value
      - .offset:         16
        .size:           8
        .value_kind:     by_value
      - .address_space:  global
        .offset:         24
        .size:           8
        .value_kind:     global_buffer
      - .offset:         32
        .size:           8
        .value_kind:     by_value
      - .offset:         40
        .size:           8
        .value_kind:     by_value
      - .offset:         48
        .size:           8
        .value_kind:     by_value
      - .address_space:  global
        .offset:         56
        .size:           8
        .value_kind:     global_buffer
      - .offset:         64
        .size:           8
        .value_kind:     by_value
      - .offset:         72
        .size:           8
        .value_kind:     by_value
      - .offset:         80
        .size:           8
        .value_kind:     by_value
      - .offset:         88
        .size:           8
        .value_kind:     by_value
      - .offset:         96
        .size:           8
        .value_kind:     by_value
      - .address_space:  global
        .offset:         104
        .size:           8
        .value_kind:     global_buffer
      - .offset:         112
        .size:           8
        .value_kind:     by_value
      - .offset:         120
        .size:           8
        .value_kind:     by_value
      - .offset:         128
        .size:           8
        .value_kind:     by_value
      - .offset:         136
        .size:           4
        .value_kind:     by_value
      - .offset:         140
        .size:           4
        .value_kind:     by_value
      - .offset:         144
        .size:           4
        .value_kind:     hidden_block_count_x
      - .offset:         148
        .size:           4
        .value_kind:     hidden_block_count_y
      - .offset:         152
        .size:           4
        .value_kind:     hidden_block_count_z
      - .offset:         156
        .size:           2
        .value_kind:     hidden_group_size_x
      - .offset:         158
        .size:           2
        .value_kind:     hidden_group_size_y
      - .offset:         160
        .size:           2
        .value_kind:     hidden_group_size_z
      - .offset:         162
        .size:           2
        .value_kind:     hidden_remainder_x
      - .offset:         164
        .size:           2
        .value_kind:     hidden_remainder_y
      - .offset:         166
        .size:           2
        .value_kind:     hidden_remainder_z
      - .offset:         184
        .size:           8
        .value_kind:     hidden_global_offset_x
      - .offset:         192
        .size:           8
        .value_kind:     hidden_global_offset_y
      - .offset:         200
        .size:           8
        .value_kind:     hidden_global_offset_z
      - .offset:         208
        .size:           2
        .value_kind:     hidden_grid_dims
    .group_segment_fixed_size: 5248
    .kernarg_segment_align: 8
    .kernarg_segment_size: 400
    .language:       OpenCL C
    .language_version:
      - 2
      - 0
    .max_flat_workgroup_size: 128
    .name:           _ZL58rocblas_symv_kernel_lower_double_buffered_diagonal_genericILi32ELi4E24rocblas_internal_val_ptrIfEPKfPfEvbiT1_lT2_lllS6_lllS5_lT3_lllii
    .private_segment_fixed_size: 0
    .sgpr_count:     44
    .sgpr_spill_count: 0
    .symbol:         _ZL58rocblas_symv_kernel_lower_double_buffered_diagonal_genericILi32ELi4E24rocblas_internal_val_ptrIfEPKfPfEvbiT1_lT2_lllS6_lllS5_lT3_lllii.kd
    .uniform_work_group_size: 1
    .uses_dynamic_stack: false
    .vgpr_count:     25
    .vgpr_spill_count: 0
    .wavefront_size: 64
  - .agpr_count:     0
    .args:
      - .offset:         0
        .size:           1
        .value_kind:     by_value
      - .offset:         4
        .size:           4
        .value_kind:     by_value
      - .offset:         8
        .size:           8
        .value_kind:     by_value
      - .offset:         16
        .size:           8
        .value_kind:     by_value
      - .address_space:  global
        .offset:         24
        .size:           8
        .value_kind:     global_buffer
      - .offset:         32
        .size:           8
        .value_kind:     by_value
      - .offset:         40
        .size:           8
        .value_kind:     by_value
      - .offset:         48
        .size:           8
        .value_kind:     by_value
      - .address_space:  global
        .offset:         56
        .size:           8
        .value_kind:     global_buffer
      - .offset:         64
        .size:           8
        .value_kind:     by_value
      - .offset:         72
        .size:           8
        .value_kind:     by_value
      - .offset:         80
        .size:           8
        .value_kind:     by_value
      - .address_space:  global
        .offset:         88
        .size:           8
        .value_kind:     global_buffer
      - .offset:         96
        .size:           8
        .value_kind:     by_value
      - .offset:         104
        .size:           8
        .value_kind:     by_value
      - .offset:         112
        .size:           8
        .value_kind:     by_value
      - .offset:         120
        .size:           4
        .value_kind:     by_value
      - .offset:         124
        .size:           4
        .value_kind:     by_value
      - .offset:         128
        .size:           4
        .value_kind:     hidden_block_count_x
      - .offset:         132
        .size:           4
        .value_kind:     hidden_block_count_y
      - .offset:         136
        .size:           4
        .value_kind:     hidden_block_count_z
      - .offset:         140
        .size:           2
        .value_kind:     hidden_group_size_x
      - .offset:         142
        .size:           2
        .value_kind:     hidden_group_size_y
      - .offset:         144
        .size:           2
        .value_kind:     hidden_group_size_z
      - .offset:         146
        .size:           2
        .value_kind:     hidden_remainder_x
      - .offset:         148
        .size:           2
        .value_kind:     hidden_remainder_y
      - .offset:         150
        .size:           2
        .value_kind:     hidden_remainder_z
      - .offset:         168
        .size:           8
        .value_kind:     hidden_global_offset_x
      - .offset:         176
        .size:           8
        .value_kind:     hidden_global_offset_y
      - .offset:         184
        .size:           8
        .value_kind:     hidden_global_offset_z
      - .offset:         192
        .size:           2
        .value_kind:     hidden_grid_dims
    .group_segment_fixed_size: 3200
    .kernarg_segment_align: 8
    .kernarg_segment_size: 384
    .language:       OpenCL C
    .language_version:
      - 2
      - 0
    .max_flat_workgroup_size: 128
    .name:           _ZL62rocblas_symv_kernel_lower_double_buffered_non_diagonal_genericILi32ELi4ELi4E24rocblas_internal_val_ptrIfEPKfPfEvbiT2_lT3_lllS6_lllT4_lllii
    .private_segment_fixed_size: 0
    .sgpr_count:     50
    .sgpr_spill_count: 0
    .symbol:         _ZL62rocblas_symv_kernel_lower_double_buffered_non_diagonal_genericILi32ELi4ELi4E24rocblas_internal_val_ptrIfEPKfPfEvbiT2_lT3_lllS6_lllT4_lllii.kd
    .uniform_work_group_size: 1
    .uses_dynamic_stack: false
    .vgpr_count:     58
    .vgpr_spill_count: 0
    .wavefront_size: 64
  - .agpr_count:     0
    .args:
      - .offset:         0
        .size:           4
        .value_kind:     by_value
      - .address_space:  global
        .offset:         8
        .size:           8
        .value_kind:     global_buffer
      - .offset:         16
        .size:           8
        .value_kind:     by_value
      - .address_space:  global
        .offset:         24
        .size:           8
        .value_kind:     global_buffer
      - .offset:         32
        .size:           8
        .value_kind:     by_value
      - .offset:         40
        .size:           8
        .value_kind:     by_value
      - .offset:         48
        .size:           8
        .value_kind:     by_value
      - .address_space:  global
        .offset:         56
        .size:           8
        .value_kind:     global_buffer
      - .offset:         64
        .size:           8
        .value_kind:     by_value
      - .offset:         72
        .size:           8
        .value_kind:     by_value
      - .offset:         80
        .size:           8
        .value_kind:     by_value
      - .address_space:  global
        .offset:         88
        .size:           8
        .value_kind:     global_buffer
      - .offset:         96
        .size:           8
        .value_kind:     by_value
      - .address_space:  global
        .offset:         104
        .size:           8
        .value_kind:     global_buffer
      - .offset:         112
        .size:           4
        .value_kind:     by_value
      - .offset:         120
        .size:           4
        .value_kind:     hidden_block_count_x
      - .offset:         124
        .size:           4
        .value_kind:     hidden_block_count_y
      - .offset:         128
        .size:           4
        .value_kind:     hidden_block_count_z
      - .offset:         132
        .size:           2
        .value_kind:     hidden_group_size_x
      - .offset:         134
        .size:           2
        .value_kind:     hidden_group_size_y
      - .offset:         136
        .size:           2
        .value_kind:     hidden_group_size_z
      - .offset:         138
        .size:           2
        .value_kind:     hidden_remainder_x
      - .offset:         140
        .size:           2
        .value_kind:     hidden_remainder_y
      - .offset:         142
        .size:           2
        .value_kind:     hidden_remainder_z
      - .offset:         160
        .size:           8
        .value_kind:     hidden_global_offset_x
      - .offset:         168
        .size:           8
        .value_kind:     hidden_global_offset_y
      - .offset:         176
        .size:           8
        .value_kind:     hidden_global_offset_z
      - .offset:         184
        .size:           2
        .value_kind:     hidden_grid_dims
    .group_segment_fixed_size: 4800
    .kernarg_segment_align: 8
    .kernarg_segment_size: 376
    .language:       OpenCL C
    .language_version:
      - 2
      - 0
    .max_flat_workgroup_size: 256
    .name:           _ZL26rocblas_hemvn_kernel_lowerILb0ELi64ELi4ELi33ELi32ELi16ElPKfS1_PfEviT6_lT7_lT5_lS4_lS5_lS3_lT8_i
    .private_segment_fixed_size: 0
    .sgpr_count:     56
    .sgpr_spill_count: 0
    .symbol:         _ZL26rocblas_hemvn_kernel_lowerILb0ELi64ELi4ELi33ELi32ELi16ElPKfS1_PfEviT6_lT7_lT5_lS4_lS5_lS3_lT8_i.kd
    .uniform_work_group_size: 1
    .uses_dynamic_stack: false
    .vgpr_count:     66
    .vgpr_spill_count: 0
    .wavefront_size: 64
  - .agpr_count:     0
    .args:
      - .offset:         0
        .size:           4
        .value_kind:     by_value
      - .address_space:  global
        .offset:         8
        .size:           8
        .value_kind:     global_buffer
      - .offset:         16
        .size:           8
        .value_kind:     by_value
      - .address_space:  global
        .offset:         24
        .size:           8
        .value_kind:     global_buffer
      - .offset:         32
        .size:           8
        .value_kind:     by_value
      - .address_space:  global
        .offset:         40
        .size:           8
        .value_kind:     global_buffer
      - .offset:         48
        .size:           8
        .value_kind:     by_value
      - .offset:         56
        .size:           8
        .value_kind:     by_value
      - .offset:         64
        .size:           8
        .value_kind:     by_value
      - .actual_access:  read_only
        .address_space:  global
        .offset:         72
        .size:           8
        .value_kind:     global_buffer
      - .offset:         80
        .size:           4
        .value_kind:     by_value
      - .offset:         88
        .size:           4
        .value_kind:     hidden_block_count_x
      - .offset:         92
        .size:           4
        .value_kind:     hidden_block_count_y
      - .offset:         96
        .size:           4
        .value_kind:     hidden_block_count_z
      - .offset:         100
        .size:           2
        .value_kind:     hidden_group_size_x
      - .offset:         102
        .size:           2
        .value_kind:     hidden_group_size_y
      - .offset:         104
        .size:           2
        .value_kind:     hidden_group_size_z
      - .offset:         106
        .size:           2
        .value_kind:     hidden_remainder_x
      - .offset:         108
        .size:           2
        .value_kind:     hidden_remainder_y
      - .offset:         110
        .size:           2
        .value_kind:     hidden_remainder_z
      - .offset:         128
        .size:           8
        .value_kind:     hidden_global_offset_x
      - .offset:         136
        .size:           8
        .value_kind:     hidden_global_offset_y
      - .offset:         144
        .size:           8
        .value_kind:     hidden_global_offset_z
      - .offset:         152
        .size:           2
        .value_kind:     hidden_grid_dims
    .group_segment_fixed_size: 0
    .kernarg_segment_align: 8
    .kernarg_segment_size: 344
    .language:       OpenCL C
    .language_version:
      - 2
      - 0
    .max_flat_workgroup_size: 64
    .name:           _ZL36rocblas_hemvn_kernel_lower_block_sumILi64ElPKfPffEviT1_lS3_lT2_lT0_lPT3_i
    .private_segment_fixed_size: 0
    .sgpr_count:     26
    .sgpr_spill_count: 0
    .symbol:         _ZL36rocblas_hemvn_kernel_lower_block_sumILi64ElPKfPffEviT1_lS3_lT2_lT0_lPT3_i.kd
    .uniform_work_group_size: 1
    .uses_dynamic_stack: false
    .vgpr_count:     7
    .vgpr_spill_count: 0
    .wavefront_size: 64
  - .agpr_count:     0
    .args:
      - .offset:         0
        .size:           4
        .value_kind:     by_value
      - .address_space:  global
        .offset:         8
        .size:           8
        .value_kind:     global_buffer
      - .offset:         16
        .size:           8
        .value_kind:     by_value
      - .address_space:  global
        .offset:         24
        .size:           8
        .value_kind:     global_buffer
      - .offset:         32
        .size:           8
        .value_kind:     by_value
      - .offset:         40
        .size:           4
        .value_kind:     by_value
      - .offset:         48
        .size:           8
        .value_kind:     by_value
      - .address_space:  global
        .offset:         56
        .size:           8
        .value_kind:     global_buffer
      - .offset:         64
        .size:           8
        .value_kind:     by_value
      - .offset:         72
        .size:           4
        .value_kind:     by_value
      - .offset:         80
        .size:           8
        .value_kind:     by_value
      - .address_space:  global
        .offset:         88
        .size:           8
        .value_kind:     global_buffer
      - .offset:         96
        .size:           8
        .value_kind:     by_value
      - .address_space:  global
        .offset:         104
        .size:           8
        .value_kind:     global_buffer
      - .offset:         112
        .size:           4
        .value_kind:     by_value
      - .offset:         120
        .size:           4
        .value_kind:     hidden_block_count_x
      - .offset:         124
        .size:           4
        .value_kind:     hidden_block_count_y
      - .offset:         128
        .size:           4
        .value_kind:     hidden_block_count_z
      - .offset:         132
        .size:           2
        .value_kind:     hidden_group_size_x
      - .offset:         134
        .size:           2
        .value_kind:     hidden_group_size_y
      - .offset:         136
        .size:           2
        .value_kind:     hidden_group_size_z
      - .offset:         138
        .size:           2
        .value_kind:     hidden_remainder_x
      - .offset:         140
        .size:           2
        .value_kind:     hidden_remainder_y
      - .offset:         142
        .size:           2
        .value_kind:     hidden_remainder_z
      - .offset:         160
        .size:           8
        .value_kind:     hidden_global_offset_x
      - .offset:         168
        .size:           8
        .value_kind:     hidden_global_offset_y
      - .offset:         176
        .size:           8
        .value_kind:     hidden_global_offset_z
      - .offset:         184
        .size:           2
        .value_kind:     hidden_grid_dims
    .group_segment_fixed_size: 4800
    .kernarg_segment_align: 8
    .kernarg_segment_size: 376
    .language:       OpenCL C
    .language_version:
      - 2
      - 0
    .max_flat_workgroup_size: 256
    .name:           _ZL26rocblas_hemvn_kernel_lowerILb0ELi64ELi4ELi33ELi32ELi16EiPKfS1_PfEviT6_lT7_lT5_lS4_lS5_lS3_lT8_i
    .private_segment_fixed_size: 0
    .sgpr_count:     54
    .sgpr_spill_count: 0
    .symbol:         _ZL26rocblas_hemvn_kernel_lowerILb0ELi64ELi4ELi33ELi32ELi16EiPKfS1_PfEviT6_lT7_lT5_lS4_lS5_lS3_lT8_i.kd
    .uniform_work_group_size: 1
    .uses_dynamic_stack: false
    .vgpr_count:     66
    .vgpr_spill_count: 0
    .wavefront_size: 64
  - .agpr_count:     0
    .args:
      - .offset:         0
        .size:           4
        .value_kind:     by_value
      - .address_space:  global
        .offset:         8
        .size:           8
        .value_kind:     global_buffer
      - .offset:         16
        .size:           8
        .value_kind:     by_value
      - .address_space:  global
        .offset:         24
        .size:           8
        .value_kind:     global_buffer
      - .offset:         32
        .size:           8
        .value_kind:     by_value
      - .address_space:  global
        .offset:         40
        .size:           8
        .value_kind:     global_buffer
      - .offset:         48
        .size:           8
        .value_kind:     by_value
      - .offset:         56
        .size:           4
        .value_kind:     by_value
      - .offset:         64
        .size:           8
        .value_kind:     by_value
      - .actual_access:  read_only
        .address_space:  global
        .offset:         72
        .size:           8
        .value_kind:     global_buffer
      - .offset:         80
        .size:           4
        .value_kind:     by_value
      - .offset:         88
        .size:           4
        .value_kind:     hidden_block_count_x
      - .offset:         92
        .size:           4
        .value_kind:     hidden_block_count_y
      - .offset:         96
        .size:           4
        .value_kind:     hidden_block_count_z
      - .offset:         100
        .size:           2
        .value_kind:     hidden_group_size_x
      - .offset:         102
        .size:           2
        .value_kind:     hidden_group_size_y
      - .offset:         104
        .size:           2
        .value_kind:     hidden_group_size_z
      - .offset:         106
        .size:           2
        .value_kind:     hidden_remainder_x
      - .offset:         108
        .size:           2
        .value_kind:     hidden_remainder_y
      - .offset:         110
        .size:           2
        .value_kind:     hidden_remainder_z
      - .offset:         128
        .size:           8
        .value_kind:     hidden_global_offset_x
      - .offset:         136
        .size:           8
        .value_kind:     hidden_global_offset_y
      - .offset:         144
        .size:           8
        .value_kind:     hidden_global_offset_z
      - .offset:         152
        .size:           2
        .value_kind:     hidden_grid_dims
    .group_segment_fixed_size: 0
    .kernarg_segment_align: 8
    .kernarg_segment_size: 344
    .language:       OpenCL C
    .language_version:
      - 2
      - 0
    .max_flat_workgroup_size: 64
    .name:           _ZL36rocblas_hemvn_kernel_lower_block_sumILi64EiPKfPffEviT1_lS3_lT2_lT0_lPT3_i
    .private_segment_fixed_size: 0
    .sgpr_count:     25
    .sgpr_spill_count: 0
    .symbol:         _ZL36rocblas_hemvn_kernel_lower_block_sumILi64EiPKfPffEviT1_lS3_lT2_lT0_lPT3_i.kd
    .uniform_work_group_size: 1
    .uses_dynamic_stack: false
    .vgpr_count:     6
    .vgpr_spill_count: 0
    .wavefront_size: 64
  - .agpr_count:     0
    .args:
      - .offset:         0
        .size:           4
        .value_kind:     by_value
      - .offset:         4
        .size:           4
        .value_kind:     by_value
      - .offset:         8
        .size:           8
        .value_kind:     by_value
      - .address_space:  global
        .offset:         16
        .size:           8
        .value_kind:     global_buffer
      - .offset:         24
        .size:           8
        .value_kind:     by_value
      - .offset:         32
        .size:           8
        .value_kind:     by_value
      - .offset:         40
        .size:           8
        .value_kind:     by_value
      - .address_space:  global
        .offset:         48
        .size:           8
        .value_kind:     global_buffer
      - .offset:         56
        .size:           8
        .value_kind:     by_value
      - .offset:         64
        .size:           8
        .value_kind:     by_value
      - .offset:         72
        .size:           8
        .value_kind:     by_value
      - .offset:         80
        .size:           4
        .value_kind:     by_value
      - .offset:         88
        .size:           8
        .value_kind:     by_value
      - .address_space:  global
        .offset:         96
        .size:           8
        .value_kind:     global_buffer
      - .offset:         104
        .size:           4
        .value_kind:     by_value
      - .offset:         112
        .size:           4
        .value_kind:     hidden_block_count_x
      - .offset:         116
        .size:           4
        .value_kind:     hidden_block_count_y
      - .offset:         120
        .size:           4
        .value_kind:     hidden_block_count_z
      - .offset:         124
        .size:           2
        .value_kind:     hidden_group_size_x
      - .offset:         126
        .size:           2
        .value_kind:     hidden_group_size_y
      - .offset:         128
        .size:           2
        .value_kind:     hidden_group_size_z
      - .offset:         130
        .size:           2
        .value_kind:     hidden_remainder_x
      - .offset:         132
        .size:           2
        .value_kind:     hidden_remainder_y
      - .offset:         134
        .size:           2
        .value_kind:     hidden_remainder_z
      - .offset:         152
        .size:           8
        .value_kind:     hidden_global_offset_x
      - .offset:         160
        .size:           8
        .value_kind:     hidden_global_offset_y
      - .offset:         168
        .size:           8
        .value_kind:     hidden_global_offset_z
      - .offset:         176
        .size:           2
        .value_kind:     hidden_grid_dims
    .group_segment_fixed_size: 4800
    .kernarg_segment_align: 8
    .kernarg_segment_size: 368
    .language:       OpenCL C
    .language_version:
      - 2
      - 0
    .max_flat_workgroup_size: 256
    .name:           _ZL26rocblas_hemvn_kernel_lowerILb0ELi64ELi4ELi33ELi32ELi16ElfPKfPfEviT6_lT7_lT5_lS4_lS5_lS3_lT8_i
    .private_segment_fixed_size: 0
    .sgpr_count:     58
    .sgpr_spill_count: 0
    .symbol:         _ZL26rocblas_hemvn_kernel_lowerILb0ELi64ELi4ELi33ELi32ELi16ElfPKfPfEviT6_lT7_lT5_lS4_lS5_lS3_lT8_i.kd
    .uniform_work_group_size: 1
    .uses_dynamic_stack: false
    .vgpr_count:     68
    .vgpr_spill_count: 0
    .wavefront_size: 64
  - .agpr_count:     0
    .args:
      - .offset:         0
        .size:           4
        .value_kind:     by_value
      - .offset:         4
        .size:           4
        .value_kind:     by_value
      - .offset:         8
        .size:           8
        .value_kind:     by_value
      - .offset:         16
        .size:           4
        .value_kind:     by_value
      - .offset:         24
        .size:           8
        .value_kind:     by_value
      - .address_space:  global
        .offset:         32
        .size:           8
        .value_kind:     global_buffer
      - .offset:         40
        .size:           8
        .value_kind:     by_value
      - .offset:         48
        .size:           8
        .value_kind:     by_value
      - .offset:         56
        .size:           8
        .value_kind:     by_value
      - .actual_access:  read_only
        .address_space:  global
        .offset:         64
        .size:           8
        .value_kind:     global_buffer
      - .offset:         72
        .size:           4
        .value_kind:     by_value
      - .offset:         80
        .size:           4
        .value_kind:     hidden_block_count_x
      - .offset:         84
        .size:           4
        .value_kind:     hidden_block_count_y
      - .offset:         88
        .size:           4
        .value_kind:     hidden_block_count_z
      - .offset:         92
        .size:           2
        .value_kind:     hidden_group_size_x
      - .offset:         94
        .size:           2
        .value_kind:     hidden_group_size_y
      - .offset:         96
        .size:           2
        .value_kind:     hidden_group_size_z
      - .offset:         98
        .size:           2
        .value_kind:     hidden_remainder_x
      - .offset:         100
        .size:           2
        .value_kind:     hidden_remainder_y
      - .offset:         102
        .size:           2
        .value_kind:     hidden_remainder_z
      - .offset:         120
        .size:           8
        .value_kind:     hidden_global_offset_x
      - .offset:         128
        .size:           8
        .value_kind:     hidden_global_offset_y
      - .offset:         136
        .size:           8
        .value_kind:     hidden_global_offset_z
      - .offset:         144
        .size:           2
        .value_kind:     hidden_grid_dims
    .group_segment_fixed_size: 0
    .kernarg_segment_align: 8
    .kernarg_segment_size: 336
    .language:       OpenCL C
    .language_version:
      - 2
      - 0
    .max_flat_workgroup_size: 64
    .name:           _ZL36rocblas_hemvn_kernel_lower_block_sumILi64ElfPffEviT1_lS1_lT2_lT0_lPT3_i
    .private_segment_fixed_size: 0
    .sgpr_count:     26
    .sgpr_spill_count: 0
    .symbol:         _ZL36rocblas_hemvn_kernel_lower_block_sumILi64ElfPffEviT1_lS1_lT2_lT0_lPT3_i.kd
    .uniform_work_group_size: 1
    .uses_dynamic_stack: false
    .vgpr_count:     7
    .vgpr_spill_count: 0
    .wavefront_size: 64
  - .agpr_count:     0
    .args:
      - .offset:         0
        .size:           4
        .value_kind:     by_value
      - .offset:         4
        .size:           4
        .value_kind:     by_value
      - .offset:         8
        .size:           8
        .value_kind:     by_value
      - .address_space:  global
        .offset:         16
        .size:           8
        .value_kind:     global_buffer
      - .offset:         24
        .size:           8
        .value_kind:     by_value
      - .offset:         32
        .size:           4
        .value_kind:     by_value
      - .offset:         40
        .size:           8
        .value_kind:     by_value
      - .address_space:  global
        .offset:         48
        .size:           8
        .value_kind:     global_buffer
      - .offset:         56
        .size:           8
        .value_kind:     by_value
      - .offset:         64
        .size:           4
        .value_kind:     by_value
      - .offset:         72
        .size:           8
        .value_kind:     by_value
      - .offset:         80
        .size:           4
        .value_kind:     by_value
      - .offset:         88
        .size:           8
        .value_kind:     by_value
      - .address_space:  global
        .offset:         96
        .size:           8
        .value_kind:     global_buffer
      - .offset:         104
        .size:           4
        .value_kind:     by_value
      - .offset:         112
        .size:           4
        .value_kind:     hidden_block_count_x
      - .offset:         116
        .size:           4
        .value_kind:     hidden_block_count_y
      - .offset:         120
        .size:           4
        .value_kind:     hidden_block_count_z
      - .offset:         124
        .size:           2
        .value_kind:     hidden_group_size_x
      - .offset:         126
        .size:           2
        .value_kind:     hidden_group_size_y
      - .offset:         128
        .size:           2
        .value_kind:     hidden_group_size_z
      - .offset:         130
        .size:           2
        .value_kind:     hidden_remainder_x
      - .offset:         132
        .size:           2
        .value_kind:     hidden_remainder_y
      - .offset:         134
        .size:           2
        .value_kind:     hidden_remainder_z
      - .offset:         152
        .size:           8
        .value_kind:     hidden_global_offset_x
      - .offset:         160
        .size:           8
        .value_kind:     hidden_global_offset_y
      - .offset:         168
        .size:           8
        .value_kind:     hidden_global_offset_z
      - .offset:         176
        .size:           2
        .value_kind:     hidden_grid_dims
    .group_segment_fixed_size: 4800
    .kernarg_segment_align: 8
    .kernarg_segment_size: 368
    .language:       OpenCL C
    .language_version:
      - 2
      - 0
    .max_flat_workgroup_size: 256
    .name:           _ZL26rocblas_hemvn_kernel_lowerILb0ELi64ELi4ELi33ELi32ELi16EifPKfPfEviT6_lT7_lT5_lS4_lS5_lS3_lT8_i
    .private_segment_fixed_size: 0
    .sgpr_count:     54
    .sgpr_spill_count: 0
    .symbol:         _ZL26rocblas_hemvn_kernel_lowerILb0ELi64ELi4ELi33ELi32ELi16EifPKfPfEviT6_lT7_lT5_lS4_lS5_lS3_lT8_i.kd
    .uniform_work_group_size: 1
    .uses_dynamic_stack: false
    .vgpr_count:     66
    .vgpr_spill_count: 0
    .wavefront_size: 64
  - .agpr_count:     0
    .args:
      - .offset:         0
        .size:           4
        .value_kind:     by_value
      - .offset:         4
        .size:           4
        .value_kind:     by_value
      - .offset:         8
        .size:           8
        .value_kind:     by_value
      - .offset:         16
        .size:           4
        .value_kind:     by_value
      - .offset:         24
        .size:           8
        .value_kind:     by_value
      - .address_space:  global
        .offset:         32
        .size:           8
        .value_kind:     global_buffer
      - .offset:         40
        .size:           8
        .value_kind:     by_value
      - .offset:         48
        .size:           4
        .value_kind:     by_value
      - .offset:         56
        .size:           8
        .value_kind:     by_value
      - .actual_access:  read_only
        .address_space:  global
        .offset:         64
        .size:           8
        .value_kind:     global_buffer
      - .offset:         72
        .size:           4
        .value_kind:     by_value
      - .offset:         80
        .size:           4
        .value_kind:     hidden_block_count_x
      - .offset:         84
        .size:           4
        .value_kind:     hidden_block_count_y
      - .offset:         88
        .size:           4
        .value_kind:     hidden_block_count_z
      - .offset:         92
        .size:           2
        .value_kind:     hidden_group_size_x
      - .offset:         94
        .size:           2
        .value_kind:     hidden_group_size_y
      - .offset:         96
        .size:           2
        .value_kind:     hidden_group_size_z
      - .offset:         98
        .size:           2
        .value_kind:     hidden_remainder_x
      - .offset:         100
        .size:           2
        .value_kind:     hidden_remainder_y
      - .offset:         102
        .size:           2
        .value_kind:     hidden_remainder_z
      - .offset:         120
        .size:           8
        .value_kind:     hidden_global_offset_x
      - .offset:         128
        .size:           8
        .value_kind:     hidden_global_offset_y
      - .offset:         136
        .size:           8
        .value_kind:     hidden_global_offset_z
      - .offset:         144
        .size:           2
        .value_kind:     hidden_grid_dims
    .group_segment_fixed_size: 0
    .kernarg_segment_align: 8
    .kernarg_segment_size: 336
    .language:       OpenCL C
    .language_version:
      - 2
      - 0
    .max_flat_workgroup_size: 64
    .name:           _ZL36rocblas_hemvn_kernel_lower_block_sumILi64EifPffEviT1_lS1_lT2_lT0_lPT3_i
    .private_segment_fixed_size: 0
    .sgpr_count:     26
    .sgpr_spill_count: 0
    .symbol:         _ZL36rocblas_hemvn_kernel_lower_block_sumILi64EifPffEviT1_lS1_lT2_lT0_lPT3_i.kd
    .uniform_work_group_size: 1
    .uses_dynamic_stack: false
    .vgpr_count:     6
    .vgpr_spill_count: 0
    .wavefront_size: 64
  - .agpr_count:     0
    .args:
      - .offset:         0
        .size:           1
        .value_kind:     by_value
      - .offset:         4
        .size:           4
        .value_kind:     by_value
      - .offset:         8
        .size:           8
        .value_kind:     by_value
      - .offset:         16
        .size:           8
        .value_kind:     by_value
      - .address_space:  global
        .offset:         24
        .size:           8
        .value_kind:     global_buffer
      - .offset:         32
        .size:           8
        .value_kind:     by_value
      - .offset:         40
        .size:           8
        .value_kind:     by_value
      - .offset:         48
        .size:           8
        .value_kind:     by_value
      - .address_space:  global
        .offset:         56
        .size:           8
        .value_kind:     global_buffer
      - .offset:         64
        .size:           8
        .value_kind:     by_value
      - .offset:         72
        .size:           8
        .value_kind:     by_value
      - .offset:         80
        .size:           8
        .value_kind:     by_value
      - .offset:         88
        .size:           8
        .value_kind:     by_value
      - .offset:         96
        .size:           8
        .value_kind:     by_value
      - .address_space:  global
        .offset:         104
        .size:           8
        .value_kind:     global_buffer
      - .offset:         112
        .size:           8
        .value_kind:     by_value
      - .offset:         120
        .size:           8
        .value_kind:     by_value
      - .offset:         128
        .size:           8
        .value_kind:     by_value
      - .offset:         136
        .size:           4
        .value_kind:     by_value
    .group_segment_fixed_size: 10496
    .kernarg_segment_align: 8
    .kernarg_segment_size: 140
    .language:       OpenCL C
    .language_version:
      - 2
      - 0
    .max_flat_workgroup_size: 128
    .name:           _ZL50rocblas_symv_kernel_upper_double_buffered_diagonalILi32ELi4E24rocblas_internal_val_ptrIdEPKdPdEvbiT1_lT2_lllS6_lllS5_lT3_llli
    .private_segment_fixed_size: 0
    .sgpr_count:     38
    .sgpr_spill_count: 0
    .symbol:         _ZL50rocblas_symv_kernel_upper_double_buffered_diagonalILi32ELi4E24rocblas_internal_val_ptrIdEPKdPdEvbiT1_lT2_lllS6_lllS5_lT3_llli.kd
    .uniform_work_group_size: 1
    .uses_dynamic_stack: false
    .vgpr_count:     34
    .vgpr_spill_count: 0
    .wavefront_size: 64
  - .agpr_count:     0
    .args:
      - .offset:         0
        .size:           1
        .value_kind:     by_value
      - .offset:         4
        .size:           4
        .value_kind:     by_value
      - .offset:         8
        .size:           8
        .value_kind:     by_value
      - .offset:         16
        .size:           8
        .value_kind:     by_value
      - .address_space:  global
        .offset:         24
        .size:           8
        .value_kind:     global_buffer
      - .offset:         32
        .size:           8
        .value_kind:     by_value
      - .offset:         40
        .size:           8
        .value_kind:     by_value
      - .offset:         48
        .size:           8
        .value_kind:     by_value
      - .address_space:  global
        .offset:         56
        .size:           8
        .value_kind:     global_buffer
      - .offset:         64
        .size:           8
        .value_kind:     by_value
      - .offset:         72
        .size:           8
        .value_kind:     by_value
      - .offset:         80
        .size:           8
        .value_kind:     by_value
      - .address_space:  global
        .offset:         88
        .size:           8
        .value_kind:     global_buffer
      - .offset:         96
        .size:           8
        .value_kind:     by_value
      - .offset:         104
        .size:           8
        .value_kind:     by_value
      - .offset:         112
        .size:           8
        .value_kind:     by_value
      - .offset:         120
        .size:           4
        .value_kind:     by_value
      - .offset:         128
        .size:           4
        .value_kind:     hidden_block_count_x
      - .offset:         132
        .size:           4
        .value_kind:     hidden_block_count_y
      - .offset:         136
        .size:           4
        .value_kind:     hidden_block_count_z
      - .offset:         140
        .size:           2
        .value_kind:     hidden_group_size_x
      - .offset:         142
        .size:           2
        .value_kind:     hidden_group_size_y
      - .offset:         144
        .size:           2
        .value_kind:     hidden_group_size_z
      - .offset:         146
        .size:           2
        .value_kind:     hidden_remainder_x
      - .offset:         148
        .size:           2
        .value_kind:     hidden_remainder_y
      - .offset:         150
        .size:           2
        .value_kind:     hidden_remainder_z
      - .offset:         168
        .size:           8
        .value_kind:     hidden_global_offset_x
      - .offset:         176
        .size:           8
        .value_kind:     hidden_global_offset_y
      - .offset:         184
        .size:           8
        .value_kind:     hidden_global_offset_z
      - .offset:         192
        .size:           2
        .value_kind:     hidden_grid_dims
    .group_segment_fixed_size: 6400
    .kernarg_segment_align: 8
    .kernarg_segment_size: 384
    .language:       OpenCL C
    .language_version:
      - 2
      - 0
    .max_flat_workgroup_size: 128
    .name:           _ZL54rocblas_symv_kernel_upper_double_buffered_non_diagonalILi32ELi4ELi4E24rocblas_internal_val_ptrIdEPKdPdEvbiT2_lT3_lllS6_lllT4_llli
    .private_segment_fixed_size: 0
    .sgpr_count:     48
    .sgpr_spill_count: 0
    .symbol:         _ZL54rocblas_symv_kernel_upper_double_buffered_non_diagonalILi32ELi4ELi4E24rocblas_internal_val_ptrIdEPKdPdEvbiT2_lT3_lllS6_lllT4_llli.kd
    .uniform_work_group_size: 1
    .uses_dynamic_stack: false
    .vgpr_count:     76
    .vgpr_spill_count: 0
    .wavefront_size: 64
  - .agpr_count:     0
    .args:
      - .offset:         0
        .size:           1
        .value_kind:     by_value
      - .offset:         4
        .size:           4
        .value_kind:     by_value
      - .offset:         8
        .size:           8
        .value_kind:     by_value
      - .offset:         16
        .size:           8
        .value_kind:     by_value
      - .address_space:  global
        .offset:         24
        .size:           8
        .value_kind:     global_buffer
      - .offset:         32
        .size:           8
        .value_kind:     by_value
      - .offset:         40
        .size:           8
        .value_kind:     by_value
      - .offset:         48
        .size:           8
        .value_kind:     by_value
      - .address_space:  global
        .offset:         56
        .size:           8
        .value_kind:     global_buffer
      - .offset:         64
        .size:           8
        .value_kind:     by_value
      - .offset:         72
        .size:           8
        .value_kind:     by_value
      - .offset:         80
        .size:           8
        .value_kind:     by_value
      - .offset:         88
        .size:           8
        .value_kind:     by_value
      - .offset:         96
        .size:           8
        .value_kind:     by_value
      - .address_space:  global
        .offset:         104
        .size:           8
        .value_kind:     global_buffer
      - .offset:         112
        .size:           8
        .value_kind:     by_value
      - .offset:         120
        .size:           8
        .value_kind:     by_value
      - .offset:         128
        .size:           8
        .value_kind:     by_value
      - .offset:         136
        .size:           4
        .value_kind:     by_value
      - .offset:         140
        .size:           4
        .value_kind:     by_value
      - .offset:         144
        .size:           4
        .value_kind:     hidden_block_count_x
      - .offset:         148
        .size:           4
        .value_kind:     hidden_block_count_y
      - .offset:         152
        .size:           4
        .value_kind:     hidden_block_count_z
      - .offset:         156
        .size:           2
        .value_kind:     hidden_group_size_x
      - .offset:         158
        .size:           2
        .value_kind:     hidden_group_size_y
      - .offset:         160
        .size:           2
        .value_kind:     hidden_group_size_z
      - .offset:         162
        .size:           2
        .value_kind:     hidden_remainder_x
      - .offset:         164
        .size:           2
        .value_kind:     hidden_remainder_y
      - .offset:         166
        .size:           2
        .value_kind:     hidden_remainder_z
      - .offset:         184
        .size:           8
        .value_kind:     hidden_global_offset_x
      - .offset:         192
        .size:           8
        .value_kind:     hidden_global_offset_y
      - .offset:         200
        .size:           8
        .value_kind:     hidden_global_offset_z
      - .offset:         208
        .size:           2
        .value_kind:     hidden_grid_dims
    .group_segment_fixed_size: 12544
    .kernarg_segment_align: 8
    .kernarg_segment_size: 400
    .language:       OpenCL C
    .language_version:
      - 2
      - 0
    .max_flat_workgroup_size: 256
    .name:           _ZL58rocblas_symv_kernel_upper_double_buffered_diagonal_genericILi32ELi8E24rocblas_internal_val_ptrIdEPKdPdEvbiT1_lT2_lllS6_lllS5_lT3_lllii
    .private_segment_fixed_size: 0
    .sgpr_count:     46
    .sgpr_spill_count: 0
    .symbol:         _ZL58rocblas_symv_kernel_upper_double_buffered_diagonal_genericILi32ELi8E24rocblas_internal_val_ptrIdEPKdPdEvbiT1_lT2_lllS6_lllS5_lT3_lllii.kd
    .uniform_work_group_size: 1
    .uses_dynamic_stack: false
    .vgpr_count:     32
    .vgpr_spill_count: 0
    .wavefront_size: 64
  - .agpr_count:     0
    .args:
      - .offset:         0
        .size:           1
        .value_kind:     by_value
      - .offset:         4
        .size:           4
        .value_kind:     by_value
      - .offset:         8
        .size:           8
        .value_kind:     by_value
      - .offset:         16
        .size:           8
        .value_kind:     by_value
      - .address_space:  global
        .offset:         24
        .size:           8
        .value_kind:     global_buffer
      - .offset:         32
        .size:           8
        .value_kind:     by_value
      - .offset:         40
        .size:           8
        .value_kind:     by_value
      - .offset:         48
        .size:           8
        .value_kind:     by_value
      - .address_space:  global
        .offset:         56
        .size:           8
        .value_kind:     global_buffer
      - .offset:         64
        .size:           8
        .value_kind:     by_value
      - .offset:         72
        .size:           8
        .value_kind:     by_value
      - .offset:         80
        .size:           8
        .value_kind:     by_value
      - .address_space:  global
        .offset:         88
        .size:           8
        .value_kind:     global_buffer
      - .offset:         96
        .size:           8
        .value_kind:     by_value
      - .offset:         104
        .size:           8
        .value_kind:     by_value
      - .offset:         112
        .size:           8
        .value_kind:     by_value
      - .offset:         120
        .size:           4
        .value_kind:     by_value
      - .offset:         124
        .size:           4
        .value_kind:     by_value
      - .offset:         128
        .size:           4
        .value_kind:     hidden_block_count_x
      - .offset:         132
        .size:           4
        .value_kind:     hidden_block_count_y
      - .offset:         136
        .size:           4
        .value_kind:     hidden_block_count_z
      - .offset:         140
        .size:           2
        .value_kind:     hidden_group_size_x
      - .offset:         142
        .size:           2
        .value_kind:     hidden_group_size_y
      - .offset:         144
        .size:           2
        .value_kind:     hidden_group_size_z
      - .offset:         146
        .size:           2
        .value_kind:     hidden_remainder_x
      - .offset:         148
        .size:           2
        .value_kind:     hidden_remainder_y
      - .offset:         150
        .size:           2
        .value_kind:     hidden_remainder_z
      - .offset:         168
        .size:           8
        .value_kind:     hidden_global_offset_x
      - .offset:         176
        .size:           8
        .value_kind:     hidden_global_offset_y
      - .offset:         184
        .size:           8
        .value_kind:     hidden_global_offset_z
      - .offset:         192
        .size:           2
        .value_kind:     hidden_grid_dims
    .group_segment_fixed_size: 8448
    .kernarg_segment_align: 8
    .kernarg_segment_size: 384
    .language:       OpenCL C
    .language_version:
      - 2
      - 0
    .max_flat_workgroup_size: 256
    .name:           _ZL62rocblas_symv_kernel_upper_double_buffered_non_diagonal_genericILi32ELi8ELi2ELi0E24rocblas_internal_val_ptrIdEPKdPdEvbiT3_lT4_lllS6_lllT5_lllii
    .private_segment_fixed_size: 0
    .sgpr_count:     56
    .sgpr_spill_count: 0
    .symbol:         _ZL62rocblas_symv_kernel_upper_double_buffered_non_diagonal_genericILi32ELi8ELi2ELi0E24rocblas_internal_val_ptrIdEPKdPdEvbiT3_lT4_lllS6_lllT5_lllii.kd
    .uniform_work_group_size: 1
    .uses_dynamic_stack: false
    .vgpr_count:     63
    .vgpr_spill_count: 0
    .wavefront_size: 64
  - .agpr_count:     0
    .args:
      - .offset:         0
        .size:           1
        .value_kind:     by_value
      - .offset:         4
        .size:           4
        .value_kind:     by_value
      - .offset:         8
        .size:           8
        .value_kind:     by_value
      - .offset:         16
        .size:           8
        .value_kind:     by_value
      - .address_space:  global
        .offset:         24
        .size:           8
        .value_kind:     global_buffer
      - .offset:         32
        .size:           8
        .value_kind:     by_value
      - .offset:         40
        .size:           8
        .value_kind:     by_value
      - .offset:         48
        .size:           8
        .value_kind:     by_value
      - .address_space:  global
        .offset:         56
        .size:           8
        .value_kind:     global_buffer
      - .offset:         64
        .size:           8
        .value_kind:     by_value
      - .offset:         72
        .size:           8
        .value_kind:     by_value
      - .offset:         80
        .size:           8
        .value_kind:     by_value
      - .address_space:  global
        .offset:         88
        .size:           8
        .value_kind:     global_buffer
      - .offset:         96
        .size:           8
        .value_kind:     by_value
      - .offset:         104
        .size:           8
        .value_kind:     by_value
      - .offset:         112
        .size:           8
        .value_kind:     by_value
      - .offset:         120
        .size:           4
        .value_kind:     by_value
      - .offset:         124
        .size:           4
        .value_kind:     by_value
      - .offset:         128
        .size:           4
        .value_kind:     hidden_block_count_x
      - .offset:         132
        .size:           4
        .value_kind:     hidden_block_count_y
      - .offset:         136
        .size:           4
        .value_kind:     hidden_block_count_z
      - .offset:         140
        .size:           2
        .value_kind:     hidden_group_size_x
      - .offset:         142
        .size:           2
        .value_kind:     hidden_group_size_y
      - .offset:         144
        .size:           2
        .value_kind:     hidden_group_size_z
      - .offset:         146
        .size:           2
        .value_kind:     hidden_remainder_x
      - .offset:         148
        .size:           2
        .value_kind:     hidden_remainder_y
      - .offset:         150
        .size:           2
        .value_kind:     hidden_remainder_z
      - .offset:         168
        .size:           8
        .value_kind:     hidden_global_offset_x
      - .offset:         176
        .size:           8
        .value_kind:     hidden_global_offset_y
      - .offset:         184
        .size:           8
        .value_kind:     hidden_global_offset_z
      - .offset:         192
        .size:           2
        .value_kind:     hidden_grid_dims
    .group_segment_fixed_size: 8448
    .kernarg_segment_align: 8
    .kernarg_segment_size: 384
    .language:       OpenCL C
    .language_version:
      - 2
      - 0
    .max_flat_workgroup_size: 256
    .name:           _ZL62rocblas_symv_kernel_upper_double_buffered_non_diagonal_genericILi32ELi8ELi2ELi1E24rocblas_internal_val_ptrIdEPKdPdEvbiT3_lT4_lllS6_lllT5_lllii
    .private_segment_fixed_size: 0
    .sgpr_count:     58
    .sgpr_spill_count: 0
    .symbol:         _ZL62rocblas_symv_kernel_upper_double_buffered_non_diagonal_genericILi32ELi8ELi2ELi1E24rocblas_internal_val_ptrIdEPKdPdEvbiT3_lT4_lllS6_lllT5_lllii.kd
    .uniform_work_group_size: 1
    .uses_dynamic_stack: false
    .vgpr_count:     61
    .vgpr_spill_count: 0
    .wavefront_size: 64
  - .agpr_count:     0
    .args:
      - .offset:         0
        .size:           4
        .value_kind:     by_value
      - .address_space:  global
        .offset:         8
        .size:           8
        .value_kind:     global_buffer
      - .offset:         16
        .size:           8
        .value_kind:     by_value
      - .address_space:  global
        .offset:         24
        .size:           8
        .value_kind:     global_buffer
      - .offset:         32
        .size:           8
        .value_kind:     by_value
      - .offset:         40
        .size:           8
        .value_kind:     by_value
      - .offset:         48
        .size:           8
        .value_kind:     by_value
      - .address_space:  global
        .offset:         56
        .size:           8
        .value_kind:     global_buffer
      - .offset:         64
        .size:           8
        .value_kind:     by_value
      - .offset:         72
        .size:           8
        .value_kind:     by_value
      - .offset:         80
        .size:           8
        .value_kind:     by_value
      - .address_space:  global
        .offset:         88
        .size:           8
        .value_kind:     global_buffer
      - .offset:         96
        .size:           8
        .value_kind:     by_value
      - .address_space:  global
        .offset:         104
        .size:           8
        .value_kind:     global_buffer
      - .offset:         112
        .size:           4
        .value_kind:     by_value
      - .offset:         120
        .size:           4
        .value_kind:     hidden_block_count_x
      - .offset:         124
        .size:           4
        .value_kind:     hidden_block_count_y
      - .offset:         128
        .size:           4
        .value_kind:     hidden_block_count_z
      - .offset:         132
        .size:           2
        .value_kind:     hidden_group_size_x
      - .offset:         134
        .size:           2
        .value_kind:     hidden_group_size_y
      - .offset:         136
        .size:           2
        .value_kind:     hidden_group_size_z
      - .offset:         138
        .size:           2
        .value_kind:     hidden_remainder_x
      - .offset:         140
        .size:           2
        .value_kind:     hidden_remainder_y
      - .offset:         142
        .size:           2
        .value_kind:     hidden_remainder_z
      - .offset:         160
        .size:           8
        .value_kind:     hidden_global_offset_x
      - .offset:         168
        .size:           8
        .value_kind:     hidden_global_offset_y
      - .offset:         176
        .size:           8
        .value_kind:     hidden_global_offset_z
      - .offset:         184
        .size:           2
        .value_kind:     hidden_grid_dims
    .group_segment_fixed_size: 9600
    .kernarg_segment_align: 8
    .kernarg_segment_size: 376
    .language:       OpenCL C
    .language_version:
      - 2
      - 0
    .max_flat_workgroup_size: 256
    .name:           _ZL26rocblas_hemvn_kernel_upperILb0ELi64ELi4ELi33ELi32ELi16ElPKdS1_PdEviT6_lT7_lT5_lS4_lS5_lS3_lT8_i
    .private_segment_fixed_size: 0
    .sgpr_count:     44
    .sgpr_spill_count: 0
    .symbol:         _ZL26rocblas_hemvn_kernel_upperILb0ELi64ELi4ELi33ELi32ELi16ElPKdS1_PdEviT6_lT7_lT5_lS4_lS5_lS3_lT8_i.kd
    .uniform_work_group_size: 1
    .uses_dynamic_stack: false
    .vgpr_count:     152
    .vgpr_spill_count: 0
    .wavefront_size: 64
  - .agpr_count:     0
    .args:
      - .offset:         0
        .size:           4
        .value_kind:     by_value
      - .address_space:  global
        .offset:         8
        .size:           8
        .value_kind:     global_buffer
      - .offset:         16
        .size:           8
        .value_kind:     by_value
      - .address_space:  global
        .offset:         24
        .size:           8
        .value_kind:     global_buffer
      - .offset:         32
        .size:           8
        .value_kind:     by_value
      - .address_space:  global
        .offset:         40
        .size:           8
        .value_kind:     global_buffer
      - .offset:         48
        .size:           8
        .value_kind:     by_value
      - .offset:         56
        .size:           8
        .value_kind:     by_value
      - .offset:         64
        .size:           8
        .value_kind:     by_value
      - .address_space:  global
        .offset:         72
        .size:           8
        .value_kind:     global_buffer
      - .offset:         80
        .size:           4
        .value_kind:     by_value
      - .offset:         88
        .size:           4
        .value_kind:     hidden_block_count_x
      - .offset:         92
        .size:           4
        .value_kind:     hidden_block_count_y
      - .offset:         96
        .size:           4
        .value_kind:     hidden_block_count_z
      - .offset:         100
        .size:           2
        .value_kind:     hidden_group_size_x
      - .offset:         102
        .size:           2
        .value_kind:     hidden_group_size_y
      - .offset:         104
        .size:           2
        .value_kind:     hidden_group_size_z
      - .offset:         106
        .size:           2
        .value_kind:     hidden_remainder_x
      - .offset:         108
        .size:           2
        .value_kind:     hidden_remainder_y
      - .offset:         110
        .size:           2
        .value_kind:     hidden_remainder_z
      - .offset:         128
        .size:           8
        .value_kind:     hidden_global_offset_x
      - .offset:         136
        .size:           8
        .value_kind:     hidden_global_offset_y
      - .offset:         144
        .size:           8
        .value_kind:     hidden_global_offset_z
      - .offset:         152
        .size:           2
        .value_kind:     hidden_grid_dims
    .group_segment_fixed_size: 0
    .kernarg_segment_align: 8
    .kernarg_segment_size: 344
    .language:       OpenCL C
    .language_version:
      - 2
      - 0
    .max_flat_workgroup_size: 64
    .name:           _ZL36rocblas_hemvn_kernel_upper_block_sumILi64ElPKdPddEviT1_lS3_lT2_lT0_lPT3_i
    .private_segment_fixed_size: 0
    .sgpr_count:     30
    .sgpr_spill_count: 0
    .symbol:         _ZL36rocblas_hemvn_kernel_upper_block_sumILi64ElPKdPddEviT1_lS3_lT2_lT0_lPT3_i.kd
    .uniform_work_group_size: 1
    .uses_dynamic_stack: false
    .vgpr_count:     9
    .vgpr_spill_count: 0
    .wavefront_size: 64
  - .agpr_count:     0
    .args:
      - .offset:         0
        .size:           4
        .value_kind:     by_value
      - .address_space:  global
        .offset:         8
        .size:           8
        .value_kind:     global_buffer
      - .offset:         16
        .size:           8
        .value_kind:     by_value
      - .address_space:  global
        .offset:         24
        .size:           8
        .value_kind:     global_buffer
      - .offset:         32
        .size:           8
        .value_kind:     by_value
      - .offset:         40
        .size:           4
        .value_kind:     by_value
      - .offset:         48
        .size:           8
        .value_kind:     by_value
      - .address_space:  global
        .offset:         56
        .size:           8
        .value_kind:     global_buffer
      - .offset:         64
        .size:           8
        .value_kind:     by_value
      - .offset:         72
        .size:           4
        .value_kind:     by_value
      - .offset:         80
        .size:           8
        .value_kind:     by_value
      - .address_space:  global
        .offset:         88
        .size:           8
        .value_kind:     global_buffer
      - .offset:         96
        .size:           8
        .value_kind:     by_value
      - .address_space:  global
        .offset:         104
        .size:           8
        .value_kind:     global_buffer
      - .offset:         112
        .size:           4
        .value_kind:     by_value
      - .offset:         120
        .size:           4
        .value_kind:     hidden_block_count_x
      - .offset:         124
        .size:           4
        .value_kind:     hidden_block_count_y
      - .offset:         128
        .size:           4
        .value_kind:     hidden_block_count_z
      - .offset:         132
        .size:           2
        .value_kind:     hidden_group_size_x
      - .offset:         134
        .size:           2
        .value_kind:     hidden_group_size_y
      - .offset:         136
        .size:           2
        .value_kind:     hidden_group_size_z
      - .offset:         138
        .size:           2
        .value_kind:     hidden_remainder_x
      - .offset:         140
        .size:           2
        .value_kind:     hidden_remainder_y
      - .offset:         142
        .size:           2
        .value_kind:     hidden_remainder_z
      - .offset:         160
        .size:           8
        .value_kind:     hidden_global_offset_x
      - .offset:         168
        .size:           8
        .value_kind:     hidden_global_offset_y
      - .offset:         176
        .size:           8
        .value_kind:     hidden_global_offset_z
      - .offset:         184
        .size:           2
        .value_kind:     hidden_grid_dims
    .group_segment_fixed_size: 9600
    .kernarg_segment_align: 8
    .kernarg_segment_size: 376
    .language:       OpenCL C
    .language_version:
      - 2
      - 0
    .max_flat_workgroup_size: 256
    .name:           _ZL26rocblas_hemvn_kernel_upperILb0ELi64ELi4ELi33ELi32ELi16EiPKdS1_PdEviT6_lT7_lT5_lS4_lS5_lS3_lT8_i
    .private_segment_fixed_size: 0
    .sgpr_count:     51
    .sgpr_spill_count: 0
    .symbol:         _ZL26rocblas_hemvn_kernel_upperILb0ELi64ELi4ELi33ELi32ELi16EiPKdS1_PdEviT6_lT7_lT5_lS4_lS5_lS3_lT8_i.kd
    .uniform_work_group_size: 1
    .uses_dynamic_stack: false
    .vgpr_count:     170
    .vgpr_spill_count: 0
    .wavefront_size: 64
  - .agpr_count:     0
    .args:
      - .offset:         0
        .size:           4
        .value_kind:     by_value
      - .address_space:  global
        .offset:         8
        .size:           8
        .value_kind:     global_buffer
      - .offset:         16
        .size:           8
        .value_kind:     by_value
      - .address_space:  global
        .offset:         24
        .size:           8
        .value_kind:     global_buffer
      - .offset:         32
        .size:           8
        .value_kind:     by_value
      - .address_space:  global
        .offset:         40
        .size:           8
        .value_kind:     global_buffer
      - .offset:         48
        .size:           8
        .value_kind:     by_value
      - .offset:         56
        .size:           4
        .value_kind:     by_value
      - .offset:         64
        .size:           8
        .value_kind:     by_value
      - .address_space:  global
        .offset:         72
        .size:           8
        .value_kind:     global_buffer
      - .offset:         80
        .size:           4
        .value_kind:     by_value
      - .offset:         88
        .size:           4
        .value_kind:     hidden_block_count_x
      - .offset:         92
        .size:           4
        .value_kind:     hidden_block_count_y
      - .offset:         96
        .size:           4
        .value_kind:     hidden_block_count_z
      - .offset:         100
        .size:           2
        .value_kind:     hidden_group_size_x
      - .offset:         102
        .size:           2
        .value_kind:     hidden_group_size_y
      - .offset:         104
        .size:           2
        .value_kind:     hidden_group_size_z
      - .offset:         106
        .size:           2
        .value_kind:     hidden_remainder_x
      - .offset:         108
        .size:           2
        .value_kind:     hidden_remainder_y
      - .offset:         110
        .size:           2
        .value_kind:     hidden_remainder_z
      - .offset:         128
        .size:           8
        .value_kind:     hidden_global_offset_x
      - .offset:         136
        .size:           8
        .value_kind:     hidden_global_offset_y
      - .offset:         144
        .size:           8
        .value_kind:     hidden_global_offset_z
      - .offset:         152
        .size:           2
        .value_kind:     hidden_grid_dims
    .group_segment_fixed_size: 0
    .kernarg_segment_align: 8
    .kernarg_segment_size: 344
    .language:       OpenCL C
    .language_version:
      - 2
      - 0
    .max_flat_workgroup_size: 64
    .name:           _ZL36rocblas_hemvn_kernel_upper_block_sumILi64EiPKdPddEviT1_lS3_lT2_lT0_lPT3_i
    .private_segment_fixed_size: 0
    .sgpr_count:     34
    .sgpr_spill_count: 0
    .symbol:         _ZL36rocblas_hemvn_kernel_upper_block_sumILi64EiPKdPddEviT1_lS3_lT2_lT0_lPT3_i.kd
    .uniform_work_group_size: 1
    .uses_dynamic_stack: false
    .vgpr_count:     8
    .vgpr_spill_count: 0
    .wavefront_size: 64
  - .agpr_count:     0
    .args:
      - .offset:         0
        .size:           4
        .value_kind:     by_value
      - .offset:         8
        .size:           8
        .value_kind:     by_value
      - .offset:         16
        .size:           8
        .value_kind:     by_value
      - .address_space:  global
        .offset:         24
        .size:           8
        .value_kind:     global_buffer
      - .offset:         32
        .size:           8
        .value_kind:     by_value
      - .offset:         40
        .size:           8
        .value_kind:     by_value
      - .offset:         48
        .size:           8
        .value_kind:     by_value
      - .address_space:  global
        .offset:         56
        .size:           8
        .value_kind:     global_buffer
      - .offset:         64
        .size:           8
        .value_kind:     by_value
      - .offset:         72
        .size:           8
        .value_kind:     by_value
      - .offset:         80
        .size:           8
        .value_kind:     by_value
      - .offset:         88
        .size:           8
        .value_kind:     by_value
      - .offset:         96
        .size:           8
        .value_kind:     by_value
      - .address_space:  global
        .offset:         104
        .size:           8
        .value_kind:     global_buffer
      - .offset:         112
        .size:           4
        .value_kind:     by_value
      - .offset:         120
        .size:           4
        .value_kind:     hidden_block_count_x
      - .offset:         124
        .size:           4
        .value_kind:     hidden_block_count_y
      - .offset:         128
        .size:           4
        .value_kind:     hidden_block_count_z
      - .offset:         132
        .size:           2
        .value_kind:     hidden_group_size_x
      - .offset:         134
        .size:           2
        .value_kind:     hidden_group_size_y
      - .offset:         136
        .size:           2
        .value_kind:     hidden_group_size_z
      - .offset:         138
        .size:           2
        .value_kind:     hidden_remainder_x
      - .offset:         140
        .size:           2
        .value_kind:     hidden_remainder_y
      - .offset:         142
        .size:           2
        .value_kind:     hidden_remainder_z
      - .offset:         160
        .size:           8
        .value_kind:     hidden_global_offset_x
      - .offset:         168
        .size:           8
        .value_kind:     hidden_global_offset_y
      - .offset:         176
        .size:           8
        .value_kind:     hidden_global_offset_z
      - .offset:         184
        .size:           2
        .value_kind:     hidden_grid_dims
    .group_segment_fixed_size: 9600
    .kernarg_segment_align: 8
    .kernarg_segment_size: 376
    .language:       OpenCL C
    .language_version:
      - 2
      - 0
    .max_flat_workgroup_size: 256
    .name:           _ZL26rocblas_hemvn_kernel_upperILb0ELi64ELi4ELi33ELi32ELi16EldPKdPdEviT6_lT7_lT5_lS4_lS5_lS3_lT8_i
    .private_segment_fixed_size: 0
    .sgpr_count:     44
    .sgpr_spill_count: 0
    .symbol:         _ZL26rocblas_hemvn_kernel_upperILb0ELi64ELi4ELi33ELi32ELi16EldPKdPdEviT6_lT7_lT5_lS4_lS5_lS3_lT8_i.kd
    .uniform_work_group_size: 1
    .uses_dynamic_stack: false
    .vgpr_count:     152
    .vgpr_spill_count: 0
    .wavefront_size: 64
  - .agpr_count:     0
    .args:
      - .offset:         0
        .size:           4
        .value_kind:     by_value
      - .offset:         8
        .size:           8
        .value_kind:     by_value
      - .offset:         16
        .size:           8
        .value_kind:     by_value
      - .offset:         24
        .size:           8
        .value_kind:     by_value
      - .offset:         32
        .size:           8
        .value_kind:     by_value
      - .address_space:  global
        .offset:         40
        .size:           8
        .value_kind:     global_buffer
      - .offset:         48
        .size:           8
        .value_kind:     by_value
      - .offset:         56
        .size:           8
        .value_kind:     by_value
      - .offset:         64
        .size:           8
        .value_kind:     by_value
      - .address_space:  global
        .offset:         72
        .size:           8
        .value_kind:     global_buffer
      - .offset:         80
        .size:           4
        .value_kind:     by_value
      - .offset:         88
        .size:           4
        .value_kind:     hidden_block_count_x
      - .offset:         92
        .size:           4
        .value_kind:     hidden_block_count_y
      - .offset:         96
        .size:           4
        .value_kind:     hidden_block_count_z
      - .offset:         100
        .size:           2
        .value_kind:     hidden_group_size_x
      - .offset:         102
        .size:           2
        .value_kind:     hidden_group_size_y
      - .offset:         104
        .size:           2
        .value_kind:     hidden_group_size_z
      - .offset:         106
        .size:           2
        .value_kind:     hidden_remainder_x
      - .offset:         108
        .size:           2
        .value_kind:     hidden_remainder_y
      - .offset:         110
        .size:           2
        .value_kind:     hidden_remainder_z
      - .offset:         128
        .size:           8
        .value_kind:     hidden_global_offset_x
      - .offset:         136
        .size:           8
        .value_kind:     hidden_global_offset_y
      - .offset:         144
        .size:           8
        .value_kind:     hidden_global_offset_z
      - .offset:         152
        .size:           2
        .value_kind:     hidden_grid_dims
    .group_segment_fixed_size: 0
    .kernarg_segment_align: 8
    .kernarg_segment_size: 344
    .language:       OpenCL C
    .language_version:
      - 2
      - 0
    .max_flat_workgroup_size: 64
    .name:           _ZL36rocblas_hemvn_kernel_upper_block_sumILi64EldPddEviT1_lS1_lT2_lT0_lPT3_i
    .private_segment_fixed_size: 0
    .sgpr_count:     30
    .sgpr_spill_count: 0
    .symbol:         _ZL36rocblas_hemvn_kernel_upper_block_sumILi64EldPddEviT1_lS1_lT2_lT0_lPT3_i.kd
    .uniform_work_group_size: 1
    .uses_dynamic_stack: false
    .vgpr_count:     9
    .vgpr_spill_count: 0
    .wavefront_size: 64
  - .agpr_count:     0
    .args:
      - .offset:         0
        .size:           4
        .value_kind:     by_value
      - .offset:         8
        .size:           8
        .value_kind:     by_value
      - .offset:         16
        .size:           8
        .value_kind:     by_value
      - .address_space:  global
        .offset:         24
        .size:           8
        .value_kind:     global_buffer
      - .offset:         32
        .size:           8
        .value_kind:     by_value
      - .offset:         40
        .size:           4
        .value_kind:     by_value
      - .offset:         48
        .size:           8
        .value_kind:     by_value
      - .address_space:  global
        .offset:         56
        .size:           8
        .value_kind:     global_buffer
      - .offset:         64
        .size:           8
        .value_kind:     by_value
      - .offset:         72
        .size:           4
        .value_kind:     by_value
      - .offset:         80
        .size:           8
        .value_kind:     by_value
      - .offset:         88
        .size:           8
        .value_kind:     by_value
      - .offset:         96
        .size:           8
        .value_kind:     by_value
      - .address_space:  global
        .offset:         104
        .size:           8
        .value_kind:     global_buffer
      - .offset:         112
        .size:           4
        .value_kind:     by_value
      - .offset:         120
        .size:           4
        .value_kind:     hidden_block_count_x
      - .offset:         124
        .size:           4
        .value_kind:     hidden_block_count_y
      - .offset:         128
        .size:           4
        .value_kind:     hidden_block_count_z
      - .offset:         132
        .size:           2
        .value_kind:     hidden_group_size_x
      - .offset:         134
        .size:           2
        .value_kind:     hidden_group_size_y
      - .offset:         136
        .size:           2
        .value_kind:     hidden_group_size_z
      - .offset:         138
        .size:           2
        .value_kind:     hidden_remainder_x
      - .offset:         140
        .size:           2
        .value_kind:     hidden_remainder_y
      - .offset:         142
        .size:           2
        .value_kind:     hidden_remainder_z
      - .offset:         160
        .size:           8
        .value_kind:     hidden_global_offset_x
      - .offset:         168
        .size:           8
        .value_kind:     hidden_global_offset_y
      - .offset:         176
        .size:           8
        .value_kind:     hidden_global_offset_z
      - .offset:         184
        .size:           2
        .value_kind:     hidden_grid_dims
    .group_segment_fixed_size: 9600
    .kernarg_segment_align: 8
    .kernarg_segment_size: 376
    .language:       OpenCL C
    .language_version:
      - 2
      - 0
    .max_flat_workgroup_size: 256
    .name:           _ZL26rocblas_hemvn_kernel_upperILb0ELi64ELi4ELi33ELi32ELi16EidPKdPdEviT6_lT7_lT5_lS4_lS5_lS3_lT8_i
    .private_segment_fixed_size: 0
    .sgpr_count:     51
    .sgpr_spill_count: 0
    .symbol:         _ZL26rocblas_hemvn_kernel_upperILb0ELi64ELi4ELi33ELi32ELi16EidPKdPdEviT6_lT7_lT5_lS4_lS5_lS3_lT8_i.kd
    .uniform_work_group_size: 1
    .uses_dynamic_stack: false
    .vgpr_count:     170
    .vgpr_spill_count: 0
    .wavefront_size: 64
  - .agpr_count:     0
    .args:
      - .offset:         0
        .size:           4
        .value_kind:     by_value
      - .offset:         8
        .size:           8
        .value_kind:     by_value
      - .offset:         16
        .size:           8
        .value_kind:     by_value
      - .offset:         24
        .size:           8
        .value_kind:     by_value
      - .offset:         32
        .size:           8
        .value_kind:     by_value
      - .address_space:  global
        .offset:         40
        .size:           8
        .value_kind:     global_buffer
      - .offset:         48
        .size:           8
        .value_kind:     by_value
      - .offset:         56
        .size:           4
        .value_kind:     by_value
      - .offset:         64
        .size:           8
        .value_kind:     by_value
      - .address_space:  global
        .offset:         72
        .size:           8
        .value_kind:     global_buffer
      - .offset:         80
        .size:           4
        .value_kind:     by_value
      - .offset:         88
        .size:           4
        .value_kind:     hidden_block_count_x
      - .offset:         92
        .size:           4
        .value_kind:     hidden_block_count_y
      - .offset:         96
        .size:           4
        .value_kind:     hidden_block_count_z
      - .offset:         100
        .size:           2
        .value_kind:     hidden_group_size_x
      - .offset:         102
        .size:           2
        .value_kind:     hidden_group_size_y
      - .offset:         104
        .size:           2
        .value_kind:     hidden_group_size_z
      - .offset:         106
        .size:           2
        .value_kind:     hidden_remainder_x
      - .offset:         108
        .size:           2
        .value_kind:     hidden_remainder_y
      - .offset:         110
        .size:           2
        .value_kind:     hidden_remainder_z
      - .offset:         128
        .size:           8
        .value_kind:     hidden_global_offset_x
      - .offset:         136
        .size:           8
        .value_kind:     hidden_global_offset_y
      - .offset:         144
        .size:           8
        .value_kind:     hidden_global_offset_z
      - .offset:         152
        .size:           2
        .value_kind:     hidden_grid_dims
    .group_segment_fixed_size: 0
    .kernarg_segment_align: 8
    .kernarg_segment_size: 344
    .language:       OpenCL C
    .language_version:
      - 2
      - 0
    .max_flat_workgroup_size: 64
    .name:           _ZL36rocblas_hemvn_kernel_upper_block_sumILi64EidPddEviT1_lS1_lT2_lT0_lPT3_i
    .private_segment_fixed_size: 0
    .sgpr_count:     34
    .sgpr_spill_count: 0
    .symbol:         _ZL36rocblas_hemvn_kernel_upper_block_sumILi64EidPddEviT1_lS1_lT2_lT0_lPT3_i.kd
    .uniform_work_group_size: 1
    .uses_dynamic_stack: false
    .vgpr_count:     8
    .vgpr_spill_count: 0
    .wavefront_size: 64
  - .agpr_count:     0
    .args:
      - .offset:         0
        .size:           1
        .value_kind:     by_value
      - .offset:         4
        .size:           4
        .value_kind:     by_value
      - .offset:         8
        .size:           8
        .value_kind:     by_value
      - .offset:         16
        .size:           8
        .value_kind:     by_value
      - .address_space:  global
        .offset:         24
        .size:           8
        .value_kind:     global_buffer
      - .offset:         32
        .size:           8
        .value_kind:     by_value
      - .offset:         40
        .size:           8
        .value_kind:     by_value
      - .offset:         48
        .size:           8
        .value_kind:     by_value
      - .address_space:  global
        .offset:         56
        .size:           8
        .value_kind:     global_buffer
      - .offset:         64
        .size:           8
        .value_kind:     by_value
      - .offset:         72
        .size:           8
        .value_kind:     by_value
      - .offset:         80
        .size:           8
        .value_kind:     by_value
      - .offset:         88
        .size:           8
        .value_kind:     by_value
      - .offset:         96
        .size:           8
        .value_kind:     by_value
      - .address_space:  global
        .offset:         104
        .size:           8
        .value_kind:     global_buffer
      - .offset:         112
        .size:           8
        .value_kind:     by_value
      - .offset:         120
        .size:           8
        .value_kind:     by_value
      - .offset:         128
        .size:           8
        .value_kind:     by_value
      - .offset:         136
        .size:           4
        .value_kind:     by_value
    .group_segment_fixed_size: 10496
    .kernarg_segment_align: 8
    .kernarg_segment_size: 140
    .language:       OpenCL C
    .language_version:
      - 2
      - 0
    .max_flat_workgroup_size: 128
    .name:           _ZL50rocblas_symv_kernel_lower_double_buffered_diagonalILi32ELi4E24rocblas_internal_val_ptrIdEPKdPdEvbiT1_lT2_lllS6_lllS5_lT3_llli
    .private_segment_fixed_size: 0
    .sgpr_count:     38
    .sgpr_spill_count: 0
    .symbol:         _ZL50rocblas_symv_kernel_lower_double_buffered_diagonalILi32ELi4E24rocblas_internal_val_ptrIdEPKdPdEvbiT1_lT2_lllS6_lllS5_lT3_llli.kd
    .uniform_work_group_size: 1
    .uses_dynamic_stack: false
    .vgpr_count:     34
    .vgpr_spill_count: 0
    .wavefront_size: 64
  - .agpr_count:     0
    .args:
      - .offset:         0
        .size:           1
        .value_kind:     by_value
      - .offset:         4
        .size:           4
        .value_kind:     by_value
      - .offset:         8
        .size:           8
        .value_kind:     by_value
      - .offset:         16
        .size:           8
        .value_kind:     by_value
      - .address_space:  global
        .offset:         24
        .size:           8
        .value_kind:     global_buffer
      - .offset:         32
        .size:           8
        .value_kind:     by_value
      - .offset:         40
        .size:           8
        .value_kind:     by_value
      - .offset:         48
        .size:           8
        .value_kind:     by_value
      - .address_space:  global
        .offset:         56
        .size:           8
        .value_kind:     global_buffer
      - .offset:         64
        .size:           8
        .value_kind:     by_value
      - .offset:         72
        .size:           8
        .value_kind:     by_value
      - .offset:         80
        .size:           8
        .value_kind:     by_value
      - .address_space:  global
        .offset:         88
        .size:           8
        .value_kind:     global_buffer
      - .offset:         96
        .size:           8
        .value_kind:     by_value
      - .offset:         104
        .size:           8
        .value_kind:     by_value
      - .offset:         112
        .size:           8
        .value_kind:     by_value
      - .offset:         120
        .size:           4
        .value_kind:     by_value
      - .offset:         128
        .size:           4
        .value_kind:     hidden_block_count_x
      - .offset:         132
        .size:           4
        .value_kind:     hidden_block_count_y
      - .offset:         136
        .size:           4
        .value_kind:     hidden_block_count_z
      - .offset:         140
        .size:           2
        .value_kind:     hidden_group_size_x
      - .offset:         142
        .size:           2
        .value_kind:     hidden_group_size_y
      - .offset:         144
        .size:           2
        .value_kind:     hidden_group_size_z
      - .offset:         146
        .size:           2
        .value_kind:     hidden_remainder_x
      - .offset:         148
        .size:           2
        .value_kind:     hidden_remainder_y
      - .offset:         150
        .size:           2
        .value_kind:     hidden_remainder_z
      - .offset:         168
        .size:           8
        .value_kind:     hidden_global_offset_x
      - .offset:         176
        .size:           8
        .value_kind:     hidden_global_offset_y
      - .offset:         184
        .size:           8
        .value_kind:     hidden_global_offset_z
      - .offset:         192
        .size:           2
        .value_kind:     hidden_grid_dims
    .group_segment_fixed_size: 6400
    .kernarg_segment_align: 8
    .kernarg_segment_size: 384
    .language:       OpenCL C
    .language_version:
      - 2
      - 0
    .max_flat_workgroup_size: 128
    .name:           _ZL54rocblas_symv_kernel_lower_double_buffered_non_diagonalILi32ELi4ELi4E24rocblas_internal_val_ptrIdEPKdPdEvbiT2_lT3_lllS6_lllT4_llli
    .private_segment_fixed_size: 0
    .sgpr_count:     50
    .sgpr_spill_count: 0
    .symbol:         _ZL54rocblas_symv_kernel_lower_double_buffered_non_diagonalILi32ELi4ELi4E24rocblas_internal_val_ptrIdEPKdPdEvbiT2_lT3_lllS6_lllT4_llli.kd
    .uniform_work_group_size: 1
    .uses_dynamic_stack: false
    .vgpr_count:     76
    .vgpr_spill_count: 0
    .wavefront_size: 64
  - .agpr_count:     0
    .args:
      - .offset:         0
        .size:           1
        .value_kind:     by_value
      - .offset:         4
        .size:           4
        .value_kind:     by_value
      - .offset:         8
        .size:           8
        .value_kind:     by_value
      - .offset:         16
        .size:           8
        .value_kind:     by_value
      - .address_space:  global
        .offset:         24
        .size:           8
        .value_kind:     global_buffer
      - .offset:         32
        .size:           8
        .value_kind:     by_value
      - .offset:         40
        .size:           8
        .value_kind:     by_value
      - .offset:         48
        .size:           8
        .value_kind:     by_value
      - .address_space:  global
        .offset:         56
        .size:           8
        .value_kind:     global_buffer
      - .offset:         64
        .size:           8
        .value_kind:     by_value
      - .offset:         72
        .size:           8
        .value_kind:     by_value
      - .offset:         80
        .size:           8
        .value_kind:     by_value
      - .offset:         88
        .size:           8
        .value_kind:     by_value
      - .offset:         96
        .size:           8
        .value_kind:     by_value
      - .address_space:  global
        .offset:         104
        .size:           8
        .value_kind:     global_buffer
      - .offset:         112
        .size:           8
        .value_kind:     by_value
      - .offset:         120
        .size:           8
        .value_kind:     by_value
      - .offset:         128
        .size:           8
        .value_kind:     by_value
      - .offset:         136
        .size:           4
        .value_kind:     by_value
      - .offset:         140
        .size:           4
        .value_kind:     by_value
      - .offset:         144
        .size:           4
        .value_kind:     hidden_block_count_x
      - .offset:         148
        .size:           4
        .value_kind:     hidden_block_count_y
      - .offset:         152
        .size:           4
        .value_kind:     hidden_block_count_z
      - .offset:         156
        .size:           2
        .value_kind:     hidden_group_size_x
      - .offset:         158
        .size:           2
        .value_kind:     hidden_group_size_y
      - .offset:         160
        .size:           2
        .value_kind:     hidden_group_size_z
      - .offset:         162
        .size:           2
        .value_kind:     hidden_remainder_x
      - .offset:         164
        .size:           2
        .value_kind:     hidden_remainder_y
      - .offset:         166
        .size:           2
        .value_kind:     hidden_remainder_z
      - .offset:         184
        .size:           8
        .value_kind:     hidden_global_offset_x
      - .offset:         192
        .size:           8
        .value_kind:     hidden_global_offset_y
      - .offset:         200
        .size:           8
        .value_kind:     hidden_global_offset_z
      - .offset:         208
        .size:           2
        .value_kind:     hidden_grid_dims
    .group_segment_fixed_size: 10496
    .kernarg_segment_align: 8
    .kernarg_segment_size: 400
    .language:       OpenCL C
    .language_version:
      - 2
      - 0
    .max_flat_workgroup_size: 128
    .name:           _ZL58rocblas_symv_kernel_lower_double_buffered_diagonal_genericILi32ELi4E24rocblas_internal_val_ptrIdEPKdPdEvbiT1_lT2_lllS6_lllS5_lT3_lllii
    .private_segment_fixed_size: 0
    .sgpr_count:     44
    .sgpr_spill_count: 0
    .symbol:         _ZL58rocblas_symv_kernel_lower_double_buffered_diagonal_genericILi32ELi4E24rocblas_internal_val_ptrIdEPKdPdEvbiT1_lT2_lllS6_lllS5_lT3_lllii.kd
    .uniform_work_group_size: 1
    .uses_dynamic_stack: false
    .vgpr_count:     42
    .vgpr_spill_count: 0
    .wavefront_size: 64
  - .agpr_count:     0
    .args:
      - .offset:         0
        .size:           1
        .value_kind:     by_value
      - .offset:         4
        .size:           4
        .value_kind:     by_value
      - .offset:         8
        .size:           8
        .value_kind:     by_value
      - .offset:         16
        .size:           8
        .value_kind:     by_value
      - .address_space:  global
        .offset:         24
        .size:           8
        .value_kind:     global_buffer
      - .offset:         32
        .size:           8
        .value_kind:     by_value
      - .offset:         40
        .size:           8
        .value_kind:     by_value
      - .offset:         48
        .size:           8
        .value_kind:     by_value
      - .address_space:  global
        .offset:         56
        .size:           8
        .value_kind:     global_buffer
      - .offset:         64
        .size:           8
        .value_kind:     by_value
      - .offset:         72
        .size:           8
        .value_kind:     by_value
      - .offset:         80
        .size:           8
        .value_kind:     by_value
      - .address_space:  global
        .offset:         88
        .size:           8
        .value_kind:     global_buffer
      - .offset:         96
        .size:           8
        .value_kind:     by_value
      - .offset:         104
        .size:           8
        .value_kind:     by_value
      - .offset:         112
        .size:           8
        .value_kind:     by_value
      - .offset:         120
        .size:           4
        .value_kind:     by_value
      - .offset:         124
        .size:           4
        .value_kind:     by_value
      - .offset:         128
        .size:           4
        .value_kind:     hidden_block_count_x
      - .offset:         132
        .size:           4
        .value_kind:     hidden_block_count_y
      - .offset:         136
        .size:           4
        .value_kind:     hidden_block_count_z
      - .offset:         140
        .size:           2
        .value_kind:     hidden_group_size_x
      - .offset:         142
        .size:           2
        .value_kind:     hidden_group_size_y
      - .offset:         144
        .size:           2
        .value_kind:     hidden_group_size_z
      - .offset:         146
        .size:           2
        .value_kind:     hidden_remainder_x
      - .offset:         148
        .size:           2
        .value_kind:     hidden_remainder_y
      - .offset:         150
        .size:           2
        .value_kind:     hidden_remainder_z
      - .offset:         168
        .size:           8
        .value_kind:     hidden_global_offset_x
      - .offset:         176
        .size:           8
        .value_kind:     hidden_global_offset_y
      - .offset:         184
        .size:           8
        .value_kind:     hidden_global_offset_z
      - .offset:         192
        .size:           2
        .value_kind:     hidden_grid_dims
    .group_segment_fixed_size: 6400
    .kernarg_segment_align: 8
    .kernarg_segment_size: 384
    .language:       OpenCL C
    .language_version:
      - 2
      - 0
    .max_flat_workgroup_size: 128
    .name:           _ZL62rocblas_symv_kernel_lower_double_buffered_non_diagonal_genericILi32ELi4ELi4E24rocblas_internal_val_ptrIdEPKdPdEvbiT2_lT3_lllS6_lllT4_lllii
    .private_segment_fixed_size: 0
    .sgpr_count:     48
    .sgpr_spill_count: 0
    .symbol:         _ZL62rocblas_symv_kernel_lower_double_buffered_non_diagonal_genericILi32ELi4ELi4E24rocblas_internal_val_ptrIdEPKdPdEvbiT2_lT3_lllS6_lllT4_lllii.kd
    .uniform_work_group_size: 1
    .uses_dynamic_stack: false
    .vgpr_count:     92
    .vgpr_spill_count: 0
    .wavefront_size: 64
  - .agpr_count:     0
    .args:
      - .offset:         0
        .size:           4
        .value_kind:     by_value
      - .address_space:  global
        .offset:         8
        .size:           8
        .value_kind:     global_buffer
      - .offset:         16
        .size:           8
        .value_kind:     by_value
      - .address_space:  global
        .offset:         24
        .size:           8
        .value_kind:     global_buffer
      - .offset:         32
        .size:           8
        .value_kind:     by_value
      - .offset:         40
        .size:           8
        .value_kind:     by_value
      - .offset:         48
        .size:           8
        .value_kind:     by_value
      - .address_space:  global
        .offset:         56
        .size:           8
        .value_kind:     global_buffer
      - .offset:         64
        .size:           8
        .value_kind:     by_value
      - .offset:         72
        .size:           8
        .value_kind:     by_value
      - .offset:         80
        .size:           8
        .value_kind:     by_value
      - .address_space:  global
        .offset:         88
        .size:           8
        .value_kind:     global_buffer
      - .offset:         96
        .size:           8
        .value_kind:     by_value
      - .address_space:  global
        .offset:         104
        .size:           8
        .value_kind:     global_buffer
      - .offset:         112
        .size:           4
        .value_kind:     by_value
      - .offset:         120
        .size:           4
        .value_kind:     hidden_block_count_x
      - .offset:         124
        .size:           4
        .value_kind:     hidden_block_count_y
      - .offset:         128
        .size:           4
        .value_kind:     hidden_block_count_z
      - .offset:         132
        .size:           2
        .value_kind:     hidden_group_size_x
      - .offset:         134
        .size:           2
        .value_kind:     hidden_group_size_y
      - .offset:         136
        .size:           2
        .value_kind:     hidden_group_size_z
      - .offset:         138
        .size:           2
        .value_kind:     hidden_remainder_x
      - .offset:         140
        .size:           2
        .value_kind:     hidden_remainder_y
      - .offset:         142
        .size:           2
        .value_kind:     hidden_remainder_z
      - .offset:         160
        .size:           8
        .value_kind:     hidden_global_offset_x
      - .offset:         168
        .size:           8
        .value_kind:     hidden_global_offset_y
      - .offset:         176
        .size:           8
        .value_kind:     hidden_global_offset_z
      - .offset:         184
        .size:           2
        .value_kind:     hidden_grid_dims
    .group_segment_fixed_size: 9600
    .kernarg_segment_align: 8
    .kernarg_segment_size: 376
    .language:       OpenCL C
    .language_version:
      - 2
      - 0
    .max_flat_workgroup_size: 256
    .name:           _ZL26rocblas_hemvn_kernel_lowerILb0ELi64ELi4ELi33ELi32ELi16ElPKdS1_PdEviT6_lT7_lT5_lS4_lS5_lS3_lT8_i
    .private_segment_fixed_size: 0
    .sgpr_count:     56
    .sgpr_spill_count: 0
    .symbol:         _ZL26rocblas_hemvn_kernel_lowerILb0ELi64ELi4ELi33ELi32ELi16ElPKdS1_PdEviT6_lT7_lT5_lS4_lS5_lS3_lT8_i.kd
    .uniform_work_group_size: 1
    .uses_dynamic_stack: false
    .vgpr_count:     110
    .vgpr_spill_count: 0
    .wavefront_size: 64
  - .agpr_count:     0
    .args:
      - .offset:         0
        .size:           4
        .value_kind:     by_value
      - .address_space:  global
        .offset:         8
        .size:           8
        .value_kind:     global_buffer
      - .offset:         16
        .size:           8
        .value_kind:     by_value
      - .address_space:  global
        .offset:         24
        .size:           8
        .value_kind:     global_buffer
      - .offset:         32
        .size:           8
        .value_kind:     by_value
      - .address_space:  global
        .offset:         40
        .size:           8
        .value_kind:     global_buffer
      - .offset:         48
        .size:           8
        .value_kind:     by_value
      - .offset:         56
        .size:           8
        .value_kind:     by_value
      - .offset:         64
        .size:           8
        .value_kind:     by_value
      - .actual_access:  read_only
        .address_space:  global
        .offset:         72
        .size:           8
        .value_kind:     global_buffer
      - .offset:         80
        .size:           4
        .value_kind:     by_value
      - .offset:         88
        .size:           4
        .value_kind:     hidden_block_count_x
      - .offset:         92
        .size:           4
        .value_kind:     hidden_block_count_y
      - .offset:         96
        .size:           4
        .value_kind:     hidden_block_count_z
      - .offset:         100
        .size:           2
        .value_kind:     hidden_group_size_x
      - .offset:         102
        .size:           2
        .value_kind:     hidden_group_size_y
      - .offset:         104
        .size:           2
        .value_kind:     hidden_group_size_z
      - .offset:         106
        .size:           2
        .value_kind:     hidden_remainder_x
      - .offset:         108
        .size:           2
        .value_kind:     hidden_remainder_y
      - .offset:         110
        .size:           2
        .value_kind:     hidden_remainder_z
      - .offset:         128
        .size:           8
        .value_kind:     hidden_global_offset_x
      - .offset:         136
        .size:           8
        .value_kind:     hidden_global_offset_y
      - .offset:         144
        .size:           8
        .value_kind:     hidden_global_offset_z
      - .offset:         152
        .size:           2
        .value_kind:     hidden_grid_dims
    .group_segment_fixed_size: 0
    .kernarg_segment_align: 8
    .kernarg_segment_size: 344
    .language:       OpenCL C
    .language_version:
      - 2
      - 0
    .max_flat_workgroup_size: 64
    .name:           _ZL36rocblas_hemvn_kernel_lower_block_sumILi64ElPKdPddEviT1_lS3_lT2_lT0_lPT3_i
    .private_segment_fixed_size: 0
    .sgpr_count:     28
    .sgpr_spill_count: 0
    .symbol:         _ZL36rocblas_hemvn_kernel_lower_block_sumILi64ElPKdPddEviT1_lS3_lT2_lT0_lPT3_i.kd
    .uniform_work_group_size: 1
    .uses_dynamic_stack: false
    .vgpr_count:     9
    .vgpr_spill_count: 0
    .wavefront_size: 64
  - .agpr_count:     0
    .args:
      - .offset:         0
        .size:           4
        .value_kind:     by_value
      - .address_space:  global
        .offset:         8
        .size:           8
        .value_kind:     global_buffer
      - .offset:         16
        .size:           8
        .value_kind:     by_value
      - .address_space:  global
        .offset:         24
        .size:           8
        .value_kind:     global_buffer
      - .offset:         32
        .size:           8
        .value_kind:     by_value
      - .offset:         40
        .size:           4
        .value_kind:     by_value
      - .offset:         48
        .size:           8
        .value_kind:     by_value
      - .address_space:  global
        .offset:         56
        .size:           8
        .value_kind:     global_buffer
      - .offset:         64
        .size:           8
        .value_kind:     by_value
      - .offset:         72
        .size:           4
        .value_kind:     by_value
      - .offset:         80
        .size:           8
        .value_kind:     by_value
      - .address_space:  global
        .offset:         88
        .size:           8
        .value_kind:     global_buffer
      - .offset:         96
        .size:           8
        .value_kind:     by_value
      - .address_space:  global
        .offset:         104
        .size:           8
        .value_kind:     global_buffer
      - .offset:         112
        .size:           4
        .value_kind:     by_value
      - .offset:         120
        .size:           4
        .value_kind:     hidden_block_count_x
      - .offset:         124
        .size:           4
        .value_kind:     hidden_block_count_y
      - .offset:         128
        .size:           4
        .value_kind:     hidden_block_count_z
      - .offset:         132
        .size:           2
        .value_kind:     hidden_group_size_x
      - .offset:         134
        .size:           2
        .value_kind:     hidden_group_size_y
      - .offset:         136
        .size:           2
        .value_kind:     hidden_group_size_z
      - .offset:         138
        .size:           2
        .value_kind:     hidden_remainder_x
      - .offset:         140
        .size:           2
        .value_kind:     hidden_remainder_y
      - .offset:         142
        .size:           2
        .value_kind:     hidden_remainder_z
      - .offset:         160
        .size:           8
        .value_kind:     hidden_global_offset_x
      - .offset:         168
        .size:           8
        .value_kind:     hidden_global_offset_y
      - .offset:         176
        .size:           8
        .value_kind:     hidden_global_offset_z
      - .offset:         184
        .size:           2
        .value_kind:     hidden_grid_dims
    .group_segment_fixed_size: 9600
    .kernarg_segment_align: 8
    .kernarg_segment_size: 376
    .language:       OpenCL C
    .language_version:
      - 2
      - 0
    .max_flat_workgroup_size: 256
    .name:           _ZL26rocblas_hemvn_kernel_lowerILb0ELi64ELi4ELi33ELi32ELi16EiPKdS1_PdEviT6_lT7_lT5_lS4_lS5_lS3_lT8_i
    .private_segment_fixed_size: 0
    .sgpr_count:     54
    .sgpr_spill_count: 0
    .symbol:         _ZL26rocblas_hemvn_kernel_lowerILb0ELi64ELi4ELi33ELi32ELi16EiPKdS1_PdEviT6_lT7_lT5_lS4_lS5_lS3_lT8_i.kd
    .uniform_work_group_size: 1
    .uses_dynamic_stack: false
    .vgpr_count:     108
    .vgpr_spill_count: 0
    .wavefront_size: 64
  - .agpr_count:     0
    .args:
      - .offset:         0
        .size:           4
        .value_kind:     by_value
      - .address_space:  global
        .offset:         8
        .size:           8
        .value_kind:     global_buffer
      - .offset:         16
        .size:           8
        .value_kind:     by_value
      - .address_space:  global
        .offset:         24
        .size:           8
        .value_kind:     global_buffer
      - .offset:         32
        .size:           8
        .value_kind:     by_value
      - .address_space:  global
        .offset:         40
        .size:           8
        .value_kind:     global_buffer
      - .offset:         48
        .size:           8
        .value_kind:     by_value
      - .offset:         56
        .size:           4
        .value_kind:     by_value
      - .offset:         64
        .size:           8
        .value_kind:     by_value
      - .actual_access:  read_only
        .address_space:  global
        .offset:         72
        .size:           8
        .value_kind:     global_buffer
      - .offset:         80
        .size:           4
        .value_kind:     by_value
      - .offset:         88
        .size:           4
        .value_kind:     hidden_block_count_x
      - .offset:         92
        .size:           4
        .value_kind:     hidden_block_count_y
      - .offset:         96
        .size:           4
        .value_kind:     hidden_block_count_z
      - .offset:         100
        .size:           2
        .value_kind:     hidden_group_size_x
      - .offset:         102
        .size:           2
        .value_kind:     hidden_group_size_y
      - .offset:         104
        .size:           2
        .value_kind:     hidden_group_size_z
      - .offset:         106
        .size:           2
        .value_kind:     hidden_remainder_x
      - .offset:         108
        .size:           2
        .value_kind:     hidden_remainder_y
      - .offset:         110
        .size:           2
        .value_kind:     hidden_remainder_z
      - .offset:         128
        .size:           8
        .value_kind:     hidden_global_offset_x
      - .offset:         136
        .size:           8
        .value_kind:     hidden_global_offset_y
      - .offset:         144
        .size:           8
        .value_kind:     hidden_global_offset_z
      - .offset:         152
        .size:           2
        .value_kind:     hidden_grid_dims
    .group_segment_fixed_size: 0
    .kernarg_segment_align: 8
    .kernarg_segment_size: 344
    .language:       OpenCL C
    .language_version:
      - 2
      - 0
    .max_flat_workgroup_size: 64
    .name:           _ZL36rocblas_hemvn_kernel_lower_block_sumILi64EiPKdPddEviT1_lS3_lT2_lT0_lPT3_i
    .private_segment_fixed_size: 0
    .sgpr_count:     27
    .sgpr_spill_count: 0
    .symbol:         _ZL36rocblas_hemvn_kernel_lower_block_sumILi64EiPKdPddEviT1_lS3_lT2_lT0_lPT3_i.kd
    .uniform_work_group_size: 1
    .uses_dynamic_stack: false
    .vgpr_count:     7
    .vgpr_spill_count: 0
    .wavefront_size: 64
  - .agpr_count:     0
    .args:
      - .offset:         0
        .size:           4
        .value_kind:     by_value
      - .offset:         8
        .size:           8
        .value_kind:     by_value
      - .offset:         16
        .size:           8
        .value_kind:     by_value
      - .address_space:  global
        .offset:         24
        .size:           8
        .value_kind:     global_buffer
      - .offset:         32
        .size:           8
        .value_kind:     by_value
      - .offset:         40
        .size:           8
        .value_kind:     by_value
      - .offset:         48
        .size:           8
        .value_kind:     by_value
      - .address_space:  global
        .offset:         56
        .size:           8
        .value_kind:     global_buffer
      - .offset:         64
        .size:           8
        .value_kind:     by_value
      - .offset:         72
        .size:           8
        .value_kind:     by_value
      - .offset:         80
        .size:           8
        .value_kind:     by_value
      - .offset:         88
        .size:           8
        .value_kind:     by_value
      - .offset:         96
        .size:           8
        .value_kind:     by_value
      - .address_space:  global
        .offset:         104
        .size:           8
        .value_kind:     global_buffer
      - .offset:         112
        .size:           4
        .value_kind:     by_value
      - .offset:         120
        .size:           4
        .value_kind:     hidden_block_count_x
      - .offset:         124
        .size:           4
        .value_kind:     hidden_block_count_y
      - .offset:         128
        .size:           4
        .value_kind:     hidden_block_count_z
      - .offset:         132
        .size:           2
        .value_kind:     hidden_group_size_x
      - .offset:         134
        .size:           2
        .value_kind:     hidden_group_size_y
      - .offset:         136
        .size:           2
        .value_kind:     hidden_group_size_z
      - .offset:         138
        .size:           2
        .value_kind:     hidden_remainder_x
      - .offset:         140
        .size:           2
        .value_kind:     hidden_remainder_y
      - .offset:         142
        .size:           2
        .value_kind:     hidden_remainder_z
      - .offset:         160
        .size:           8
        .value_kind:     hidden_global_offset_x
      - .offset:         168
        .size:           8
        .value_kind:     hidden_global_offset_y
      - .offset:         176
        .size:           8
        .value_kind:     hidden_global_offset_z
      - .offset:         184
        .size:           2
        .value_kind:     hidden_grid_dims
    .group_segment_fixed_size: 9600
    .kernarg_segment_align: 8
    .kernarg_segment_size: 376
    .language:       OpenCL C
    .language_version:
      - 2
      - 0
    .max_flat_workgroup_size: 256
    .name:           _ZL26rocblas_hemvn_kernel_lowerILb0ELi64ELi4ELi33ELi32ELi16EldPKdPdEviT6_lT7_lT5_lS4_lS5_lS3_lT8_i
    .private_segment_fixed_size: 0
    .sgpr_count:     59
    .sgpr_spill_count: 0
    .symbol:         _ZL26rocblas_hemvn_kernel_lowerILb0ELi64ELi4ELi33ELi32ELi16EldPKdPdEviT6_lT7_lT5_lS4_lS5_lS3_lT8_i.kd
    .uniform_work_group_size: 1
    .uses_dynamic_stack: false
    .vgpr_count:     110
    .vgpr_spill_count: 0
    .wavefront_size: 64
  - .agpr_count:     0
    .args:
      - .offset:         0
        .size:           4
        .value_kind:     by_value
      - .offset:         8
        .size:           8
        .value_kind:     by_value
      - .offset:         16
        .size:           8
        .value_kind:     by_value
      - .offset:         24
        .size:           8
        .value_kind:     by_value
      - .offset:         32
        .size:           8
        .value_kind:     by_value
      - .address_space:  global
        .offset:         40
        .size:           8
        .value_kind:     global_buffer
      - .offset:         48
        .size:           8
        .value_kind:     by_value
      - .offset:         56
        .size:           8
        .value_kind:     by_value
      - .offset:         64
        .size:           8
        .value_kind:     by_value
      - .actual_access:  read_only
        .address_space:  global
        .offset:         72
        .size:           8
        .value_kind:     global_buffer
      - .offset:         80
        .size:           4
        .value_kind:     by_value
      - .offset:         88
        .size:           4
        .value_kind:     hidden_block_count_x
      - .offset:         92
        .size:           4
        .value_kind:     hidden_block_count_y
      - .offset:         96
        .size:           4
        .value_kind:     hidden_block_count_z
      - .offset:         100
        .size:           2
        .value_kind:     hidden_group_size_x
      - .offset:         102
        .size:           2
        .value_kind:     hidden_group_size_y
      - .offset:         104
        .size:           2
        .value_kind:     hidden_group_size_z
      - .offset:         106
        .size:           2
        .value_kind:     hidden_remainder_x
      - .offset:         108
        .size:           2
        .value_kind:     hidden_remainder_y
      - .offset:         110
        .size:           2
        .value_kind:     hidden_remainder_z
      - .offset:         128
        .size:           8
        .value_kind:     hidden_global_offset_x
      - .offset:         136
        .size:           8
        .value_kind:     hidden_global_offset_y
      - .offset:         144
        .size:           8
        .value_kind:     hidden_global_offset_z
      - .offset:         152
        .size:           2
        .value_kind:     hidden_grid_dims
    .group_segment_fixed_size: 0
    .kernarg_segment_align: 8
    .kernarg_segment_size: 344
    .language:       OpenCL C
    .language_version:
      - 2
      - 0
    .max_flat_workgroup_size: 64
    .name:           _ZL36rocblas_hemvn_kernel_lower_block_sumILi64EldPddEviT1_lS1_lT2_lT0_lPT3_i
    .private_segment_fixed_size: 0
    .sgpr_count:     28
    .sgpr_spill_count: 0
    .symbol:         _ZL36rocblas_hemvn_kernel_lower_block_sumILi64EldPddEviT1_lS1_lT2_lT0_lPT3_i.kd
    .uniform_work_group_size: 1
    .uses_dynamic_stack: false
    .vgpr_count:     9
    .vgpr_spill_count: 0
    .wavefront_size: 64
  - .agpr_count:     0
    .args:
      - .offset:         0
        .size:           4
        .value_kind:     by_value
      - .offset:         8
        .size:           8
        .value_kind:     by_value
      - .offset:         16
        .size:           8
        .value_kind:     by_value
      - .address_space:  global
        .offset:         24
        .size:           8
        .value_kind:     global_buffer
      - .offset:         32
        .size:           8
        .value_kind:     by_value
      - .offset:         40
        .size:           4
        .value_kind:     by_value
      - .offset:         48
        .size:           8
        .value_kind:     by_value
      - .address_space:  global
        .offset:         56
        .size:           8
        .value_kind:     global_buffer
      - .offset:         64
        .size:           8
        .value_kind:     by_value
      - .offset:         72
        .size:           4
        .value_kind:     by_value
      - .offset:         80
        .size:           8
        .value_kind:     by_value
      - .offset:         88
        .size:           8
        .value_kind:     by_value
      - .offset:         96
        .size:           8
        .value_kind:     by_value
      - .address_space:  global
        .offset:         104
        .size:           8
        .value_kind:     global_buffer
      - .offset:         112
        .size:           4
        .value_kind:     by_value
      - .offset:         120
        .size:           4
        .value_kind:     hidden_block_count_x
      - .offset:         124
        .size:           4
        .value_kind:     hidden_block_count_y
      - .offset:         128
        .size:           4
        .value_kind:     hidden_block_count_z
      - .offset:         132
        .size:           2
        .value_kind:     hidden_group_size_x
      - .offset:         134
        .size:           2
        .value_kind:     hidden_group_size_y
      - .offset:         136
        .size:           2
        .value_kind:     hidden_group_size_z
      - .offset:         138
        .size:           2
        .value_kind:     hidden_remainder_x
      - .offset:         140
        .size:           2
        .value_kind:     hidden_remainder_y
      - .offset:         142
        .size:           2
        .value_kind:     hidden_remainder_z
      - .offset:         160
        .size:           8
        .value_kind:     hidden_global_offset_x
      - .offset:         168
        .size:           8
        .value_kind:     hidden_global_offset_y
      - .offset:         176
        .size:           8
        .value_kind:     hidden_global_offset_z
      - .offset:         184
        .size:           2
        .value_kind:     hidden_grid_dims
    .group_segment_fixed_size: 9600
    .kernarg_segment_align: 8
    .kernarg_segment_size: 376
    .language:       OpenCL C
    .language_version:
      - 2
      - 0
    .max_flat_workgroup_size: 256
    .name:           _ZL26rocblas_hemvn_kernel_lowerILb0ELi64ELi4ELi33ELi32ELi16EidPKdPdEviT6_lT7_lT5_lS4_lS5_lS3_lT8_i
    .private_segment_fixed_size: 0
    .sgpr_count:     54
    .sgpr_spill_count: 0
    .symbol:         _ZL26rocblas_hemvn_kernel_lowerILb0ELi64ELi4ELi33ELi32ELi16EidPKdPdEviT6_lT7_lT5_lS4_lS5_lS3_lT8_i.kd
    .uniform_work_group_size: 1
    .uses_dynamic_stack: false
    .vgpr_count:     108
    .vgpr_spill_count: 0
    .wavefront_size: 64
  - .agpr_count:     0
    .args:
      - .offset:         0
        .size:           4
        .value_kind:     by_value
      - .offset:         8
        .size:           8
        .value_kind:     by_value
      - .offset:         16
        .size:           8
        .value_kind:     by_value
      - .offset:         24
        .size:           8
        .value_kind:     by_value
      - .offset:         32
        .size:           8
        .value_kind:     by_value
      - .address_space:  global
        .offset:         40
        .size:           8
        .value_kind:     global_buffer
      - .offset:         48
        .size:           8
        .value_kind:     by_value
      - .offset:         56
        .size:           4
        .value_kind:     by_value
      - .offset:         64
        .size:           8
        .value_kind:     by_value
      - .actual_access:  read_only
        .address_space:  global
        .offset:         72
        .size:           8
        .value_kind:     global_buffer
      - .offset:         80
        .size:           4
        .value_kind:     by_value
      - .offset:         88
        .size:           4
        .value_kind:     hidden_block_count_x
      - .offset:         92
        .size:           4
        .value_kind:     hidden_block_count_y
      - .offset:         96
        .size:           4
        .value_kind:     hidden_block_count_z
      - .offset:         100
        .size:           2
        .value_kind:     hidden_group_size_x
      - .offset:         102
        .size:           2
        .value_kind:     hidden_group_size_y
      - .offset:         104
        .size:           2
        .value_kind:     hidden_group_size_z
      - .offset:         106
        .size:           2
        .value_kind:     hidden_remainder_x
      - .offset:         108
        .size:           2
        .value_kind:     hidden_remainder_y
      - .offset:         110
        .size:           2
        .value_kind:     hidden_remainder_z
      - .offset:         128
        .size:           8
        .value_kind:     hidden_global_offset_x
      - .offset:         136
        .size:           8
        .value_kind:     hidden_global_offset_y
      - .offset:         144
        .size:           8
        .value_kind:     hidden_global_offset_z
      - .offset:         152
        .size:           2
        .value_kind:     hidden_grid_dims
    .group_segment_fixed_size: 0
    .kernarg_segment_align: 8
    .kernarg_segment_size: 344
    .language:       OpenCL C
    .language_version:
      - 2
      - 0
    .max_flat_workgroup_size: 64
    .name:           _ZL36rocblas_hemvn_kernel_lower_block_sumILi64EidPddEviT1_lS1_lT2_lT0_lPT3_i
    .private_segment_fixed_size: 0
    .sgpr_count:     27
    .sgpr_spill_count: 0
    .symbol:         _ZL36rocblas_hemvn_kernel_lower_block_sumILi64EidPddEviT1_lS1_lT2_lT0_lPT3_i.kd
    .uniform_work_group_size: 1
    .uses_dynamic_stack: false
    .vgpr_count:     7
    .vgpr_spill_count: 0
    .wavefront_size: 64
  - .agpr_count:     0
    .args:
      - .offset:         0
        .size:           4
        .value_kind:     by_value
      - .address_space:  global
        .offset:         8
        .size:           8
        .value_kind:     global_buffer
      - .offset:         16
        .size:           8
        .value_kind:     by_value
      - .address_space:  global
        .offset:         24
        .size:           8
        .value_kind:     global_buffer
      - .offset:         32
        .size:           8
        .value_kind:     by_value
      - .offset:         40
        .size:           8
        .value_kind:     by_value
      - .offset:         48
        .size:           8
        .value_kind:     by_value
      - .address_space:  global
        .offset:         56
        .size:           8
        .value_kind:     global_buffer
      - .offset:         64
        .size:           8
        .value_kind:     by_value
      - .offset:         72
        .size:           8
        .value_kind:     by_value
      - .offset:         80
        .size:           8
        .value_kind:     by_value
      - .address_space:  global
        .offset:         88
        .size:           8
        .value_kind:     global_buffer
      - .offset:         96
        .size:           8
        .value_kind:     by_value
      - .address_space:  global
        .offset:         104
        .size:           8
        .value_kind:     global_buffer
      - .offset:         112
        .size:           4
        .value_kind:     by_value
      - .offset:         120
        .size:           4
        .value_kind:     hidden_block_count_x
      - .offset:         124
        .size:           4
        .value_kind:     hidden_block_count_y
      - .offset:         128
        .size:           4
        .value_kind:     hidden_block_count_z
      - .offset:         132
        .size:           2
        .value_kind:     hidden_group_size_x
      - .offset:         134
        .size:           2
        .value_kind:     hidden_group_size_y
      - .offset:         136
        .size:           2
        .value_kind:     hidden_group_size_z
      - .offset:         138
        .size:           2
        .value_kind:     hidden_remainder_x
      - .offset:         140
        .size:           2
        .value_kind:     hidden_remainder_y
      - .offset:         142
        .size:           2
        .value_kind:     hidden_remainder_z
      - .offset:         160
        .size:           8
        .value_kind:     hidden_global_offset_x
      - .offset:         168
        .size:           8
        .value_kind:     hidden_global_offset_y
      - .offset:         176
        .size:           8
        .value_kind:     hidden_global_offset_z
      - .offset:         184
        .size:           2
        .value_kind:     hidden_grid_dims
    .group_segment_fixed_size: 9600
    .kernarg_segment_align: 8
    .kernarg_segment_size: 376
    .language:       OpenCL C
    .language_version:
      - 2
      - 0
    .max_flat_workgroup_size: 256
    .name:           _ZL26rocblas_hemvn_kernel_upperILb0ELi64ELi4ELi33ELi32ELi16ElPK19rocblas_complex_numIfES3_PS1_EviT6_lT7_lT5_lS6_lS7_lS5_lT8_i
    .private_segment_fixed_size: 0
    .sgpr_count:     44
    .sgpr_spill_count: 0
    .symbol:         _ZL26rocblas_hemvn_kernel_upperILb0ELi64ELi4ELi33ELi32ELi16ElPK19rocblas_complex_numIfES3_PS1_EviT6_lT7_lT5_lS6_lS7_lS5_lT8_i.kd
    .uniform_work_group_size: 1
    .uses_dynamic_stack: false
    .vgpr_count:     150
    .vgpr_spill_count: 0
    .wavefront_size: 64
  - .agpr_count:     0
    .args:
      - .offset:         0
        .size:           4
        .value_kind:     by_value
      - .address_space:  global
        .offset:         8
        .size:           8
        .value_kind:     global_buffer
      - .offset:         16
        .size:           8
        .value_kind:     by_value
      - .address_space:  global
        .offset:         24
        .size:           8
        .value_kind:     global_buffer
      - .offset:         32
        .size:           8
        .value_kind:     by_value
      - .offset:         40
        .size:           4
        .value_kind:     by_value
      - .offset:         48
        .size:           8
        .value_kind:     by_value
      - .address_space:  global
        .offset:         56
        .size:           8
        .value_kind:     global_buffer
      - .offset:         64
        .size:           8
        .value_kind:     by_value
      - .offset:         72
        .size:           4
        .value_kind:     by_value
      - .offset:         80
        .size:           8
        .value_kind:     by_value
      - .address_space:  global
        .offset:         88
        .size:           8
        .value_kind:     global_buffer
      - .offset:         96
        .size:           8
        .value_kind:     by_value
      - .address_space:  global
        .offset:         104
        .size:           8
        .value_kind:     global_buffer
      - .offset:         112
        .size:           4
        .value_kind:     by_value
      - .offset:         120
        .size:           4
        .value_kind:     hidden_block_count_x
      - .offset:         124
        .size:           4
        .value_kind:     hidden_block_count_y
      - .offset:         128
        .size:           4
        .value_kind:     hidden_block_count_z
      - .offset:         132
        .size:           2
        .value_kind:     hidden_group_size_x
      - .offset:         134
        .size:           2
        .value_kind:     hidden_group_size_y
      - .offset:         136
        .size:           2
        .value_kind:     hidden_group_size_z
      - .offset:         138
        .size:           2
        .value_kind:     hidden_remainder_x
      - .offset:         140
        .size:           2
        .value_kind:     hidden_remainder_y
      - .offset:         142
        .size:           2
        .value_kind:     hidden_remainder_z
      - .offset:         160
        .size:           8
        .value_kind:     hidden_global_offset_x
      - .offset:         168
        .size:           8
        .value_kind:     hidden_global_offset_y
      - .offset:         176
        .size:           8
        .value_kind:     hidden_global_offset_z
      - .offset:         184
        .size:           2
        .value_kind:     hidden_grid_dims
    .group_segment_fixed_size: 9600
    .kernarg_segment_align: 8
    .kernarg_segment_size: 376
    .language:       OpenCL C
    .language_version:
      - 2
      - 0
    .max_flat_workgroup_size: 256
    .name:           _ZL26rocblas_hemvn_kernel_upperILb0ELi64ELi4ELi33ELi32ELi16EiPK19rocblas_complex_numIfES3_PS1_EviT6_lT7_lT5_lS6_lS7_lS5_lT8_i
    .private_segment_fixed_size: 0
    .sgpr_count:     50
    .sgpr_spill_count: 0
    .symbol:         _ZL26rocblas_hemvn_kernel_upperILb0ELi64ELi4ELi33ELi32ELi16EiPK19rocblas_complex_numIfES3_PS1_EviT6_lT7_lT5_lS6_lS7_lS5_lT8_i.kd
    .uniform_work_group_size: 1
    .uses_dynamic_stack: false
    .vgpr_count:     160
    .vgpr_spill_count: 0
    .wavefront_size: 64
  - .agpr_count:     0
    .args:
      - .offset:         0
        .size:           4
        .value_kind:     by_value
      - .offset:         4
        .size:           8
        .value_kind:     by_value
      - .offset:         16
        .size:           8
        .value_kind:     by_value
      - .address_space:  global
        .offset:         24
        .size:           8
        .value_kind:     global_buffer
      - .offset:         32
        .size:           8
        .value_kind:     by_value
      - .offset:         40
        .size:           8
        .value_kind:     by_value
      - .offset:         48
        .size:           8
        .value_kind:     by_value
      - .address_space:  global
        .offset:         56
        .size:           8
        .value_kind:     global_buffer
      - .offset:         64
        .size:           8
        .value_kind:     by_value
      - .offset:         72
        .size:           8
        .value_kind:     by_value
      - .offset:         80
        .size:           8
        .value_kind:     by_value
      - .offset:         88
        .size:           8
        .value_kind:     by_value
      - .offset:         96
        .size:           8
        .value_kind:     by_value
      - .address_space:  global
        .offset:         104
        .size:           8
        .value_kind:     global_buffer
      - .offset:         112
        .size:           4
        .value_kind:     by_value
      - .offset:         120
        .size:           4
        .value_kind:     hidden_block_count_x
      - .offset:         124
        .size:           4
        .value_kind:     hidden_block_count_y
      - .offset:         128
        .size:           4
        .value_kind:     hidden_block_count_z
      - .offset:         132
        .size:           2
        .value_kind:     hidden_group_size_x
      - .offset:         134
        .size:           2
        .value_kind:     hidden_group_size_y
      - .offset:         136
        .size:           2
        .value_kind:     hidden_group_size_z
      - .offset:         138
        .size:           2
        .value_kind:     hidden_remainder_x
      - .offset:         140
        .size:           2
        .value_kind:     hidden_remainder_y
      - .offset:         142
        .size:           2
        .value_kind:     hidden_remainder_z
      - .offset:         160
        .size:           8
        .value_kind:     hidden_global_offset_x
      - .offset:         168
        .size:           8
        .value_kind:     hidden_global_offset_y
      - .offset:         176
        .size:           8
        .value_kind:     hidden_global_offset_z
      - .offset:         184
        .size:           2
        .value_kind:     hidden_grid_dims
    .group_segment_fixed_size: 9600
    .kernarg_segment_align: 8
    .kernarg_segment_size: 376
    .language:       OpenCL C
    .language_version:
      - 2
      - 0
    .max_flat_workgroup_size: 256
    .name:           _ZL26rocblas_hemvn_kernel_upperILb0ELi64ELi4ELi33ELi32ELi16El19rocblas_complex_numIfEPKS1_PS1_EviT6_lT7_lT5_lS6_lS7_lS5_lT8_i
    .private_segment_fixed_size: 0
    .sgpr_count:     44
    .sgpr_spill_count: 0
    .symbol:         _ZL26rocblas_hemvn_kernel_upperILb0ELi64ELi4ELi33ELi32ELi16El19rocblas_complex_numIfEPKS1_PS1_EviT6_lT7_lT5_lS6_lS7_lS5_lT8_i.kd
    .uniform_work_group_size: 1
    .uses_dynamic_stack: false
    .vgpr_count:     150
    .vgpr_spill_count: 0
    .wavefront_size: 64
  - .agpr_count:     0
    .args:
      - .offset:         0
        .size:           4
        .value_kind:     by_value
      - .offset:         4
        .size:           8
        .value_kind:     by_value
      - .offset:         16
        .size:           8
        .value_kind:     by_value
      - .address_space:  global
        .offset:         24
        .size:           8
        .value_kind:     global_buffer
      - .offset:         32
        .size:           8
        .value_kind:     by_value
      - .offset:         40
        .size:           4
        .value_kind:     by_value
      - .offset:         48
        .size:           8
        .value_kind:     by_value
      - .address_space:  global
        .offset:         56
        .size:           8
        .value_kind:     global_buffer
      - .offset:         64
        .size:           8
        .value_kind:     by_value
      - .offset:         72
        .size:           4
        .value_kind:     by_value
      - .offset:         80
        .size:           8
        .value_kind:     by_value
      - .offset:         88
        .size:           8
        .value_kind:     by_value
      - .offset:         96
        .size:           8
        .value_kind:     by_value
      - .address_space:  global
        .offset:         104
        .size:           8
        .value_kind:     global_buffer
      - .offset:         112
        .size:           4
        .value_kind:     by_value
      - .offset:         120
        .size:           4
        .value_kind:     hidden_block_count_x
      - .offset:         124
        .size:           4
        .value_kind:     hidden_block_count_y
      - .offset:         128
        .size:           4
        .value_kind:     hidden_block_count_z
      - .offset:         132
        .size:           2
        .value_kind:     hidden_group_size_x
      - .offset:         134
        .size:           2
        .value_kind:     hidden_group_size_y
      - .offset:         136
        .size:           2
        .value_kind:     hidden_group_size_z
      - .offset:         138
        .size:           2
        .value_kind:     hidden_remainder_x
      - .offset:         140
        .size:           2
        .value_kind:     hidden_remainder_y
      - .offset:         142
        .size:           2
        .value_kind:     hidden_remainder_z
      - .offset:         160
        .size:           8
        .value_kind:     hidden_global_offset_x
      - .offset:         168
        .size:           8
        .value_kind:     hidden_global_offset_y
      - .offset:         176
        .size:           8
        .value_kind:     hidden_global_offset_z
      - .offset:         184
        .size:           2
        .value_kind:     hidden_grid_dims
    .group_segment_fixed_size: 9600
    .kernarg_segment_align: 8
    .kernarg_segment_size: 376
    .language:       OpenCL C
    .language_version:
      - 2
      - 0
    .max_flat_workgroup_size: 256
    .name:           _ZL26rocblas_hemvn_kernel_upperILb0ELi64ELi4ELi33ELi32ELi16Ei19rocblas_complex_numIfEPKS1_PS1_EviT6_lT7_lT5_lS6_lS7_lS5_lT8_i
    .private_segment_fixed_size: 0
    .sgpr_count:     50
    .sgpr_spill_count: 0
    .symbol:         _ZL26rocblas_hemvn_kernel_upperILb0ELi64ELi4ELi33ELi32ELi16Ei19rocblas_complex_numIfEPKS1_PS1_EviT6_lT7_lT5_lS6_lS7_lS5_lT8_i.kd
    .uniform_work_group_size: 1
    .uses_dynamic_stack: false
    .vgpr_count:     160
    .vgpr_spill_count: 0
    .wavefront_size: 64
  - .agpr_count:     0
    .args:
      - .offset:         0
        .size:           4
        .value_kind:     by_value
      - .address_space:  global
        .offset:         8
        .size:           8
        .value_kind:     global_buffer
      - .offset:         16
        .size:           8
        .value_kind:     by_value
      - .address_space:  global
        .offset:         24
        .size:           8
        .value_kind:     global_buffer
      - .offset:         32
        .size:           8
        .value_kind:     by_value
      - .offset:         40
        .size:           8
        .value_kind:     by_value
      - .offset:         48
        .size:           8
        .value_kind:     by_value
      - .address_space:  global
        .offset:         56
        .size:           8
        .value_kind:     global_buffer
      - .offset:         64
        .size:           8
        .value_kind:     by_value
      - .offset:         72
        .size:           8
        .value_kind:     by_value
      - .offset:         80
        .size:           8
        .value_kind:     by_value
      - .address_space:  global
        .offset:         88
        .size:           8
        .value_kind:     global_buffer
      - .offset:         96
        .size:           8
        .value_kind:     by_value
      - .address_space:  global
        .offset:         104
        .size:           8
        .value_kind:     global_buffer
      - .offset:         112
        .size:           4
        .value_kind:     by_value
      - .offset:         120
        .size:           4
        .value_kind:     hidden_block_count_x
      - .offset:         124
        .size:           4
        .value_kind:     hidden_block_count_y
      - .offset:         128
        .size:           4
        .value_kind:     hidden_block_count_z
      - .offset:         132
        .size:           2
        .value_kind:     hidden_group_size_x
      - .offset:         134
        .size:           2
        .value_kind:     hidden_group_size_y
      - .offset:         136
        .size:           2
        .value_kind:     hidden_group_size_z
      - .offset:         138
        .size:           2
        .value_kind:     hidden_remainder_x
      - .offset:         140
        .size:           2
        .value_kind:     hidden_remainder_y
      - .offset:         142
        .size:           2
        .value_kind:     hidden_remainder_z
      - .offset:         160
        .size:           8
        .value_kind:     hidden_global_offset_x
      - .offset:         168
        .size:           8
        .value_kind:     hidden_global_offset_y
      - .offset:         176
        .size:           8
        .value_kind:     hidden_global_offset_z
      - .offset:         184
        .size:           2
        .value_kind:     hidden_grid_dims
    .group_segment_fixed_size: 9600
    .kernarg_segment_align: 8
    .kernarg_segment_size: 376
    .language:       OpenCL C
    .language_version:
      - 2
      - 0
    .max_flat_workgroup_size: 256
    .name:           _ZL26rocblas_hemvn_kernel_lowerILb0ELi64ELi4ELi33ELi32ELi16ElPK19rocblas_complex_numIfES3_PS1_EviT6_lT7_lT5_lS6_lS7_lS5_lT8_i
    .private_segment_fixed_size: 0
    .sgpr_count:     56
    .sgpr_spill_count: 0
    .symbol:         _ZL26rocblas_hemvn_kernel_lowerILb0ELi64ELi4ELi33ELi32ELi16ElPK19rocblas_complex_numIfES3_PS1_EviT6_lT7_lT5_lS6_lS7_lS5_lT8_i.kd
    .uniform_work_group_size: 1
    .uses_dynamic_stack: false
    .vgpr_count:     106
    .vgpr_spill_count: 0
    .wavefront_size: 64
  - .agpr_count:     0
    .args:
      - .offset:         0
        .size:           4
        .value_kind:     by_value
      - .address_space:  global
        .offset:         8
        .size:           8
        .value_kind:     global_buffer
      - .offset:         16
        .size:           8
        .value_kind:     by_value
      - .address_space:  global
        .offset:         24
        .size:           8
        .value_kind:     global_buffer
      - .offset:         32
        .size:           8
        .value_kind:     by_value
      - .offset:         40
        .size:           4
        .value_kind:     by_value
      - .offset:         48
        .size:           8
        .value_kind:     by_value
      - .address_space:  global
        .offset:         56
        .size:           8
        .value_kind:     global_buffer
      - .offset:         64
        .size:           8
        .value_kind:     by_value
      - .offset:         72
        .size:           4
        .value_kind:     by_value
      - .offset:         80
        .size:           8
        .value_kind:     by_value
      - .address_space:  global
        .offset:         88
        .size:           8
        .value_kind:     global_buffer
      - .offset:         96
        .size:           8
        .value_kind:     by_value
      - .address_space:  global
        .offset:         104
        .size:           8
        .value_kind:     global_buffer
      - .offset:         112
        .size:           4
        .value_kind:     by_value
      - .offset:         120
        .size:           4
        .value_kind:     hidden_block_count_x
      - .offset:         124
        .size:           4
        .value_kind:     hidden_block_count_y
      - .offset:         128
        .size:           4
        .value_kind:     hidden_block_count_z
      - .offset:         132
        .size:           2
        .value_kind:     hidden_group_size_x
      - .offset:         134
        .size:           2
        .value_kind:     hidden_group_size_y
      - .offset:         136
        .size:           2
        .value_kind:     hidden_group_size_z
      - .offset:         138
        .size:           2
        .value_kind:     hidden_remainder_x
      - .offset:         140
        .size:           2
        .value_kind:     hidden_remainder_y
      - .offset:         142
        .size:           2
        .value_kind:     hidden_remainder_z
      - .offset:         160
        .size:           8
        .value_kind:     hidden_global_offset_x
      - .offset:         168
        .size:           8
        .value_kind:     hidden_global_offset_y
      - .offset:         176
        .size:           8
        .value_kind:     hidden_global_offset_z
      - .offset:         184
        .size:           2
        .value_kind:     hidden_grid_dims
    .group_segment_fixed_size: 9600
    .kernarg_segment_align: 8
    .kernarg_segment_size: 376
    .language:       OpenCL C
    .language_version:
      - 2
      - 0
    .max_flat_workgroup_size: 256
    .name:           _ZL26rocblas_hemvn_kernel_lowerILb0ELi64ELi4ELi33ELi32ELi16EiPK19rocblas_complex_numIfES3_PS1_EviT6_lT7_lT5_lS6_lS7_lS5_lT8_i
    .private_segment_fixed_size: 0
    .sgpr_count:     54
    .sgpr_spill_count: 0
    .symbol:         _ZL26rocblas_hemvn_kernel_lowerILb0ELi64ELi4ELi33ELi32ELi16EiPK19rocblas_complex_numIfES3_PS1_EviT6_lT7_lT5_lS6_lS7_lS5_lT8_i.kd
    .uniform_work_group_size: 1
    .uses_dynamic_stack: false
    .vgpr_count:     104
    .vgpr_spill_count: 0
    .wavefront_size: 64
  - .agpr_count:     0
    .args:
      - .offset:         0
        .size:           4
        .value_kind:     by_value
      - .offset:         4
        .size:           8
        .value_kind:     by_value
      - .offset:         16
        .size:           8
        .value_kind:     by_value
      - .address_space:  global
        .offset:         24
        .size:           8
        .value_kind:     global_buffer
      - .offset:         32
        .size:           8
        .value_kind:     by_value
      - .offset:         40
        .size:           8
        .value_kind:     by_value
      - .offset:         48
        .size:           8
        .value_kind:     by_value
      - .address_space:  global
        .offset:         56
        .size:           8
        .value_kind:     global_buffer
      - .offset:         64
        .size:           8
        .value_kind:     by_value
      - .offset:         72
        .size:           8
        .value_kind:     by_value
      - .offset:         80
        .size:           8
        .value_kind:     by_value
      - .offset:         88
        .size:           8
        .value_kind:     by_value
      - .offset:         96
        .size:           8
        .value_kind:     by_value
      - .address_space:  global
        .offset:         104
        .size:           8
        .value_kind:     global_buffer
      - .offset:         112
        .size:           4
        .value_kind:     by_value
      - .offset:         120
        .size:           4
        .value_kind:     hidden_block_count_x
      - .offset:         124
        .size:           4
        .value_kind:     hidden_block_count_y
      - .offset:         128
        .size:           4
        .value_kind:     hidden_block_count_z
      - .offset:         132
        .size:           2
        .value_kind:     hidden_group_size_x
      - .offset:         134
        .size:           2
        .value_kind:     hidden_group_size_y
      - .offset:         136
        .size:           2
        .value_kind:     hidden_group_size_z
      - .offset:         138
        .size:           2
        .value_kind:     hidden_remainder_x
      - .offset:         140
        .size:           2
        .value_kind:     hidden_remainder_y
      - .offset:         142
        .size:           2
        .value_kind:     hidden_remainder_z
      - .offset:         160
        .size:           8
        .value_kind:     hidden_global_offset_x
      - .offset:         168
        .size:           8
        .value_kind:     hidden_global_offset_y
      - .offset:         176
        .size:           8
        .value_kind:     hidden_global_offset_z
      - .offset:         184
        .size:           2
        .value_kind:     hidden_grid_dims
    .group_segment_fixed_size: 9600
    .kernarg_segment_align: 8
    .kernarg_segment_size: 376
    .language:       OpenCL C
    .language_version:
      - 2
      - 0
    .max_flat_workgroup_size: 256
    .name:           _ZL26rocblas_hemvn_kernel_lowerILb0ELi64ELi4ELi33ELi32ELi16El19rocblas_complex_numIfEPKS1_PS1_EviT6_lT7_lT5_lS6_lS7_lS5_lT8_i
    .private_segment_fixed_size: 0
    .sgpr_count:     59
    .sgpr_spill_count: 0
    .symbol:         _ZL26rocblas_hemvn_kernel_lowerILb0ELi64ELi4ELi33ELi32ELi16El19rocblas_complex_numIfEPKS1_PS1_EviT6_lT7_lT5_lS6_lS7_lS5_lT8_i.kd
    .uniform_work_group_size: 1
    .uses_dynamic_stack: false
    .vgpr_count:     106
    .vgpr_spill_count: 0
    .wavefront_size: 64
  - .agpr_count:     0
    .args:
      - .offset:         0
        .size:           4
        .value_kind:     by_value
      - .offset:         4
        .size:           8
        .value_kind:     by_value
      - .offset:         16
        .size:           8
        .value_kind:     by_value
      - .address_space:  global
        .offset:         24
        .size:           8
        .value_kind:     global_buffer
      - .offset:         32
        .size:           8
        .value_kind:     by_value
      - .offset:         40
        .size:           4
        .value_kind:     by_value
      - .offset:         48
        .size:           8
        .value_kind:     by_value
      - .address_space:  global
        .offset:         56
        .size:           8
        .value_kind:     global_buffer
      - .offset:         64
        .size:           8
        .value_kind:     by_value
      - .offset:         72
        .size:           4
        .value_kind:     by_value
      - .offset:         80
        .size:           8
        .value_kind:     by_value
      - .offset:         88
        .size:           8
        .value_kind:     by_value
      - .offset:         96
        .size:           8
        .value_kind:     by_value
      - .address_space:  global
        .offset:         104
        .size:           8
        .value_kind:     global_buffer
      - .offset:         112
        .size:           4
        .value_kind:     by_value
      - .offset:         120
        .size:           4
        .value_kind:     hidden_block_count_x
      - .offset:         124
        .size:           4
        .value_kind:     hidden_block_count_y
      - .offset:         128
        .size:           4
        .value_kind:     hidden_block_count_z
      - .offset:         132
        .size:           2
        .value_kind:     hidden_group_size_x
      - .offset:         134
        .size:           2
        .value_kind:     hidden_group_size_y
      - .offset:         136
        .size:           2
        .value_kind:     hidden_group_size_z
      - .offset:         138
        .size:           2
        .value_kind:     hidden_remainder_x
      - .offset:         140
        .size:           2
        .value_kind:     hidden_remainder_y
      - .offset:         142
        .size:           2
        .value_kind:     hidden_remainder_z
      - .offset:         160
        .size:           8
        .value_kind:     hidden_global_offset_x
      - .offset:         168
        .size:           8
        .value_kind:     hidden_global_offset_y
      - .offset:         176
        .size:           8
        .value_kind:     hidden_global_offset_z
      - .offset:         184
        .size:           2
        .value_kind:     hidden_grid_dims
    .group_segment_fixed_size: 9600
    .kernarg_segment_align: 8
    .kernarg_segment_size: 376
    .language:       OpenCL C
    .language_version:
      - 2
      - 0
    .max_flat_workgroup_size: 256
    .name:           _ZL26rocblas_hemvn_kernel_lowerILb0ELi64ELi4ELi33ELi32ELi16Ei19rocblas_complex_numIfEPKS1_PS1_EviT6_lT7_lT5_lS6_lS7_lS5_lT8_i
    .private_segment_fixed_size: 0
    .sgpr_count:     54
    .sgpr_spill_count: 0
    .symbol:         _ZL26rocblas_hemvn_kernel_lowerILb0ELi64ELi4ELi33ELi32ELi16Ei19rocblas_complex_numIfEPKS1_PS1_EviT6_lT7_lT5_lS6_lS7_lS5_lT8_i.kd
    .uniform_work_group_size: 1
    .uses_dynamic_stack: false
    .vgpr_count:     104
    .vgpr_spill_count: 0
    .wavefront_size: 64
  - .agpr_count:     0
    .args:
      - .offset:         0
        .size:           4
        .value_kind:     by_value
      - .address_space:  global
        .offset:         8
        .size:           8
        .value_kind:     global_buffer
      - .offset:         16
        .size:           8
        .value_kind:     by_value
      - .address_space:  global
        .offset:         24
        .size:           8
        .value_kind:     global_buffer
      - .offset:         32
        .size:           8
        .value_kind:     by_value
      - .offset:         40
        .size:           8
        .value_kind:     by_value
      - .offset:         48
        .size:           8
        .value_kind:     by_value
      - .address_space:  global
        .offset:         56
        .size:           8
        .value_kind:     global_buffer
      - .offset:         64
        .size:           8
        .value_kind:     by_value
      - .offset:         72
        .size:           8
        .value_kind:     by_value
      - .offset:         80
        .size:           8
        .value_kind:     by_value
      - .address_space:  global
        .offset:         88
        .size:           8
        .value_kind:     global_buffer
      - .offset:         96
        .size:           8
        .value_kind:     by_value
      - .address_space:  global
        .offset:         104
        .size:           8
        .value_kind:     global_buffer
      - .offset:         112
        .size:           4
        .value_kind:     by_value
      - .offset:         120
        .size:           4
        .value_kind:     hidden_block_count_x
      - .offset:         124
        .size:           4
        .value_kind:     hidden_block_count_y
      - .offset:         128
        .size:           4
        .value_kind:     hidden_block_count_z
      - .offset:         132
        .size:           2
        .value_kind:     hidden_group_size_x
      - .offset:         134
        .size:           2
        .value_kind:     hidden_group_size_y
      - .offset:         136
        .size:           2
        .value_kind:     hidden_group_size_z
      - .offset:         138
        .size:           2
        .value_kind:     hidden_remainder_x
      - .offset:         140
        .size:           2
        .value_kind:     hidden_remainder_y
      - .offset:         142
        .size:           2
        .value_kind:     hidden_remainder_z
      - .offset:         160
        .size:           8
        .value_kind:     hidden_global_offset_x
      - .offset:         168
        .size:           8
        .value_kind:     hidden_global_offset_y
      - .offset:         176
        .size:           8
        .value_kind:     hidden_global_offset_z
      - .offset:         184
        .size:           2
        .value_kind:     hidden_grid_dims
    .group_segment_fixed_size: 19200
    .kernarg_segment_align: 8
    .kernarg_segment_size: 376
    .language:       OpenCL C
    .language_version:
      - 2
      - 0
    .max_flat_workgroup_size: 256
    .name:           _ZL26rocblas_hemvn_kernel_upperILb0ELi64ELi4ELi33ELi32ELi16ElPK19rocblas_complex_numIdES3_PS1_EviT6_lT7_lT5_lS6_lS7_lS5_lT8_i
    .private_segment_fixed_size: 0
    .sgpr_count:     44
    .sgpr_spill_count: 0
    .symbol:         _ZL26rocblas_hemvn_kernel_upperILb0ELi64ELi4ELi33ELi32ELi16ElPK19rocblas_complex_numIdES3_PS1_EviT6_lT7_lT5_lS6_lS7_lS5_lT8_i.kd
    .uniform_work_group_size: 1
    .uses_dynamic_stack: false
    .vgpr_count:     232
    .vgpr_spill_count: 0
    .wavefront_size: 64
  - .agpr_count:     0
    .args:
      - .offset:         0
        .size:           4
        .value_kind:     by_value
      - .address_space:  global
        .offset:         8
        .size:           8
        .value_kind:     global_buffer
      - .offset:         16
        .size:           8
        .value_kind:     by_value
      - .address_space:  global
        .offset:         24
        .size:           8
        .value_kind:     global_buffer
      - .offset:         32
        .size:           8
        .value_kind:     by_value
      - .offset:         40
        .size:           4
        .value_kind:     by_value
      - .offset:         48
        .size:           8
        .value_kind:     by_value
      - .address_space:  global
        .offset:         56
        .size:           8
        .value_kind:     global_buffer
      - .offset:         64
        .size:           8
        .value_kind:     by_value
      - .offset:         72
        .size:           4
        .value_kind:     by_value
      - .offset:         80
        .size:           8
        .value_kind:     by_value
      - .address_space:  global
        .offset:         88
        .size:           8
        .value_kind:     global_buffer
      - .offset:         96
        .size:           8
        .value_kind:     by_value
      - .address_space:  global
        .offset:         104
        .size:           8
        .value_kind:     global_buffer
      - .offset:         112
        .size:           4
        .value_kind:     by_value
      - .offset:         120
        .size:           4
        .value_kind:     hidden_block_count_x
      - .offset:         124
        .size:           4
        .value_kind:     hidden_block_count_y
      - .offset:         128
        .size:           4
        .value_kind:     hidden_block_count_z
      - .offset:         132
        .size:           2
        .value_kind:     hidden_group_size_x
      - .offset:         134
        .size:           2
        .value_kind:     hidden_group_size_y
      - .offset:         136
        .size:           2
        .value_kind:     hidden_group_size_z
      - .offset:         138
        .size:           2
        .value_kind:     hidden_remainder_x
      - .offset:         140
        .size:           2
        .value_kind:     hidden_remainder_y
      - .offset:         142
        .size:           2
        .value_kind:     hidden_remainder_z
      - .offset:         160
        .size:           8
        .value_kind:     hidden_global_offset_x
      - .offset:         168
        .size:           8
        .value_kind:     hidden_global_offset_y
      - .offset:         176
        .size:           8
        .value_kind:     hidden_global_offset_z
      - .offset:         184
        .size:           2
        .value_kind:     hidden_grid_dims
    .group_segment_fixed_size: 19200
    .kernarg_segment_align: 8
    .kernarg_segment_size: 376
    .language:       OpenCL C
    .language_version:
      - 2
      - 0
    .max_flat_workgroup_size: 256
    .name:           _ZL26rocblas_hemvn_kernel_upperILb0ELi64ELi4ELi33ELi32ELi16EiPK19rocblas_complex_numIdES3_PS1_EviT6_lT7_lT5_lS6_lS7_lS5_lT8_i
    .private_segment_fixed_size: 0
    .sgpr_count:     46
    .sgpr_spill_count: 0
    .symbol:         _ZL26rocblas_hemvn_kernel_upperILb0ELi64ELi4ELi33ELi32ELi16EiPK19rocblas_complex_numIdES3_PS1_EviT6_lT7_lT5_lS6_lS7_lS5_lT8_i.kd
    .uniform_work_group_size: 1
    .uses_dynamic_stack: false
    .vgpr_count:     242
    .vgpr_spill_count: 0
    .wavefront_size: 64
  - .agpr_count:     0
    .args:
      - .offset:         0
        .size:           4
        .value_kind:     by_value
      - .offset:         8
        .size:           16
        .value_kind:     by_value
      - .offset:         24
        .size:           8
        .value_kind:     by_value
      - .address_space:  global
        .offset:         32
        .size:           8
        .value_kind:     global_buffer
      - .offset:         40
        .size:           8
        .value_kind:     by_value
      - .offset:         48
        .size:           8
        .value_kind:     by_value
      - .offset:         56
        .size:           8
        .value_kind:     by_value
      - .address_space:  global
        .offset:         64
        .size:           8
        .value_kind:     global_buffer
      - .offset:         72
        .size:           8
        .value_kind:     by_value
      - .offset:         80
        .size:           8
        .value_kind:     by_value
      - .offset:         88
        .size:           8
        .value_kind:     by_value
      - .offset:         96
        .size:           16
        .value_kind:     by_value
      - .offset:         112
        .size:           8
        .value_kind:     by_value
      - .address_space:  global
        .offset:         120
        .size:           8
        .value_kind:     global_buffer
      - .offset:         128
        .size:           4
        .value_kind:     by_value
      - .offset:         136
        .size:           4
        .value_kind:     hidden_block_count_x
      - .offset:         140
        .size:           4
        .value_kind:     hidden_block_count_y
      - .offset:         144
        .size:           4
        .value_kind:     hidden_block_count_z
      - .offset:         148
        .size:           2
        .value_kind:     hidden_group_size_x
      - .offset:         150
        .size:           2
        .value_kind:     hidden_group_size_y
      - .offset:         152
        .size:           2
        .value_kind:     hidden_group_size_z
      - .offset:         154
        .size:           2
        .value_kind:     hidden_remainder_x
      - .offset:         156
        .size:           2
        .value_kind:     hidden_remainder_y
      - .offset:         158
        .size:           2
        .value_kind:     hidden_remainder_z
      - .offset:         176
        .size:           8
        .value_kind:     hidden_global_offset_x
      - .offset:         184
        .size:           8
        .value_kind:     hidden_global_offset_y
      - .offset:         192
        .size:           8
        .value_kind:     hidden_global_offset_z
      - .offset:         200
        .size:           2
        .value_kind:     hidden_grid_dims
    .group_segment_fixed_size: 19200
    .kernarg_segment_align: 8
    .kernarg_segment_size: 392
    .language:       OpenCL C
    .language_version:
      - 2
      - 0
    .max_flat_workgroup_size: 256
    .name:           _ZL26rocblas_hemvn_kernel_upperILb0ELi64ELi4ELi33ELi32ELi16El19rocblas_complex_numIdEPKS1_PS1_EviT6_lT7_lT5_lS6_lS7_lS5_lT8_i
    .private_segment_fixed_size: 0
    .sgpr_count:     44
    .sgpr_spill_count: 0
    .symbol:         _ZL26rocblas_hemvn_kernel_upperILb0ELi64ELi4ELi33ELi32ELi16El19rocblas_complex_numIdEPKS1_PS1_EviT6_lT7_lT5_lS6_lS7_lS5_lT8_i.kd
    .uniform_work_group_size: 1
    .uses_dynamic_stack: false
    .vgpr_count:     232
    .vgpr_spill_count: 0
    .wavefront_size: 64
  - .agpr_count:     0
    .args:
      - .offset:         0
        .size:           4
        .value_kind:     by_value
      - .offset:         8
        .size:           16
        .value_kind:     by_value
      - .offset:         24
        .size:           8
        .value_kind:     by_value
      - .address_space:  global
        .offset:         32
        .size:           8
        .value_kind:     global_buffer
      - .offset:         40
        .size:           8
        .value_kind:     by_value
      - .offset:         48
        .size:           4
        .value_kind:     by_value
      - .offset:         56
        .size:           8
        .value_kind:     by_value
      - .address_space:  global
        .offset:         64
        .size:           8
        .value_kind:     global_buffer
      - .offset:         72
        .size:           8
        .value_kind:     by_value
      - .offset:         80
        .size:           4
        .value_kind:     by_value
      - .offset:         88
        .size:           8
        .value_kind:     by_value
      - .offset:         96
        .size:           16
        .value_kind:     by_value
      - .offset:         112
        .size:           8
        .value_kind:     by_value
      - .address_space:  global
        .offset:         120
        .size:           8
        .value_kind:     global_buffer
      - .offset:         128
        .size:           4
        .value_kind:     by_value
      - .offset:         136
        .size:           4
        .value_kind:     hidden_block_count_x
      - .offset:         140
        .size:           4
        .value_kind:     hidden_block_count_y
      - .offset:         144
        .size:           4
        .value_kind:     hidden_block_count_z
      - .offset:         148
        .size:           2
        .value_kind:     hidden_group_size_x
      - .offset:         150
        .size:           2
        .value_kind:     hidden_group_size_y
      - .offset:         152
        .size:           2
        .value_kind:     hidden_group_size_z
      - .offset:         154
        .size:           2
        .value_kind:     hidden_remainder_x
      - .offset:         156
        .size:           2
        .value_kind:     hidden_remainder_y
      - .offset:         158
        .size:           2
        .value_kind:     hidden_remainder_z
      - .offset:         176
        .size:           8
        .value_kind:     hidden_global_offset_x
      - .offset:         184
        .size:           8
        .value_kind:     hidden_global_offset_y
      - .offset:         192
        .size:           8
        .value_kind:     hidden_global_offset_z
      - .offset:         200
        .size:           2
        .value_kind:     hidden_grid_dims
    .group_segment_fixed_size: 19200
    .kernarg_segment_align: 8
    .kernarg_segment_size: 392
    .language:       OpenCL C
    .language_version:
      - 2
      - 0
    .max_flat_workgroup_size: 256
    .name:           _ZL26rocblas_hemvn_kernel_upperILb0ELi64ELi4ELi33ELi32ELi16Ei19rocblas_complex_numIdEPKS1_PS1_EviT6_lT7_lT5_lS6_lS7_lS5_lT8_i
    .private_segment_fixed_size: 0
    .sgpr_count:     46
    .sgpr_spill_count: 0
    .symbol:         _ZL26rocblas_hemvn_kernel_upperILb0ELi64ELi4ELi33ELi32ELi16Ei19rocblas_complex_numIdEPKS1_PS1_EviT6_lT7_lT5_lS6_lS7_lS5_lT8_i.kd
    .uniform_work_group_size: 1
    .uses_dynamic_stack: false
    .vgpr_count:     242
    .vgpr_spill_count: 0
    .wavefront_size: 64
  - .agpr_count:     0
    .args:
      - .offset:         0
        .size:           4
        .value_kind:     by_value
      - .address_space:  global
        .offset:         8
        .size:           8
        .value_kind:     global_buffer
      - .offset:         16
        .size:           8
        .value_kind:     by_value
      - .address_space:  global
        .offset:         24
        .size:           8
        .value_kind:     global_buffer
      - .offset:         32
        .size:           8
        .value_kind:     by_value
      - .offset:         40
        .size:           8
        .value_kind:     by_value
      - .offset:         48
        .size:           8
        .value_kind:     by_value
      - .address_space:  global
        .offset:         56
        .size:           8
        .value_kind:     global_buffer
      - .offset:         64
        .size:           8
        .value_kind:     by_value
      - .offset:         72
        .size:           8
        .value_kind:     by_value
      - .offset:         80
        .size:           8
        .value_kind:     by_value
      - .address_space:  global
        .offset:         88
        .size:           8
        .value_kind:     global_buffer
      - .offset:         96
        .size:           8
        .value_kind:     by_value
      - .address_space:  global
        .offset:         104
        .size:           8
        .value_kind:     global_buffer
      - .offset:         112
        .size:           4
        .value_kind:     by_value
      - .offset:         120
        .size:           4
        .value_kind:     hidden_block_count_x
      - .offset:         124
        .size:           4
        .value_kind:     hidden_block_count_y
      - .offset:         128
        .size:           4
        .value_kind:     hidden_block_count_z
      - .offset:         132
        .size:           2
        .value_kind:     hidden_group_size_x
      - .offset:         134
        .size:           2
        .value_kind:     hidden_group_size_y
      - .offset:         136
        .size:           2
        .value_kind:     hidden_group_size_z
      - .offset:         138
        .size:           2
        .value_kind:     hidden_remainder_x
      - .offset:         140
        .size:           2
        .value_kind:     hidden_remainder_y
      - .offset:         142
        .size:           2
        .value_kind:     hidden_remainder_z
      - .offset:         160
        .size:           8
        .value_kind:     hidden_global_offset_x
      - .offset:         168
        .size:           8
        .value_kind:     hidden_global_offset_y
      - .offset:         176
        .size:           8
        .value_kind:     hidden_global_offset_z
      - .offset:         184
        .size:           2
        .value_kind:     hidden_grid_dims
    .group_segment_fixed_size: 19200
    .kernarg_segment_align: 8
    .kernarg_segment_size: 376
    .language:       OpenCL C
    .language_version:
      - 2
      - 0
    .max_flat_workgroup_size: 256
    .name:           _ZL26rocblas_hemvn_kernel_lowerILb0ELi64ELi4ELi33ELi32ELi16ElPK19rocblas_complex_numIdES3_PS1_EviT6_lT7_lT5_lS6_lS7_lS5_lT8_i
    .private_segment_fixed_size: 0
    .sgpr_count:     50
    .sgpr_spill_count: 0
    .symbol:         _ZL26rocblas_hemvn_kernel_lowerILb0ELi64ELi4ELi33ELi32ELi16ElPK19rocblas_complex_numIdES3_PS1_EviT6_lT7_lT5_lS6_lS7_lS5_lT8_i.kd
    .uniform_work_group_size: 1
    .uses_dynamic_stack: false
    .vgpr_count:     188
    .vgpr_spill_count: 0
    .wavefront_size: 64
  - .agpr_count:     0
    .args:
      - .offset:         0
        .size:           4
        .value_kind:     by_value
      - .address_space:  global
        .offset:         8
        .size:           8
        .value_kind:     global_buffer
      - .offset:         16
        .size:           8
        .value_kind:     by_value
      - .address_space:  global
        .offset:         24
        .size:           8
        .value_kind:     global_buffer
      - .offset:         32
        .size:           8
        .value_kind:     by_value
      - .offset:         40
        .size:           4
        .value_kind:     by_value
      - .offset:         48
        .size:           8
        .value_kind:     by_value
      - .address_space:  global
        .offset:         56
        .size:           8
        .value_kind:     global_buffer
      - .offset:         64
        .size:           8
        .value_kind:     by_value
      - .offset:         72
        .size:           4
        .value_kind:     by_value
      - .offset:         80
        .size:           8
        .value_kind:     by_value
      - .address_space:  global
        .offset:         88
        .size:           8
        .value_kind:     global_buffer
      - .offset:         96
        .size:           8
        .value_kind:     by_value
      - .address_space:  global
        .offset:         104
        .size:           8
        .value_kind:     global_buffer
      - .offset:         112
        .size:           4
        .value_kind:     by_value
      - .offset:         120
        .size:           4
        .value_kind:     hidden_block_count_x
      - .offset:         124
        .size:           4
        .value_kind:     hidden_block_count_y
      - .offset:         128
        .size:           4
        .value_kind:     hidden_block_count_z
      - .offset:         132
        .size:           2
        .value_kind:     hidden_group_size_x
      - .offset:         134
        .size:           2
        .value_kind:     hidden_group_size_y
      - .offset:         136
        .size:           2
        .value_kind:     hidden_group_size_z
      - .offset:         138
        .size:           2
        .value_kind:     hidden_remainder_x
      - .offset:         140
        .size:           2
        .value_kind:     hidden_remainder_y
      - .offset:         142
        .size:           2
        .value_kind:     hidden_remainder_z
      - .offset:         160
        .size:           8
        .value_kind:     hidden_global_offset_x
      - .offset:         168
        .size:           8
        .value_kind:     hidden_global_offset_y
      - .offset:         176
        .size:           8
        .value_kind:     hidden_global_offset_z
      - .offset:         184
        .size:           2
        .value_kind:     hidden_grid_dims
    .group_segment_fixed_size: 19200
    .kernarg_segment_align: 8
    .kernarg_segment_size: 376
    .language:       OpenCL C
    .language_version:
      - 2
      - 0
    .max_flat_workgroup_size: 256
    .name:           _ZL26rocblas_hemvn_kernel_lowerILb0ELi64ELi4ELi33ELi32ELi16EiPK19rocblas_complex_numIdES3_PS1_EviT6_lT7_lT5_lS6_lS7_lS5_lT8_i
    .private_segment_fixed_size: 0
    .sgpr_count:     47
    .sgpr_spill_count: 0
    .symbol:         _ZL26rocblas_hemvn_kernel_lowerILb0ELi64ELi4ELi33ELi32ELi16EiPK19rocblas_complex_numIdES3_PS1_EviT6_lT7_lT5_lS6_lS7_lS5_lT8_i.kd
    .uniform_work_group_size: 1
    .uses_dynamic_stack: false
    .vgpr_count:     186
    .vgpr_spill_count: 0
    .wavefront_size: 64
  - .agpr_count:     0
    .args:
      - .offset:         0
        .size:           4
        .value_kind:     by_value
      - .offset:         8
        .size:           16
        .value_kind:     by_value
      - .offset:         24
        .size:           8
        .value_kind:     by_value
      - .address_space:  global
        .offset:         32
        .size:           8
        .value_kind:     global_buffer
      - .offset:         40
        .size:           8
        .value_kind:     by_value
      - .offset:         48
        .size:           8
        .value_kind:     by_value
      - .offset:         56
        .size:           8
        .value_kind:     by_value
      - .address_space:  global
        .offset:         64
        .size:           8
        .value_kind:     global_buffer
      - .offset:         72
        .size:           8
        .value_kind:     by_value
      - .offset:         80
        .size:           8
        .value_kind:     by_value
      - .offset:         88
        .size:           8
        .value_kind:     by_value
      - .offset:         96
        .size:           16
        .value_kind:     by_value
      - .offset:         112
        .size:           8
        .value_kind:     by_value
      - .address_space:  global
        .offset:         120
        .size:           8
        .value_kind:     global_buffer
      - .offset:         128
        .size:           4
        .value_kind:     by_value
      - .offset:         136
        .size:           4
        .value_kind:     hidden_block_count_x
      - .offset:         140
        .size:           4
        .value_kind:     hidden_block_count_y
      - .offset:         144
        .size:           4
        .value_kind:     hidden_block_count_z
      - .offset:         148
        .size:           2
        .value_kind:     hidden_group_size_x
      - .offset:         150
        .size:           2
        .value_kind:     hidden_group_size_y
      - .offset:         152
        .size:           2
        .value_kind:     hidden_group_size_z
      - .offset:         154
        .size:           2
        .value_kind:     hidden_remainder_x
      - .offset:         156
        .size:           2
        .value_kind:     hidden_remainder_y
      - .offset:         158
        .size:           2
        .value_kind:     hidden_remainder_z
      - .offset:         176
        .size:           8
        .value_kind:     hidden_global_offset_x
      - .offset:         184
        .size:           8
        .value_kind:     hidden_global_offset_y
      - .offset:         192
        .size:           8
        .value_kind:     hidden_global_offset_z
      - .offset:         200
        .size:           2
        .value_kind:     hidden_grid_dims
    .group_segment_fixed_size: 19200
    .kernarg_segment_align: 8
    .kernarg_segment_size: 392
    .language:       OpenCL C
    .language_version:
      - 2
      - 0
    .max_flat_workgroup_size: 256
    .name:           _ZL26rocblas_hemvn_kernel_lowerILb0ELi64ELi4ELi33ELi32ELi16El19rocblas_complex_numIdEPKS1_PS1_EviT6_lT7_lT5_lS6_lS7_lS5_lT8_i
    .private_segment_fixed_size: 0
    .sgpr_count:     58
    .sgpr_spill_count: 0
    .symbol:         _ZL26rocblas_hemvn_kernel_lowerILb0ELi64ELi4ELi33ELi32ELi16El19rocblas_complex_numIdEPKS1_PS1_EviT6_lT7_lT5_lS6_lS7_lS5_lT8_i.kd
    .uniform_work_group_size: 1
    .uses_dynamic_stack: false
    .vgpr_count:     188
    .vgpr_spill_count: 0
    .wavefront_size: 64
  - .agpr_count:     0
    .args:
      - .offset:         0
        .size:           4
        .value_kind:     by_value
      - .offset:         8
        .size:           16
        .value_kind:     by_value
      - .offset:         24
        .size:           8
        .value_kind:     by_value
      - .address_space:  global
        .offset:         32
        .size:           8
        .value_kind:     global_buffer
      - .offset:         40
        .size:           8
        .value_kind:     by_value
      - .offset:         48
        .size:           4
        .value_kind:     by_value
      - .offset:         56
        .size:           8
        .value_kind:     by_value
      - .address_space:  global
        .offset:         64
        .size:           8
        .value_kind:     global_buffer
      - .offset:         72
        .size:           8
        .value_kind:     by_value
      - .offset:         80
        .size:           4
        .value_kind:     by_value
      - .offset:         88
        .size:           8
        .value_kind:     by_value
      - .offset:         96
        .size:           16
        .value_kind:     by_value
      - .offset:         112
        .size:           8
        .value_kind:     by_value
      - .address_space:  global
        .offset:         120
        .size:           8
        .value_kind:     global_buffer
      - .offset:         128
        .size:           4
        .value_kind:     by_value
      - .offset:         136
        .size:           4
        .value_kind:     hidden_block_count_x
      - .offset:         140
        .size:           4
        .value_kind:     hidden_block_count_y
      - .offset:         144
        .size:           4
        .value_kind:     hidden_block_count_z
      - .offset:         148
        .size:           2
        .value_kind:     hidden_group_size_x
      - .offset:         150
        .size:           2
        .value_kind:     hidden_group_size_y
      - .offset:         152
        .size:           2
        .value_kind:     hidden_group_size_z
      - .offset:         154
        .size:           2
        .value_kind:     hidden_remainder_x
      - .offset:         156
        .size:           2
        .value_kind:     hidden_remainder_y
      - .offset:         158
        .size:           2
        .value_kind:     hidden_remainder_z
      - .offset:         176
        .size:           8
        .value_kind:     hidden_global_offset_x
      - .offset:         184
        .size:           8
        .value_kind:     hidden_global_offset_y
      - .offset:         192
        .size:           8
        .value_kind:     hidden_global_offset_z
      - .offset:         200
        .size:           2
        .value_kind:     hidden_grid_dims
    .group_segment_fixed_size: 19200
    .kernarg_segment_align: 8
    .kernarg_segment_size: 392
    .language:       OpenCL C
    .language_version:
      - 2
      - 0
    .max_flat_workgroup_size: 256
    .name:           _ZL26rocblas_hemvn_kernel_lowerILb0ELi64ELi4ELi33ELi32ELi16Ei19rocblas_complex_numIdEPKS1_PS1_EviT6_lT7_lT5_lS6_lS7_lS5_lT8_i
    .private_segment_fixed_size: 0
    .sgpr_count:     48
    .sgpr_spill_count: 0
    .symbol:         _ZL26rocblas_hemvn_kernel_lowerILb0ELi64ELi4ELi33ELi32ELi16Ei19rocblas_complex_numIdEPKS1_PS1_EviT6_lT7_lT5_lS6_lS7_lS5_lT8_i.kd
    .uniform_work_group_size: 1
    .uses_dynamic_stack: false
    .vgpr_count:     186
    .vgpr_spill_count: 0
    .wavefront_size: 64
  - .agpr_count:     0
    .args:
      - .offset:         0
        .size:           1
        .value_kind:     by_value
      - .offset:         4
        .size:           4
        .value_kind:     by_value
      - .offset:         8
        .size:           8
        .value_kind:     by_value
      - .offset:         16
        .size:           8
        .value_kind:     by_value
      - .address_space:  global
        .offset:         24
        .size:           8
        .value_kind:     global_buffer
      - .offset:         32
        .size:           8
        .value_kind:     by_value
      - .offset:         40
        .size:           8
        .value_kind:     by_value
      - .offset:         48
        .size:           8
        .value_kind:     by_value
      - .address_space:  global
        .offset:         56
        .size:           8
        .value_kind:     global_buffer
      - .offset:         64
        .size:           8
        .value_kind:     by_value
      - .offset:         72
        .size:           8
        .value_kind:     by_value
      - .offset:         80
        .size:           8
        .value_kind:     by_value
      - .offset:         88
        .size:           8
        .value_kind:     by_value
      - .offset:         96
        .size:           8
        .value_kind:     by_value
      - .actual_access:  read_only
        .address_space:  global
        .offset:         104
        .size:           8
        .value_kind:     global_buffer
      - .offset:         112
        .size:           8
        .value_kind:     by_value
      - .offset:         120
        .size:           8
        .value_kind:     by_value
      - .offset:         128
        .size:           8
        .value_kind:     by_value
      - .offset:         136
        .size:           4
        .value_kind:     by_value
    .group_segment_fixed_size: 5248
    .kernarg_segment_align: 8
    .kernarg_segment_size: 140
    .language:       OpenCL C
    .language_version:
      - 2
      - 0
    .max_flat_workgroup_size: 128
    .name:           _ZL50rocblas_symv_kernel_upper_double_buffered_diagonalILi32ELi4E24rocblas_internal_val_ptrIfEPKPKfPKPfEvbiT1_lT2_lllSA_lllS9_lT3_llli
    .private_segment_fixed_size: 0
    .sgpr_count:     35
    .sgpr_spill_count: 0
    .symbol:         _ZL50rocblas_symv_kernel_upper_double_buffered_diagonalILi32ELi4E24rocblas_internal_val_ptrIfEPKPKfPKPfEvbiT1_lT2_lllSA_lllS9_lT3_llli.kd
    .uniform_work_group_size: 1
    .uses_dynamic_stack: false
    .vgpr_count:     19
    .vgpr_spill_count: 0
    .wavefront_size: 64
  - .agpr_count:     0
    .args:
      - .offset:         0
        .size:           1
        .value_kind:     by_value
      - .offset:         4
        .size:           4
        .value_kind:     by_value
      - .offset:         8
        .size:           8
        .value_kind:     by_value
      - .offset:         16
        .size:           8
        .value_kind:     by_value
      - .address_space:  global
        .offset:         24
        .size:           8
        .value_kind:     global_buffer
      - .offset:         32
        .size:           8
        .value_kind:     by_value
      - .offset:         40
        .size:           8
        .value_kind:     by_value
      - .offset:         48
        .size:           8
        .value_kind:     by_value
      - .address_space:  global
        .offset:         56
        .size:           8
        .value_kind:     global_buffer
      - .offset:         64
        .size:           8
        .value_kind:     by_value
      - .offset:         72
        .size:           8
        .value_kind:     by_value
      - .offset:         80
        .size:           8
        .value_kind:     by_value
      - .actual_access:  read_only
        .address_space:  global
        .offset:         88
        .size:           8
        .value_kind:     global_buffer
      - .offset:         96
        .size:           8
        .value_kind:     by_value
      - .offset:         104
        .size:           8
        .value_kind:     by_value
      - .offset:         112
        .size:           8
        .value_kind:     by_value
      - .offset:         120
        .size:           4
        .value_kind:     by_value
      - .offset:         128
        .size:           4
        .value_kind:     hidden_block_count_x
      - .offset:         132
        .size:           4
        .value_kind:     hidden_block_count_y
      - .offset:         136
        .size:           4
        .value_kind:     hidden_block_count_z
      - .offset:         140
        .size:           2
        .value_kind:     hidden_group_size_x
      - .offset:         142
        .size:           2
        .value_kind:     hidden_group_size_y
      - .offset:         144
        .size:           2
        .value_kind:     hidden_group_size_z
      - .offset:         146
        .size:           2
        .value_kind:     hidden_remainder_x
      - .offset:         148
        .size:           2
        .value_kind:     hidden_remainder_y
      - .offset:         150
        .size:           2
        .value_kind:     hidden_remainder_z
      - .offset:         168
        .size:           8
        .value_kind:     hidden_global_offset_x
      - .offset:         176
        .size:           8
        .value_kind:     hidden_global_offset_y
      - .offset:         184
        .size:           8
        .value_kind:     hidden_global_offset_z
      - .offset:         192
        .size:           2
        .value_kind:     hidden_grid_dims
    .group_segment_fixed_size: 3200
    .kernarg_segment_align: 8
    .kernarg_segment_size: 384
    .language:       OpenCL C
    .language_version:
      - 2
      - 0
    .max_flat_workgroup_size: 128
    .name:           _ZL54rocblas_symv_kernel_upper_double_buffered_non_diagonalILi32ELi4ELi4E24rocblas_internal_val_ptrIfEPKPKfPKPfEvbiT2_lT3_lllSA_lllT4_llli
    .private_segment_fixed_size: 0
    .sgpr_count:     45
    .sgpr_spill_count: 0
    .symbol:         _ZL54rocblas_symv_kernel_upper_double_buffered_non_diagonalILi32ELi4ELi4E24rocblas_internal_val_ptrIfEPKPKfPKPfEvbiT2_lT3_lllSA_lllT4_llli.kd
    .uniform_work_group_size: 1
    .uses_dynamic_stack: false
    .vgpr_count:     52
    .vgpr_spill_count: 0
    .wavefront_size: 64
  - .agpr_count:     0
    .args:
      - .offset:         0
        .size:           1
        .value_kind:     by_value
      - .offset:         4
        .size:           4
        .value_kind:     by_value
      - .offset:         8
        .size:           8
        .value_kind:     by_value
      - .offset:         16
        .size:           8
        .value_kind:     by_value
      - .address_space:  global
        .offset:         24
        .size:           8
        .value_kind:     global_buffer
      - .offset:         32
        .size:           8
        .value_kind:     by_value
      - .offset:         40
        .size:           8
        .value_kind:     by_value
      - .offset:         48
        .size:           8
        .value_kind:     by_value
      - .address_space:  global
        .offset:         56
        .size:           8
        .value_kind:     global_buffer
      - .offset:         64
        .size:           8
        .value_kind:     by_value
      - .offset:         72
        .size:           8
        .value_kind:     by_value
      - .offset:         80
        .size:           8
        .value_kind:     by_value
      - .offset:         88
        .size:           8
        .value_kind:     by_value
      - .offset:         96
        .size:           8
        .value_kind:     by_value
      - .actual_access:  read_only
        .address_space:  global
        .offset:         104
        .size:           8
        .value_kind:     global_buffer
      - .offset:         112
        .size:           8
        .value_kind:     by_value
      - .offset:         120
        .size:           8
        .value_kind:     by_value
      - .offset:         128
        .size:           8
        .value_kind:     by_value
      - .offset:         136
        .size:           4
        .value_kind:     by_value
      - .offset:         140
        .size:           4
        .value_kind:     by_value
      - .offset:         144
        .size:           4
        .value_kind:     hidden_block_count_x
      - .offset:         148
        .size:           4
        .value_kind:     hidden_block_count_y
      - .offset:         152
        .size:           4
        .value_kind:     hidden_block_count_z
      - .offset:         156
        .size:           2
        .value_kind:     hidden_group_size_x
      - .offset:         158
        .size:           2
        .value_kind:     hidden_group_size_y
      - .offset:         160
        .size:           2
        .value_kind:     hidden_group_size_z
      - .offset:         162
        .size:           2
        .value_kind:     hidden_remainder_x
      - .offset:         164
        .size:           2
        .value_kind:     hidden_remainder_y
      - .offset:         166
        .size:           2
        .value_kind:     hidden_remainder_z
      - .offset:         184
        .size:           8
        .value_kind:     hidden_global_offset_x
      - .offset:         192
        .size:           8
        .value_kind:     hidden_global_offset_y
      - .offset:         200
        .size:           8
        .value_kind:     hidden_global_offset_z
      - .offset:         208
        .size:           2
        .value_kind:     hidden_grid_dims
    .group_segment_fixed_size: 6272
    .kernarg_segment_align: 8
    .kernarg_segment_size: 400
    .language:       OpenCL C
    .language_version:
      - 2
      - 0
    .max_flat_workgroup_size: 256
    .name:           _ZL58rocblas_symv_kernel_upper_double_buffered_diagonal_genericILi32ELi8E24rocblas_internal_val_ptrIfEPKPKfPKPfEvbiT1_lT2_lllSA_lllS9_lT3_lllii
    .private_segment_fixed_size: 0
    .sgpr_count:     40
    .sgpr_spill_count: 0
    .symbol:         _ZL58rocblas_symv_kernel_upper_double_buffered_diagonal_genericILi32ELi8E24rocblas_internal_val_ptrIfEPKPKfPKPfEvbiT1_lT2_lllSA_lllS9_lT3_lllii.kd
    .uniform_work_group_size: 1
    .uses_dynamic_stack: false
    .vgpr_count:     19
    .vgpr_spill_count: 0
    .wavefront_size: 64
  - .agpr_count:     0
    .args:
      - .offset:         0
        .size:           1
        .value_kind:     by_value
      - .offset:         4
        .size:           4
        .value_kind:     by_value
      - .offset:         8
        .size:           8
        .value_kind:     by_value
      - .offset:         16
        .size:           8
        .value_kind:     by_value
      - .address_space:  global
        .offset:         24
        .size:           8
        .value_kind:     global_buffer
      - .offset:         32
        .size:           8
        .value_kind:     by_value
      - .offset:         40
        .size:           8
        .value_kind:     by_value
      - .offset:         48
        .size:           8
        .value_kind:     by_value
      - .address_space:  global
        .offset:         56
        .size:           8
        .value_kind:     global_buffer
      - .offset:         64
        .size:           8
        .value_kind:     by_value
      - .offset:         72
        .size:           8
        .value_kind:     by_value
      - .offset:         80
        .size:           8
        .value_kind:     by_value
      - .actual_access:  read_only
        .address_space:  global
        .offset:         88
        .size:           8
        .value_kind:     global_buffer
      - .offset:         96
        .size:           8
        .value_kind:     by_value
      - .offset:         104
        .size:           8
        .value_kind:     by_value
      - .offset:         112
        .size:           8
        .value_kind:     by_value
      - .offset:         120
        .size:           4
        .value_kind:     by_value
      - .offset:         124
        .size:           4
        .value_kind:     by_value
      - .offset:         128
        .size:           4
        .value_kind:     hidden_block_count_x
      - .offset:         132
        .size:           4
        .value_kind:     hidden_block_count_y
      - .offset:         136
        .size:           4
        .value_kind:     hidden_block_count_z
      - .offset:         140
        .size:           2
        .value_kind:     hidden_group_size_x
      - .offset:         142
        .size:           2
        .value_kind:     hidden_group_size_y
      - .offset:         144
        .size:           2
        .value_kind:     hidden_group_size_z
      - .offset:         146
        .size:           2
        .value_kind:     hidden_remainder_x
      - .offset:         148
        .size:           2
        .value_kind:     hidden_remainder_y
      - .offset:         150
        .size:           2
        .value_kind:     hidden_remainder_z
      - .offset:         168
        .size:           8
        .value_kind:     hidden_global_offset_x
      - .offset:         176
        .size:           8
        .value_kind:     hidden_global_offset_y
      - .offset:         184
        .size:           8
        .value_kind:     hidden_global_offset_z
      - .offset:         192
        .size:           2
        .value_kind:     hidden_grid_dims
    .group_segment_fixed_size: 4224
    .kernarg_segment_align: 8
    .kernarg_segment_size: 384
    .language:       OpenCL C
    .language_version:
      - 2
      - 0
    .max_flat_workgroup_size: 256
    .name:           _ZL62rocblas_symv_kernel_upper_double_buffered_non_diagonal_genericILi32ELi8ELi2ELi0E24rocblas_internal_val_ptrIfEPKPKfPKPfEvbiT3_lT4_lllSA_lllT5_lllii
    .private_segment_fixed_size: 0
    .sgpr_count:     48
    .sgpr_spill_count: 0
    .symbol:         _ZL62rocblas_symv_kernel_upper_double_buffered_non_diagonal_genericILi32ELi8ELi2ELi0E24rocblas_internal_val_ptrIfEPKPKfPKPfEvbiT3_lT4_lllSA_lllT5_lllii.kd
    .uniform_work_group_size: 1
    .uses_dynamic_stack: false
    .vgpr_count:     40
    .vgpr_spill_count: 0
    .wavefront_size: 64
  - .agpr_count:     0
    .args:
      - .offset:         0
        .size:           1
        .value_kind:     by_value
      - .offset:         4
        .size:           4
        .value_kind:     by_value
      - .offset:         8
        .size:           8
        .value_kind:     by_value
      - .offset:         16
        .size:           8
        .value_kind:     by_value
      - .address_space:  global
        .offset:         24
        .size:           8
        .value_kind:     global_buffer
      - .offset:         32
        .size:           8
        .value_kind:     by_value
      - .offset:         40
        .size:           8
        .value_kind:     by_value
      - .offset:         48
        .size:           8
        .value_kind:     by_value
      - .address_space:  global
        .offset:         56
        .size:           8
        .value_kind:     global_buffer
      - .offset:         64
        .size:           8
        .value_kind:     by_value
      - .offset:         72
        .size:           8
        .value_kind:     by_value
      - .offset:         80
        .size:           8
        .value_kind:     by_value
      - .actual_access:  read_only
        .address_space:  global
        .offset:         88
        .size:           8
        .value_kind:     global_buffer
      - .offset:         96
        .size:           8
        .value_kind:     by_value
      - .offset:         104
        .size:           8
        .value_kind:     by_value
      - .offset:         112
        .size:           8
        .value_kind:     by_value
      - .offset:         120
        .size:           4
        .value_kind:     by_value
      - .offset:         124
        .size:           4
        .value_kind:     by_value
      - .offset:         128
        .size:           4
        .value_kind:     hidden_block_count_x
      - .offset:         132
        .size:           4
        .value_kind:     hidden_block_count_y
      - .offset:         136
        .size:           4
        .value_kind:     hidden_block_count_z
      - .offset:         140
        .size:           2
        .value_kind:     hidden_group_size_x
      - .offset:         142
        .size:           2
        .value_kind:     hidden_group_size_y
      - .offset:         144
        .size:           2
        .value_kind:     hidden_group_size_z
      - .offset:         146
        .size:           2
        .value_kind:     hidden_remainder_x
      - .offset:         148
        .size:           2
        .value_kind:     hidden_remainder_y
      - .offset:         150
        .size:           2
        .value_kind:     hidden_remainder_z
      - .offset:         168
        .size:           8
        .value_kind:     hidden_global_offset_x
      - .offset:         176
        .size:           8
        .value_kind:     hidden_global_offset_y
      - .offset:         184
        .size:           8
        .value_kind:     hidden_global_offset_z
      - .offset:         192
        .size:           2
        .value_kind:     hidden_grid_dims
    .group_segment_fixed_size: 4224
    .kernarg_segment_align: 8
    .kernarg_segment_size: 384
    .language:       OpenCL C
    .language_version:
      - 2
      - 0
    .max_flat_workgroup_size: 256
    .name:           _ZL62rocblas_symv_kernel_upper_double_buffered_non_diagonal_genericILi32ELi8ELi2ELi1E24rocblas_internal_val_ptrIfEPKPKfPKPfEvbiT3_lT4_lllSA_lllT5_lllii
    .private_segment_fixed_size: 0
    .sgpr_count:     53
    .sgpr_spill_count: 0
    .symbol:         _ZL62rocblas_symv_kernel_upper_double_buffered_non_diagonal_genericILi32ELi8ELi2ELi1E24rocblas_internal_val_ptrIfEPKPKfPKPfEvbiT3_lT4_lllSA_lllT5_lllii.kd
    .uniform_work_group_size: 1
    .uses_dynamic_stack: false
    .vgpr_count:     44
    .vgpr_spill_count: 0
    .wavefront_size: 64
  - .agpr_count:     0
    .args:
      - .offset:         0
        .size:           4
        .value_kind:     by_value
      - .address_space:  global
        .offset:         8
        .size:           8
        .value_kind:     global_buffer
      - .offset:         16
        .size:           8
        .value_kind:     by_value
      - .address_space:  global
        .offset:         24
        .size:           8
        .value_kind:     global_buffer
      - .offset:         32
        .size:           8
        .value_kind:     by_value
      - .offset:         40
        .size:           8
        .value_kind:     by_value
      - .offset:         48
        .size:           8
        .value_kind:     by_value
      - .address_space:  global
        .offset:         56
        .size:           8
        .value_kind:     global_buffer
      - .offset:         64
        .size:           8
        .value_kind:     by_value
      - .offset:         72
        .size:           8
        .value_kind:     by_value
      - .offset:         80
        .size:           8
        .value_kind:     by_value
      - .address_space:  global
        .offset:         88
        .size:           8
        .value_kind:     global_buffer
      - .offset:         96
        .size:           8
        .value_kind:     by_value
      - .address_space:  global
        .offset:         104
        .size:           8
        .value_kind:     global_buffer
      - .offset:         112
        .size:           4
        .value_kind:     by_value
      - .offset:         120
        .size:           4
        .value_kind:     hidden_block_count_x
      - .offset:         124
        .size:           4
        .value_kind:     hidden_block_count_y
      - .offset:         128
        .size:           4
        .value_kind:     hidden_block_count_z
      - .offset:         132
        .size:           2
        .value_kind:     hidden_group_size_x
      - .offset:         134
        .size:           2
        .value_kind:     hidden_group_size_y
      - .offset:         136
        .size:           2
        .value_kind:     hidden_group_size_z
      - .offset:         138
        .size:           2
        .value_kind:     hidden_remainder_x
      - .offset:         140
        .size:           2
        .value_kind:     hidden_remainder_y
      - .offset:         142
        .size:           2
        .value_kind:     hidden_remainder_z
      - .offset:         160
        .size:           8
        .value_kind:     hidden_global_offset_x
      - .offset:         168
        .size:           8
        .value_kind:     hidden_global_offset_y
      - .offset:         176
        .size:           8
        .value_kind:     hidden_global_offset_z
      - .offset:         184
        .size:           2
        .value_kind:     hidden_grid_dims
    .group_segment_fixed_size: 4800
    .kernarg_segment_align: 8
    .kernarg_segment_size: 376
    .language:       OpenCL C
    .language_version:
      - 2
      - 0
    .max_flat_workgroup_size: 256
    .name:           _ZL26rocblas_hemvn_kernel_upperILb0ELi64ELi4ELi33ELi32ELi16ElPKfPKS1_PfEviT6_lT7_lT5_lS6_lS7_lS5_lT8_i
    .private_segment_fixed_size: 0
    .sgpr_count:     46
    .sgpr_spill_count: 0
    .symbol:         _ZL26rocblas_hemvn_kernel_upperILb0ELi64ELi4ELi33ELi32ELi16ElPKfPKS1_PfEviT6_lT7_lT5_lS6_lS7_lS5_lT8_i.kd
    .uniform_work_group_size: 1
    .uses_dynamic_stack: false
    .vgpr_count:     96
    .vgpr_spill_count: 0
    .wavefront_size: 64
  - .agpr_count:     0
    .args:
      - .offset:         0
        .size:           4
        .value_kind:     by_value
      - .address_space:  global
        .offset:         8
        .size:           8
        .value_kind:     global_buffer
      - .offset:         16
        .size:           8
        .value_kind:     by_value
      - .address_space:  global
        .offset:         24
        .size:           8
        .value_kind:     global_buffer
      - .offset:         32
        .size:           8
        .value_kind:     by_value
      - .actual_access:  read_only
        .address_space:  global
        .offset:         40
        .size:           8
        .value_kind:     global_buffer
      - .offset:         48
        .size:           8
        .value_kind:     by_value
      - .offset:         56
        .size:           8
        .value_kind:     by_value
      - .offset:         64
        .size:           8
        .value_kind:     by_value
      - .address_space:  global
        .offset:         72
        .size:           8
        .value_kind:     global_buffer
      - .offset:         80
        .size:           4
        .value_kind:     by_value
      - .offset:         88
        .size:           4
        .value_kind:     hidden_block_count_x
      - .offset:         92
        .size:           4
        .value_kind:     hidden_block_count_y
      - .offset:         96
        .size:           4
        .value_kind:     hidden_block_count_z
      - .offset:         100
        .size:           2
        .value_kind:     hidden_group_size_x
      - .offset:         102
        .size:           2
        .value_kind:     hidden_group_size_y
      - .offset:         104
        .size:           2
        .value_kind:     hidden_group_size_z
      - .offset:         106
        .size:           2
        .value_kind:     hidden_remainder_x
      - .offset:         108
        .size:           2
        .value_kind:     hidden_remainder_y
      - .offset:         110
        .size:           2
        .value_kind:     hidden_remainder_z
      - .offset:         128
        .size:           8
        .value_kind:     hidden_global_offset_x
      - .offset:         136
        .size:           8
        .value_kind:     hidden_global_offset_y
      - .offset:         144
        .size:           8
        .value_kind:     hidden_global_offset_z
      - .offset:         152
        .size:           2
        .value_kind:     hidden_grid_dims
    .group_segment_fixed_size: 0
    .kernarg_segment_align: 8
    .kernarg_segment_size: 344
    .language:       OpenCL C
    .language_version:
      - 2
      - 0
    .max_flat_workgroup_size: 64
    .name:           _ZL36rocblas_hemvn_kernel_upper_block_sumILi64ElPKfPKPffEviT1_lS5_lT2_lT0_lPT3_i
    .private_segment_fixed_size: 0
    .sgpr_count:     30
    .sgpr_spill_count: 0
    .symbol:         _ZL36rocblas_hemvn_kernel_upper_block_sumILi64ElPKfPKPffEviT1_lS5_lT2_lT0_lPT3_i.kd
    .uniform_work_group_size: 1
    .uses_dynamic_stack: false
    .vgpr_count:     7
    .vgpr_spill_count: 0
    .wavefront_size: 64
  - .agpr_count:     0
    .args:
      - .offset:         0
        .size:           4
        .value_kind:     by_value
      - .address_space:  global
        .offset:         8
        .size:           8
        .value_kind:     global_buffer
      - .offset:         16
        .size:           8
        .value_kind:     by_value
      - .address_space:  global
        .offset:         24
        .size:           8
        .value_kind:     global_buffer
      - .offset:         32
        .size:           8
        .value_kind:     by_value
      - .offset:         40
        .size:           4
        .value_kind:     by_value
      - .offset:         48
        .size:           8
        .value_kind:     by_value
      - .address_space:  global
        .offset:         56
        .size:           8
        .value_kind:     global_buffer
      - .offset:         64
        .size:           8
        .value_kind:     by_value
      - .offset:         72
        .size:           4
        .value_kind:     by_value
      - .offset:         80
        .size:           8
        .value_kind:     by_value
      - .address_space:  global
        .offset:         88
        .size:           8
        .value_kind:     global_buffer
      - .offset:         96
        .size:           8
        .value_kind:     by_value
      - .address_space:  global
        .offset:         104
        .size:           8
        .value_kind:     global_buffer
      - .offset:         112
        .size:           4
        .value_kind:     by_value
      - .offset:         120
        .size:           4
        .value_kind:     hidden_block_count_x
      - .offset:         124
        .size:           4
        .value_kind:     hidden_block_count_y
      - .offset:         128
        .size:           4
        .value_kind:     hidden_block_count_z
      - .offset:         132
        .size:           2
        .value_kind:     hidden_group_size_x
      - .offset:         134
        .size:           2
        .value_kind:     hidden_group_size_y
      - .offset:         136
        .size:           2
        .value_kind:     hidden_group_size_z
      - .offset:         138
        .size:           2
        .value_kind:     hidden_remainder_x
      - .offset:         140
        .size:           2
        .value_kind:     hidden_remainder_y
      - .offset:         142
        .size:           2
        .value_kind:     hidden_remainder_z
      - .offset:         160
        .size:           8
        .value_kind:     hidden_global_offset_x
      - .offset:         168
        .size:           8
        .value_kind:     hidden_global_offset_y
      - .offset:         176
        .size:           8
        .value_kind:     hidden_global_offset_z
      - .offset:         184
        .size:           2
        .value_kind:     hidden_grid_dims
    .group_segment_fixed_size: 4800
    .kernarg_segment_align: 8
    .kernarg_segment_size: 376
    .language:       OpenCL C
    .language_version:
      - 2
      - 0
    .max_flat_workgroup_size: 256
    .name:           _ZL26rocblas_hemvn_kernel_upperILb0ELi64ELi4ELi33ELi32ELi16EiPKfPKS1_PfEviT6_lT7_lT5_lS6_lS7_lS5_lT8_i
    .private_segment_fixed_size: 0
    .sgpr_count:     51
    .sgpr_spill_count: 0
    .symbol:         _ZL26rocblas_hemvn_kernel_upperILb0ELi64ELi4ELi33ELi32ELi16EiPKfPKS1_PfEviT6_lT7_lT5_lS6_lS7_lS5_lT8_i.kd
    .uniform_work_group_size: 1
    .uses_dynamic_stack: false
    .vgpr_count:     130
    .vgpr_spill_count: 0
    .wavefront_size: 64
  - .agpr_count:     0
    .args:
      - .offset:         0
        .size:           4
        .value_kind:     by_value
      - .address_space:  global
        .offset:         8
        .size:           8
        .value_kind:     global_buffer
      - .offset:         16
        .size:           8
        .value_kind:     by_value
      - .address_space:  global
        .offset:         24
        .size:           8
        .value_kind:     global_buffer
      - .offset:         32
        .size:           8
        .value_kind:     by_value
      - .actual_access:  read_only
        .address_space:  global
        .offset:         40
        .size:           8
        .value_kind:     global_buffer
      - .offset:         48
        .size:           8
        .value_kind:     by_value
      - .offset:         56
        .size:           4
        .value_kind:     by_value
      - .offset:         64
        .size:           8
        .value_kind:     by_value
      - .address_space:  global
        .offset:         72
        .size:           8
        .value_kind:     global_buffer
      - .offset:         80
        .size:           4
        .value_kind:     by_value
      - .offset:         88
        .size:           4
        .value_kind:     hidden_block_count_x
      - .offset:         92
        .size:           4
        .value_kind:     hidden_block_count_y
      - .offset:         96
        .size:           4
        .value_kind:     hidden_block_count_z
      - .offset:         100
        .size:           2
        .value_kind:     hidden_group_size_x
      - .offset:         102
        .size:           2
        .value_kind:     hidden_group_size_y
      - .offset:         104
        .size:           2
        .value_kind:     hidden_group_size_z
      - .offset:         106
        .size:           2
        .value_kind:     hidden_remainder_x
      - .offset:         108
        .size:           2
        .value_kind:     hidden_remainder_y
      - .offset:         110
        .size:           2
        .value_kind:     hidden_remainder_z
      - .offset:         128
        .size:           8
        .value_kind:     hidden_global_offset_x
      - .offset:         136
        .size:           8
        .value_kind:     hidden_global_offset_y
      - .offset:         144
        .size:           8
        .value_kind:     hidden_global_offset_z
      - .offset:         152
        .size:           2
        .value_kind:     hidden_grid_dims
    .group_segment_fixed_size: 0
    .kernarg_segment_align: 8
    .kernarg_segment_size: 344
    .language:       OpenCL C
    .language_version:
      - 2
      - 0
    .max_flat_workgroup_size: 64
    .name:           _ZL36rocblas_hemvn_kernel_upper_block_sumILi64EiPKfPKPffEviT1_lS5_lT2_lT0_lPT3_i
    .private_segment_fixed_size: 0
    .sgpr_count:     26
    .sgpr_spill_count: 0
    .symbol:         _ZL36rocblas_hemvn_kernel_upper_block_sumILi64EiPKfPKPffEviT1_lS5_lT2_lT0_lPT3_i.kd
    .uniform_work_group_size: 1
    .uses_dynamic_stack: false
    .vgpr_count:     6
    .vgpr_spill_count: 0
    .wavefront_size: 64
  - .agpr_count:     0
    .args:
      - .offset:         0
        .size:           4
        .value_kind:     by_value
      - .offset:         4
        .size:           4
        .value_kind:     by_value
      - .offset:         8
        .size:           8
        .value_kind:     by_value
      - .address_space:  global
        .offset:         16
        .size:           8
        .value_kind:     global_buffer
      - .offset:         24
        .size:           8
        .value_kind:     by_value
      - .offset:         32
        .size:           8
        .value_kind:     by_value
      - .offset:         40
        .size:           8
        .value_kind:     by_value
      - .address_space:  global
        .offset:         48
        .size:           8
        .value_kind:     global_buffer
      - .offset:         56
        .size:           8
        .value_kind:     by_value
      - .offset:         64
        .size:           8
        .value_kind:     by_value
      - .offset:         72
        .size:           8
        .value_kind:     by_value
      - .offset:         80
        .size:           4
        .value_kind:     by_value
      - .offset:         88
        .size:           8
        .value_kind:     by_value
      - .address_space:  global
        .offset:         96
        .size:           8
        .value_kind:     global_buffer
      - .offset:         104
        .size:           4
        .value_kind:     by_value
      - .offset:         112
        .size:           4
        .value_kind:     hidden_block_count_x
      - .offset:         116
        .size:           4
        .value_kind:     hidden_block_count_y
      - .offset:         120
        .size:           4
        .value_kind:     hidden_block_count_z
      - .offset:         124
        .size:           2
        .value_kind:     hidden_group_size_x
      - .offset:         126
        .size:           2
        .value_kind:     hidden_group_size_y
      - .offset:         128
        .size:           2
        .value_kind:     hidden_group_size_z
      - .offset:         130
        .size:           2
        .value_kind:     hidden_remainder_x
      - .offset:         132
        .size:           2
        .value_kind:     hidden_remainder_y
      - .offset:         134
        .size:           2
        .value_kind:     hidden_remainder_z
      - .offset:         152
        .size:           8
        .value_kind:     hidden_global_offset_x
      - .offset:         160
        .size:           8
        .value_kind:     hidden_global_offset_y
      - .offset:         168
        .size:           8
        .value_kind:     hidden_global_offset_z
      - .offset:         176
        .size:           2
        .value_kind:     hidden_grid_dims
    .group_segment_fixed_size: 4800
    .kernarg_segment_align: 8
    .kernarg_segment_size: 368
    .language:       OpenCL C
    .language_version:
      - 2
      - 0
    .max_flat_workgroup_size: 256
    .name:           _ZL26rocblas_hemvn_kernel_upperILb0ELi64ELi4ELi33ELi32ELi16ElfPKPKfPfEviT6_lT7_lT5_lS6_lS7_lS5_lT8_i
    .private_segment_fixed_size: 0
    .sgpr_count:     46
    .sgpr_spill_count: 0
    .symbol:         _ZL26rocblas_hemvn_kernel_upperILb0ELi64ELi4ELi33ELi32ELi16ElfPKPKfPfEviT6_lT7_lT5_lS6_lS7_lS5_lT8_i.kd
    .uniform_work_group_size: 1
    .uses_dynamic_stack: false
    .vgpr_count:     96
    .vgpr_spill_count: 0
    .wavefront_size: 64
  - .agpr_count:     0
    .args:
      - .offset:         0
        .size:           4
        .value_kind:     by_value
      - .offset:         4
        .size:           4
        .value_kind:     by_value
      - .offset:         8
        .size:           8
        .value_kind:     by_value
      - .offset:         16
        .size:           4
        .value_kind:     by_value
      - .offset:         24
        .size:           8
        .value_kind:     by_value
      - .actual_access:  read_only
        .address_space:  global
        .offset:         32
        .size:           8
        .value_kind:     global_buffer
      - .offset:         40
        .size:           8
        .value_kind:     by_value
      - .offset:         48
        .size:           8
        .value_kind:     by_value
      - .offset:         56
        .size:           8
        .value_kind:     by_value
      - .address_space:  global
        .offset:         64
        .size:           8
        .value_kind:     global_buffer
      - .offset:         72
        .size:           4
        .value_kind:     by_value
      - .offset:         80
        .size:           4
        .value_kind:     hidden_block_count_x
      - .offset:         84
        .size:           4
        .value_kind:     hidden_block_count_y
      - .offset:         88
        .size:           4
        .value_kind:     hidden_block_count_z
      - .offset:         92
        .size:           2
        .value_kind:     hidden_group_size_x
      - .offset:         94
        .size:           2
        .value_kind:     hidden_group_size_y
      - .offset:         96
        .size:           2
        .value_kind:     hidden_group_size_z
      - .offset:         98
        .size:           2
        .value_kind:     hidden_remainder_x
      - .offset:         100
        .size:           2
        .value_kind:     hidden_remainder_y
      - .offset:         102
        .size:           2
        .value_kind:     hidden_remainder_z
      - .offset:         120
        .size:           8
        .value_kind:     hidden_global_offset_x
      - .offset:         128
        .size:           8
        .value_kind:     hidden_global_offset_y
      - .offset:         136
        .size:           8
        .value_kind:     hidden_global_offset_z
      - .offset:         144
        .size:           2
        .value_kind:     hidden_grid_dims
    .group_segment_fixed_size: 0
    .kernarg_segment_align: 8
    .kernarg_segment_size: 336
    .language:       OpenCL C
    .language_version:
      - 2
      - 0
    .max_flat_workgroup_size: 64
    .name:           _ZL36rocblas_hemvn_kernel_upper_block_sumILi64ElfPKPffEviT1_lS3_lT2_lT0_lPT3_i
    .private_segment_fixed_size: 0
    .sgpr_count:     26
    .sgpr_spill_count: 0
    .symbol:         _ZL36rocblas_hemvn_kernel_upper_block_sumILi64ElfPKPffEviT1_lS3_lT2_lT0_lPT3_i.kd
    .uniform_work_group_size: 1
    .uses_dynamic_stack: false
    .vgpr_count:     7
    .vgpr_spill_count: 0
    .wavefront_size: 64
  - .agpr_count:     0
    .args:
      - .offset:         0
        .size:           4
        .value_kind:     by_value
      - .offset:         4
        .size:           4
        .value_kind:     by_value
      - .offset:         8
        .size:           8
        .value_kind:     by_value
      - .address_space:  global
        .offset:         16
        .size:           8
        .value_kind:     global_buffer
      - .offset:         24
        .size:           8
        .value_kind:     by_value
      - .offset:         32
        .size:           4
        .value_kind:     by_value
      - .offset:         40
        .size:           8
        .value_kind:     by_value
      - .address_space:  global
        .offset:         48
        .size:           8
        .value_kind:     global_buffer
      - .offset:         56
        .size:           8
        .value_kind:     by_value
      - .offset:         64
        .size:           4
        .value_kind:     by_value
      - .offset:         72
        .size:           8
        .value_kind:     by_value
      - .offset:         80
        .size:           4
        .value_kind:     by_value
      - .offset:         88
        .size:           8
        .value_kind:     by_value
      - .address_space:  global
        .offset:         96
        .size:           8
        .value_kind:     global_buffer
      - .offset:         104
        .size:           4
        .value_kind:     by_value
      - .offset:         112
        .size:           4
        .value_kind:     hidden_block_count_x
      - .offset:         116
        .size:           4
        .value_kind:     hidden_block_count_y
      - .offset:         120
        .size:           4
        .value_kind:     hidden_block_count_z
      - .offset:         124
        .size:           2
        .value_kind:     hidden_group_size_x
      - .offset:         126
        .size:           2
        .value_kind:     hidden_group_size_y
      - .offset:         128
        .size:           2
        .value_kind:     hidden_group_size_z
      - .offset:         130
        .size:           2
        .value_kind:     hidden_remainder_x
      - .offset:         132
        .size:           2
        .value_kind:     hidden_remainder_y
      - .offset:         134
        .size:           2
        .value_kind:     hidden_remainder_z
      - .offset:         152
        .size:           8
        .value_kind:     hidden_global_offset_x
      - .offset:         160
        .size:           8
        .value_kind:     hidden_global_offset_y
      - .offset:         168
        .size:           8
        .value_kind:     hidden_global_offset_z
      - .offset:         176
        .size:           2
        .value_kind:     hidden_grid_dims
    .group_segment_fixed_size: 4800
    .kernarg_segment_align: 8
    .kernarg_segment_size: 368
    .language:       OpenCL C
    .language_version:
      - 2
      - 0
    .max_flat_workgroup_size: 256
    .name:           _ZL26rocblas_hemvn_kernel_upperILb0ELi64ELi4ELi33ELi32ELi16EifPKPKfPfEviT6_lT7_lT5_lS6_lS7_lS5_lT8_i
    .private_segment_fixed_size: 0
    .sgpr_count:     51
    .sgpr_spill_count: 0
    .symbol:         _ZL26rocblas_hemvn_kernel_upperILb0ELi64ELi4ELi33ELi32ELi16EifPKPKfPfEviT6_lT7_lT5_lS6_lS7_lS5_lT8_i.kd
    .uniform_work_group_size: 1
    .uses_dynamic_stack: false
    .vgpr_count:     130
    .vgpr_spill_count: 0
    .wavefront_size: 64
  - .agpr_count:     0
    .args:
      - .offset:         0
        .size:           4
        .value_kind:     by_value
      - .offset:         4
        .size:           4
        .value_kind:     by_value
      - .offset:         8
        .size:           8
        .value_kind:     by_value
      - .offset:         16
        .size:           4
        .value_kind:     by_value
      - .offset:         24
        .size:           8
        .value_kind:     by_value
      - .actual_access:  read_only
        .address_space:  global
        .offset:         32
        .size:           8
        .value_kind:     global_buffer
      - .offset:         40
        .size:           8
        .value_kind:     by_value
      - .offset:         48
        .size:           4
        .value_kind:     by_value
      - .offset:         56
        .size:           8
        .value_kind:     by_value
      - .address_space:  global
        .offset:         64
        .size:           8
        .value_kind:     global_buffer
      - .offset:         72
        .size:           4
        .value_kind:     by_value
      - .offset:         80
        .size:           4
        .value_kind:     hidden_block_count_x
      - .offset:         84
        .size:           4
        .value_kind:     hidden_block_count_y
      - .offset:         88
        .size:           4
        .value_kind:     hidden_block_count_z
      - .offset:         92
        .size:           2
        .value_kind:     hidden_group_size_x
      - .offset:         94
        .size:           2
        .value_kind:     hidden_group_size_y
      - .offset:         96
        .size:           2
        .value_kind:     hidden_group_size_z
      - .offset:         98
        .size:           2
        .value_kind:     hidden_remainder_x
      - .offset:         100
        .size:           2
        .value_kind:     hidden_remainder_y
      - .offset:         102
        .size:           2
        .value_kind:     hidden_remainder_z
      - .offset:         120
        .size:           8
        .value_kind:     hidden_global_offset_x
      - .offset:         128
        .size:           8
        .value_kind:     hidden_global_offset_y
      - .offset:         136
        .size:           8
        .value_kind:     hidden_global_offset_z
      - .offset:         144
        .size:           2
        .value_kind:     hidden_grid_dims
    .group_segment_fixed_size: 0
    .kernarg_segment_align: 8
    .kernarg_segment_size: 336
    .language:       OpenCL C
    .language_version:
      - 2
      - 0
    .max_flat_workgroup_size: 64
    .name:           _ZL36rocblas_hemvn_kernel_upper_block_sumILi64EifPKPffEviT1_lS3_lT2_lT0_lPT3_i
    .private_segment_fixed_size: 0
    .sgpr_count:     25
    .sgpr_spill_count: 0
    .symbol:         _ZL36rocblas_hemvn_kernel_upper_block_sumILi64EifPKPffEviT1_lS3_lT2_lT0_lPT3_i.kd
    .uniform_work_group_size: 1
    .uses_dynamic_stack: false
    .vgpr_count:     6
    .vgpr_spill_count: 0
    .wavefront_size: 64
  - .agpr_count:     0
    .args:
      - .offset:         0
        .size:           1
        .value_kind:     by_value
      - .offset:         4
        .size:           4
        .value_kind:     by_value
      - .offset:         8
        .size:           8
        .value_kind:     by_value
      - .offset:         16
        .size:           8
        .value_kind:     by_value
      - .address_space:  global
        .offset:         24
        .size:           8
        .value_kind:     global_buffer
      - .offset:         32
        .size:           8
        .value_kind:     by_value
      - .offset:         40
        .size:           8
        .value_kind:     by_value
      - .offset:         48
        .size:           8
        .value_kind:     by_value
      - .address_space:  global
        .offset:         56
        .size:           8
        .value_kind:     global_buffer
      - .offset:         64
        .size:           8
        .value_kind:     by_value
      - .offset:         72
        .size:           8
        .value_kind:     by_value
      - .offset:         80
        .size:           8
        .value_kind:     by_value
      - .offset:         88
        .size:           8
        .value_kind:     by_value
      - .offset:         96
        .size:           8
        .value_kind:     by_value
      - .actual_access:  read_only
        .address_space:  global
        .offset:         104
        .size:           8
        .value_kind:     global_buffer
      - .offset:         112
        .size:           8
        .value_kind:     by_value
      - .offset:         120
        .size:           8
        .value_kind:     by_value
      - .offset:         128
        .size:           8
        .value_kind:     by_value
      - .offset:         136
        .size:           4
        .value_kind:     by_value
    .group_segment_fixed_size: 5248
    .kernarg_segment_align: 8
    .kernarg_segment_size: 140
    .language:       OpenCL C
    .language_version:
      - 2
      - 0
    .max_flat_workgroup_size: 128
    .name:           _ZL50rocblas_symv_kernel_lower_double_buffered_diagonalILi32ELi4E24rocblas_internal_val_ptrIfEPKPKfPKPfEvbiT1_lT2_lllSA_lllS9_lT3_llli
    .private_segment_fixed_size: 0
    .sgpr_count:     35
    .sgpr_spill_count: 0
    .symbol:         _ZL50rocblas_symv_kernel_lower_double_buffered_diagonalILi32ELi4E24rocblas_internal_val_ptrIfEPKPKfPKPfEvbiT1_lT2_lllSA_lllS9_lT3_llli.kd
    .uniform_work_group_size: 1
    .uses_dynamic_stack: false
    .vgpr_count:     22
    .vgpr_spill_count: 0
    .wavefront_size: 64
  - .agpr_count:     0
    .args:
      - .offset:         0
        .size:           1
        .value_kind:     by_value
      - .offset:         4
        .size:           4
        .value_kind:     by_value
      - .offset:         8
        .size:           8
        .value_kind:     by_value
      - .offset:         16
        .size:           8
        .value_kind:     by_value
      - .address_space:  global
        .offset:         24
        .size:           8
        .value_kind:     global_buffer
      - .offset:         32
        .size:           8
        .value_kind:     by_value
      - .offset:         40
        .size:           8
        .value_kind:     by_value
      - .offset:         48
        .size:           8
        .value_kind:     by_value
      - .address_space:  global
        .offset:         56
        .size:           8
        .value_kind:     global_buffer
      - .offset:         64
        .size:           8
        .value_kind:     by_value
      - .offset:         72
        .size:           8
        .value_kind:     by_value
      - .offset:         80
        .size:           8
        .value_kind:     by_value
      - .actual_access:  read_only
        .address_space:  global
        .offset:         88
        .size:           8
        .value_kind:     global_buffer
      - .offset:         96
        .size:           8
        .value_kind:     by_value
      - .offset:         104
        .size:           8
        .value_kind:     by_value
      - .offset:         112
        .size:           8
        .value_kind:     by_value
      - .offset:         120
        .size:           4
        .value_kind:     by_value
      - .offset:         128
        .size:           4
        .value_kind:     hidden_block_count_x
      - .offset:         132
        .size:           4
        .value_kind:     hidden_block_count_y
      - .offset:         136
        .size:           4
        .value_kind:     hidden_block_count_z
      - .offset:         140
        .size:           2
        .value_kind:     hidden_group_size_x
      - .offset:         142
        .size:           2
        .value_kind:     hidden_group_size_y
      - .offset:         144
        .size:           2
        .value_kind:     hidden_group_size_z
      - .offset:         146
        .size:           2
        .value_kind:     hidden_remainder_x
      - .offset:         148
        .size:           2
        .value_kind:     hidden_remainder_y
      - .offset:         150
        .size:           2
        .value_kind:     hidden_remainder_z
      - .offset:         168
        .size:           8
        .value_kind:     hidden_global_offset_x
      - .offset:         176
        .size:           8
        .value_kind:     hidden_global_offset_y
      - .offset:         184
        .size:           8
        .value_kind:     hidden_global_offset_z
      - .offset:         192
        .size:           2
        .value_kind:     hidden_grid_dims
    .group_segment_fixed_size: 3200
    .kernarg_segment_align: 8
    .kernarg_segment_size: 384
    .language:       OpenCL C
    .language_version:
      - 2
      - 0
    .max_flat_workgroup_size: 128
    .name:           _ZL54rocblas_symv_kernel_lower_double_buffered_non_diagonalILi32ELi4ELi4E24rocblas_internal_val_ptrIfEPKPKfPKPfEvbiT2_lT3_lllSA_lllT4_llli
    .private_segment_fixed_size: 0
    .sgpr_count:     38
    .sgpr_spill_count: 0
    .symbol:         _ZL54rocblas_symv_kernel_lower_double_buffered_non_diagonalILi32ELi4ELi4E24rocblas_internal_val_ptrIfEPKPKfPKPfEvbiT2_lT3_lllSA_lllT4_llli.kd
    .uniform_work_group_size: 1
    .uses_dynamic_stack: false
    .vgpr_count:     56
    .vgpr_spill_count: 0
    .wavefront_size: 64
  - .agpr_count:     0
    .args:
      - .offset:         0
        .size:           1
        .value_kind:     by_value
      - .offset:         4
        .size:           4
        .value_kind:     by_value
      - .offset:         8
        .size:           8
        .value_kind:     by_value
      - .offset:         16
        .size:           8
        .value_kind:     by_value
      - .address_space:  global
        .offset:         24
        .size:           8
        .value_kind:     global_buffer
      - .offset:         32
        .size:           8
        .value_kind:     by_value
      - .offset:         40
        .size:           8
        .value_kind:     by_value
      - .offset:         48
        .size:           8
        .value_kind:     by_value
      - .address_space:  global
        .offset:         56
        .size:           8
        .value_kind:     global_buffer
      - .offset:         64
        .size:           8
        .value_kind:     by_value
      - .offset:         72
        .size:           8
        .value_kind:     by_value
      - .offset:         80
        .size:           8
        .value_kind:     by_value
      - .offset:         88
        .size:           8
        .value_kind:     by_value
      - .offset:         96
        .size:           8
        .value_kind:     by_value
      - .actual_access:  read_only
        .address_space:  global
        .offset:         104
        .size:           8
        .value_kind:     global_buffer
      - .offset:         112
        .size:           8
        .value_kind:     by_value
      - .offset:         120
        .size:           8
        .value_kind:     by_value
      - .offset:         128
        .size:           8
        .value_kind:     by_value
      - .offset:         136
        .size:           4
        .value_kind:     by_value
      - .offset:         140
        .size:           4
        .value_kind:     by_value
      - .offset:         144
        .size:           4
        .value_kind:     hidden_block_count_x
      - .offset:         148
        .size:           4
        .value_kind:     hidden_block_count_y
      - .offset:         152
        .size:           4
        .value_kind:     hidden_block_count_z
      - .offset:         156
        .size:           2
        .value_kind:     hidden_group_size_x
      - .offset:         158
        .size:           2
        .value_kind:     hidden_group_size_y
      - .offset:         160
        .size:           2
        .value_kind:     hidden_group_size_z
      - .offset:         162
        .size:           2
        .value_kind:     hidden_remainder_x
      - .offset:         164
        .size:           2
        .value_kind:     hidden_remainder_y
      - .offset:         166
        .size:           2
        .value_kind:     hidden_remainder_z
      - .offset:         184
        .size:           8
        .value_kind:     hidden_global_offset_x
      - .offset:         192
        .size:           8
        .value_kind:     hidden_global_offset_y
      - .offset:         200
        .size:           8
        .value_kind:     hidden_global_offset_z
      - .offset:         208
        .size:           2
        .value_kind:     hidden_grid_dims
    .group_segment_fixed_size: 5248
    .kernarg_segment_align: 8
    .kernarg_segment_size: 400
    .language:       OpenCL C
    .language_version:
      - 2
      - 0
    .max_flat_workgroup_size: 128
    .name:           _ZL58rocblas_symv_kernel_lower_double_buffered_diagonal_genericILi32ELi4E24rocblas_internal_val_ptrIfEPKPKfPKPfEvbiT1_lT2_lllSA_lllS9_lT3_lllii
    .private_segment_fixed_size: 0
    .sgpr_count:     40
    .sgpr_spill_count: 0
    .symbol:         _ZL58rocblas_symv_kernel_lower_double_buffered_diagonal_genericILi32ELi4E24rocblas_internal_val_ptrIfEPKPKfPKPfEvbiT1_lT2_lllSA_lllS9_lT3_lllii.kd
    .uniform_work_group_size: 1
    .uses_dynamic_stack: false
    .vgpr_count:     31
    .vgpr_spill_count: 0
    .wavefront_size: 64
  - .agpr_count:     0
    .args:
      - .offset:         0
        .size:           1
        .value_kind:     by_value
      - .offset:         4
        .size:           4
        .value_kind:     by_value
      - .offset:         8
        .size:           8
        .value_kind:     by_value
      - .offset:         16
        .size:           8
        .value_kind:     by_value
      - .address_space:  global
        .offset:         24
        .size:           8
        .value_kind:     global_buffer
      - .offset:         32
        .size:           8
        .value_kind:     by_value
      - .offset:         40
        .size:           8
        .value_kind:     by_value
      - .offset:         48
        .size:           8
        .value_kind:     by_value
      - .address_space:  global
        .offset:         56
        .size:           8
        .value_kind:     global_buffer
      - .offset:         64
        .size:           8
        .value_kind:     by_value
      - .offset:         72
        .size:           8
        .value_kind:     by_value
      - .offset:         80
        .size:           8
        .value_kind:     by_value
      - .actual_access:  read_only
        .address_space:  global
        .offset:         88
        .size:           8
        .value_kind:     global_buffer
      - .offset:         96
        .size:           8
        .value_kind:     by_value
      - .offset:         104
        .size:           8
        .value_kind:     by_value
      - .offset:         112
        .size:           8
        .value_kind:     by_value
      - .offset:         120
        .size:           4
        .value_kind:     by_value
      - .offset:         124
        .size:           4
        .value_kind:     by_value
      - .offset:         128
        .size:           4
        .value_kind:     hidden_block_count_x
      - .offset:         132
        .size:           4
        .value_kind:     hidden_block_count_y
      - .offset:         136
        .size:           4
        .value_kind:     hidden_block_count_z
      - .offset:         140
        .size:           2
        .value_kind:     hidden_group_size_x
      - .offset:         142
        .size:           2
        .value_kind:     hidden_group_size_y
      - .offset:         144
        .size:           2
        .value_kind:     hidden_group_size_z
      - .offset:         146
        .size:           2
        .value_kind:     hidden_remainder_x
      - .offset:         148
        .size:           2
        .value_kind:     hidden_remainder_y
      - .offset:         150
        .size:           2
        .value_kind:     hidden_remainder_z
      - .offset:         168
        .size:           8
        .value_kind:     hidden_global_offset_x
      - .offset:         176
        .size:           8
        .value_kind:     hidden_global_offset_y
      - .offset:         184
        .size:           8
        .value_kind:     hidden_global_offset_z
      - .offset:         192
        .size:           2
        .value_kind:     hidden_grid_dims
    .group_segment_fixed_size: 3200
    .kernarg_segment_align: 8
    .kernarg_segment_size: 384
    .language:       OpenCL C
    .language_version:
      - 2
      - 0
    .max_flat_workgroup_size: 128
    .name:           _ZL62rocblas_symv_kernel_lower_double_buffered_non_diagonal_genericILi32ELi4ELi4E24rocblas_internal_val_ptrIfEPKPKfPKPfEvbiT2_lT3_lllSA_lllT4_lllii
    .private_segment_fixed_size: 0
    .sgpr_count:     45
    .sgpr_spill_count: 0
    .symbol:         _ZL62rocblas_symv_kernel_lower_double_buffered_non_diagonal_genericILi32ELi4ELi4E24rocblas_internal_val_ptrIfEPKPKfPKPfEvbiT2_lT3_lllSA_lllT4_lllii.kd
    .uniform_work_group_size: 1
    .uses_dynamic_stack: false
    .vgpr_count:     58
    .vgpr_spill_count: 0
    .wavefront_size: 64
  - .agpr_count:     0
    .args:
      - .offset:         0
        .size:           4
        .value_kind:     by_value
      - .address_space:  global
        .offset:         8
        .size:           8
        .value_kind:     global_buffer
      - .offset:         16
        .size:           8
        .value_kind:     by_value
      - .address_space:  global
        .offset:         24
        .size:           8
        .value_kind:     global_buffer
      - .offset:         32
        .size:           8
        .value_kind:     by_value
      - .offset:         40
        .size:           8
        .value_kind:     by_value
      - .offset:         48
        .size:           8
        .value_kind:     by_value
      - .address_space:  global
        .offset:         56
        .size:           8
        .value_kind:     global_buffer
      - .offset:         64
        .size:           8
        .value_kind:     by_value
      - .offset:         72
        .size:           8
        .value_kind:     by_value
      - .offset:         80
        .size:           8
        .value_kind:     by_value
      - .address_space:  global
        .offset:         88
        .size:           8
        .value_kind:     global_buffer
      - .offset:         96
        .size:           8
        .value_kind:     by_value
      - .address_space:  global
        .offset:         104
        .size:           8
        .value_kind:     global_buffer
      - .offset:         112
        .size:           4
        .value_kind:     by_value
      - .offset:         120
        .size:           4
        .value_kind:     hidden_block_count_x
      - .offset:         124
        .size:           4
        .value_kind:     hidden_block_count_y
      - .offset:         128
        .size:           4
        .value_kind:     hidden_block_count_z
      - .offset:         132
        .size:           2
        .value_kind:     hidden_group_size_x
      - .offset:         134
        .size:           2
        .value_kind:     hidden_group_size_y
      - .offset:         136
        .size:           2
        .value_kind:     hidden_group_size_z
      - .offset:         138
        .size:           2
        .value_kind:     hidden_remainder_x
      - .offset:         140
        .size:           2
        .value_kind:     hidden_remainder_y
      - .offset:         142
        .size:           2
        .value_kind:     hidden_remainder_z
      - .offset:         160
        .size:           8
        .value_kind:     hidden_global_offset_x
      - .offset:         168
        .size:           8
        .value_kind:     hidden_global_offset_y
      - .offset:         176
        .size:           8
        .value_kind:     hidden_global_offset_z
      - .offset:         184
        .size:           2
        .value_kind:     hidden_grid_dims
    .group_segment_fixed_size: 4800
    .kernarg_segment_align: 8
    .kernarg_segment_size: 376
    .language:       OpenCL C
    .language_version:
      - 2
      - 0
    .max_flat_workgroup_size: 256
    .name:           _ZL26rocblas_hemvn_kernel_lowerILb0ELi64ELi4ELi33ELi32ELi16ElPKfPKS1_PfEviT6_lT7_lT5_lS6_lS7_lS5_lT8_i
    .private_segment_fixed_size: 0
    .sgpr_count:     56
    .sgpr_spill_count: 0
    .symbol:         _ZL26rocblas_hemvn_kernel_lowerILb0ELi64ELi4ELi33ELi32ELi16ElPKfPKS1_PfEviT6_lT7_lT5_lS6_lS7_lS5_lT8_i.kd
    .uniform_work_group_size: 1
    .uses_dynamic_stack: false
    .vgpr_count:     68
    .vgpr_spill_count: 0
    .wavefront_size: 64
  - .agpr_count:     0
    .args:
      - .offset:         0
        .size:           4
        .value_kind:     by_value
      - .address_space:  global
        .offset:         8
        .size:           8
        .value_kind:     global_buffer
      - .offset:         16
        .size:           8
        .value_kind:     by_value
      - .address_space:  global
        .offset:         24
        .size:           8
        .value_kind:     global_buffer
      - .offset:         32
        .size:           8
        .value_kind:     by_value
      - .actual_access:  read_only
        .address_space:  global
        .offset:         40
        .size:           8
        .value_kind:     global_buffer
      - .offset:         48
        .size:           8
        .value_kind:     by_value
      - .offset:         56
        .size:           8
        .value_kind:     by_value
      - .offset:         64
        .size:           8
        .value_kind:     by_value
      - .actual_access:  read_only
        .address_space:  global
        .offset:         72
        .size:           8
        .value_kind:     global_buffer
      - .offset:         80
        .size:           4
        .value_kind:     by_value
      - .offset:         88
        .size:           4
        .value_kind:     hidden_block_count_x
      - .offset:         92
        .size:           4
        .value_kind:     hidden_block_count_y
      - .offset:         96
        .size:           4
        .value_kind:     hidden_block_count_z
      - .offset:         100
        .size:           2
        .value_kind:     hidden_group_size_x
      - .offset:         102
        .size:           2
        .value_kind:     hidden_group_size_y
      - .offset:         104
        .size:           2
        .value_kind:     hidden_group_size_z
      - .offset:         106
        .size:           2
        .value_kind:     hidden_remainder_x
      - .offset:         108
        .size:           2
        .value_kind:     hidden_remainder_y
      - .offset:         110
        .size:           2
        .value_kind:     hidden_remainder_z
      - .offset:         128
        .size:           8
        .value_kind:     hidden_global_offset_x
      - .offset:         136
        .size:           8
        .value_kind:     hidden_global_offset_y
      - .offset:         144
        .size:           8
        .value_kind:     hidden_global_offset_z
      - .offset:         152
        .size:           2
        .value_kind:     hidden_grid_dims
    .group_segment_fixed_size: 0
    .kernarg_segment_align: 8
    .kernarg_segment_size: 344
    .language:       OpenCL C
    .language_version:
      - 2
      - 0
    .max_flat_workgroup_size: 64
    .name:           _ZL36rocblas_hemvn_kernel_lower_block_sumILi64ElPKfPKPffEviT1_lS5_lT2_lT0_lPT3_i
    .private_segment_fixed_size: 0
    .sgpr_count:     30
    .sgpr_spill_count: 0
    .symbol:         _ZL36rocblas_hemvn_kernel_lower_block_sumILi64ElPKfPKPffEviT1_lS5_lT2_lT0_lPT3_i.kd
    .uniform_work_group_size: 1
    .uses_dynamic_stack: false
    .vgpr_count:     7
    .vgpr_spill_count: 0
    .wavefront_size: 64
  - .agpr_count:     0
    .args:
      - .offset:         0
        .size:           4
        .value_kind:     by_value
      - .address_space:  global
        .offset:         8
        .size:           8
        .value_kind:     global_buffer
      - .offset:         16
        .size:           8
        .value_kind:     by_value
      - .address_space:  global
        .offset:         24
        .size:           8
        .value_kind:     global_buffer
      - .offset:         32
        .size:           8
        .value_kind:     by_value
      - .offset:         40
        .size:           4
        .value_kind:     by_value
      - .offset:         48
        .size:           8
        .value_kind:     by_value
      - .address_space:  global
        .offset:         56
        .size:           8
        .value_kind:     global_buffer
      - .offset:         64
        .size:           8
        .value_kind:     by_value
      - .offset:         72
        .size:           4
        .value_kind:     by_value
      - .offset:         80
        .size:           8
        .value_kind:     by_value
      - .address_space:  global
        .offset:         88
        .size:           8
        .value_kind:     global_buffer
      - .offset:         96
        .size:           8
        .value_kind:     by_value
      - .address_space:  global
        .offset:         104
        .size:           8
        .value_kind:     global_buffer
      - .offset:         112
        .size:           4
        .value_kind:     by_value
      - .offset:         120
        .size:           4
        .value_kind:     hidden_block_count_x
      - .offset:         124
        .size:           4
        .value_kind:     hidden_block_count_y
      - .offset:         128
        .size:           4
        .value_kind:     hidden_block_count_z
      - .offset:         132
        .size:           2
        .value_kind:     hidden_group_size_x
      - .offset:         134
        .size:           2
        .value_kind:     hidden_group_size_y
      - .offset:         136
        .size:           2
        .value_kind:     hidden_group_size_z
      - .offset:         138
        .size:           2
        .value_kind:     hidden_remainder_x
      - .offset:         140
        .size:           2
        .value_kind:     hidden_remainder_y
      - .offset:         142
        .size:           2
        .value_kind:     hidden_remainder_z
      - .offset:         160
        .size:           8
        .value_kind:     hidden_global_offset_x
      - .offset:         168
        .size:           8
        .value_kind:     hidden_global_offset_y
      - .offset:         176
        .size:           8
        .value_kind:     hidden_global_offset_z
      - .offset:         184
        .size:           2
        .value_kind:     hidden_grid_dims
    .group_segment_fixed_size: 4800
    .kernarg_segment_align: 8
    .kernarg_segment_size: 376
    .language:       OpenCL C
    .language_version:
      - 2
      - 0
    .max_flat_workgroup_size: 256
    .name:           _ZL26rocblas_hemvn_kernel_lowerILb0ELi64ELi4ELi33ELi32ELi16EiPKfPKS1_PfEviT6_lT7_lT5_lS6_lS7_lS5_lT8_i
    .private_segment_fixed_size: 0
    .sgpr_count:     54
    .sgpr_spill_count: 0
    .symbol:         _ZL26rocblas_hemvn_kernel_lowerILb0ELi64ELi4ELi33ELi32ELi16EiPKfPKS1_PfEviT6_lT7_lT5_lS6_lS7_lS5_lT8_i.kd
    .uniform_work_group_size: 1
    .uses_dynamic_stack: false
    .vgpr_count:     66
    .vgpr_spill_count: 0
    .wavefront_size: 64
  - .agpr_count:     0
    .args:
      - .offset:         0
        .size:           4
        .value_kind:     by_value
      - .address_space:  global
        .offset:         8
        .size:           8
        .value_kind:     global_buffer
      - .offset:         16
        .size:           8
        .value_kind:     by_value
      - .address_space:  global
        .offset:         24
        .size:           8
        .value_kind:     global_buffer
      - .offset:         32
        .size:           8
        .value_kind:     by_value
      - .actual_access:  read_only
        .address_space:  global
        .offset:         40
        .size:           8
        .value_kind:     global_buffer
      - .offset:         48
        .size:           8
        .value_kind:     by_value
      - .offset:         56
        .size:           4
        .value_kind:     by_value
      - .offset:         64
        .size:           8
        .value_kind:     by_value
      - .actual_access:  read_only
        .address_space:  global
        .offset:         72
        .size:           8
        .value_kind:     global_buffer
      - .offset:         80
        .size:           4
        .value_kind:     by_value
      - .offset:         88
        .size:           4
        .value_kind:     hidden_block_count_x
      - .offset:         92
        .size:           4
        .value_kind:     hidden_block_count_y
      - .offset:         96
        .size:           4
        .value_kind:     hidden_block_count_z
      - .offset:         100
        .size:           2
        .value_kind:     hidden_group_size_x
      - .offset:         102
        .size:           2
        .value_kind:     hidden_group_size_y
      - .offset:         104
        .size:           2
        .value_kind:     hidden_group_size_z
      - .offset:         106
        .size:           2
        .value_kind:     hidden_remainder_x
      - .offset:         108
        .size:           2
        .value_kind:     hidden_remainder_y
      - .offset:         110
        .size:           2
        .value_kind:     hidden_remainder_z
      - .offset:         128
        .size:           8
        .value_kind:     hidden_global_offset_x
      - .offset:         136
        .size:           8
        .value_kind:     hidden_global_offset_y
      - .offset:         144
        .size:           8
        .value_kind:     hidden_global_offset_z
      - .offset:         152
        .size:           2
        .value_kind:     hidden_grid_dims
    .group_segment_fixed_size: 0
    .kernarg_segment_align: 8
    .kernarg_segment_size: 344
    .language:       OpenCL C
    .language_version:
      - 2
      - 0
    .max_flat_workgroup_size: 64
    .name:           _ZL36rocblas_hemvn_kernel_lower_block_sumILi64EiPKfPKPffEviT1_lS5_lT2_lT0_lPT3_i
    .private_segment_fixed_size: 0
    .sgpr_count:     26
    .sgpr_spill_count: 0
    .symbol:         _ZL36rocblas_hemvn_kernel_lower_block_sumILi64EiPKfPKPffEviT1_lS5_lT2_lT0_lPT3_i.kd
    .uniform_work_group_size: 1
    .uses_dynamic_stack: false
    .vgpr_count:     6
    .vgpr_spill_count: 0
    .wavefront_size: 64
  - .agpr_count:     0
    .args:
      - .offset:         0
        .size:           4
        .value_kind:     by_value
      - .offset:         4
        .size:           4
        .value_kind:     by_value
      - .offset:         8
        .size:           8
        .value_kind:     by_value
      - .address_space:  global
        .offset:         16
        .size:           8
        .value_kind:     global_buffer
      - .offset:         24
        .size:           8
        .value_kind:     by_value
      - .offset:         32
        .size:           8
        .value_kind:     by_value
      - .offset:         40
        .size:           8
        .value_kind:     by_value
      - .address_space:  global
        .offset:         48
        .size:           8
        .value_kind:     global_buffer
      - .offset:         56
        .size:           8
        .value_kind:     by_value
      - .offset:         64
        .size:           8
        .value_kind:     by_value
      - .offset:         72
        .size:           8
        .value_kind:     by_value
      - .offset:         80
        .size:           4
        .value_kind:     by_value
      - .offset:         88
        .size:           8
        .value_kind:     by_value
      - .address_space:  global
        .offset:         96
        .size:           8
        .value_kind:     global_buffer
      - .offset:         104
        .size:           4
        .value_kind:     by_value
      - .offset:         112
        .size:           4
        .value_kind:     hidden_block_count_x
      - .offset:         116
        .size:           4
        .value_kind:     hidden_block_count_y
      - .offset:         120
        .size:           4
        .value_kind:     hidden_block_count_z
      - .offset:         124
        .size:           2
        .value_kind:     hidden_group_size_x
      - .offset:         126
        .size:           2
        .value_kind:     hidden_group_size_y
      - .offset:         128
        .size:           2
        .value_kind:     hidden_group_size_z
      - .offset:         130
        .size:           2
        .value_kind:     hidden_remainder_x
      - .offset:         132
        .size:           2
        .value_kind:     hidden_remainder_y
      - .offset:         134
        .size:           2
        .value_kind:     hidden_remainder_z
      - .offset:         152
        .size:           8
        .value_kind:     hidden_global_offset_x
      - .offset:         160
        .size:           8
        .value_kind:     hidden_global_offset_y
      - .offset:         168
        .size:           8
        .value_kind:     hidden_global_offset_z
      - .offset:         176
        .size:           2
        .value_kind:     hidden_grid_dims
    .group_segment_fixed_size: 4800
    .kernarg_segment_align: 8
    .kernarg_segment_size: 368
    .language:       OpenCL C
    .language_version:
      - 2
      - 0
    .max_flat_workgroup_size: 256
    .name:           _ZL26rocblas_hemvn_kernel_lowerILb0ELi64ELi4ELi33ELi32ELi16ElfPKPKfPfEviT6_lT7_lT5_lS6_lS7_lS5_lT8_i
    .private_segment_fixed_size: 0
    .sgpr_count:     56
    .sgpr_spill_count: 0
    .symbol:         _ZL26rocblas_hemvn_kernel_lowerILb0ELi64ELi4ELi33ELi32ELi16ElfPKPKfPfEviT6_lT7_lT5_lS6_lS7_lS5_lT8_i.kd
    .uniform_work_group_size: 1
    .uses_dynamic_stack: false
    .vgpr_count:     68
    .vgpr_spill_count: 0
    .wavefront_size: 64
  - .agpr_count:     0
    .args:
      - .offset:         0
        .size:           4
        .value_kind:     by_value
      - .offset:         4
        .size:           4
        .value_kind:     by_value
      - .offset:         8
        .size:           8
        .value_kind:     by_value
      - .offset:         16
        .size:           4
        .value_kind:     by_value
      - .offset:         24
        .size:           8
        .value_kind:     by_value
      - .actual_access:  read_only
        .address_space:  global
        .offset:         32
        .size:           8
        .value_kind:     global_buffer
      - .offset:         40
        .size:           8
        .value_kind:     by_value
      - .offset:         48
        .size:           8
        .value_kind:     by_value
      - .offset:         56
        .size:           8
        .value_kind:     by_value
      - .actual_access:  read_only
        .address_space:  global
        .offset:         64
        .size:           8
        .value_kind:     global_buffer
      - .offset:         72
        .size:           4
        .value_kind:     by_value
      - .offset:         80
        .size:           4
        .value_kind:     hidden_block_count_x
      - .offset:         84
        .size:           4
        .value_kind:     hidden_block_count_y
      - .offset:         88
        .size:           4
        .value_kind:     hidden_block_count_z
      - .offset:         92
        .size:           2
        .value_kind:     hidden_group_size_x
      - .offset:         94
        .size:           2
        .value_kind:     hidden_group_size_y
      - .offset:         96
        .size:           2
        .value_kind:     hidden_group_size_z
      - .offset:         98
        .size:           2
        .value_kind:     hidden_remainder_x
      - .offset:         100
        .size:           2
        .value_kind:     hidden_remainder_y
      - .offset:         102
        .size:           2
        .value_kind:     hidden_remainder_z
      - .offset:         120
        .size:           8
        .value_kind:     hidden_global_offset_x
      - .offset:         128
        .size:           8
        .value_kind:     hidden_global_offset_y
      - .offset:         136
        .size:           8
        .value_kind:     hidden_global_offset_z
      - .offset:         144
        .size:           2
        .value_kind:     hidden_grid_dims
    .group_segment_fixed_size: 0
    .kernarg_segment_align: 8
    .kernarg_segment_size: 336
    .language:       OpenCL C
    .language_version:
      - 2
      - 0
    .max_flat_workgroup_size: 64
    .name:           _ZL36rocblas_hemvn_kernel_lower_block_sumILi64ElfPKPffEviT1_lS3_lT2_lT0_lPT3_i
    .private_segment_fixed_size: 0
    .sgpr_count:     26
    .sgpr_spill_count: 0
    .symbol:         _ZL36rocblas_hemvn_kernel_lower_block_sumILi64ElfPKPffEviT1_lS3_lT2_lT0_lPT3_i.kd
    .uniform_work_group_size: 1
    .uses_dynamic_stack: false
    .vgpr_count:     7
    .vgpr_spill_count: 0
    .wavefront_size: 64
  - .agpr_count:     0
    .args:
      - .offset:         0
        .size:           4
        .value_kind:     by_value
      - .offset:         4
        .size:           4
        .value_kind:     by_value
      - .offset:         8
        .size:           8
        .value_kind:     by_value
      - .address_space:  global
        .offset:         16
        .size:           8
        .value_kind:     global_buffer
      - .offset:         24
        .size:           8
        .value_kind:     by_value
      - .offset:         32
        .size:           4
        .value_kind:     by_value
      - .offset:         40
        .size:           8
        .value_kind:     by_value
      - .address_space:  global
        .offset:         48
        .size:           8
        .value_kind:     global_buffer
      - .offset:         56
        .size:           8
        .value_kind:     by_value
      - .offset:         64
        .size:           4
        .value_kind:     by_value
      - .offset:         72
        .size:           8
        .value_kind:     by_value
      - .offset:         80
        .size:           4
        .value_kind:     by_value
      - .offset:         88
        .size:           8
        .value_kind:     by_value
      - .address_space:  global
        .offset:         96
        .size:           8
        .value_kind:     global_buffer
      - .offset:         104
        .size:           4
        .value_kind:     by_value
      - .offset:         112
        .size:           4
        .value_kind:     hidden_block_count_x
      - .offset:         116
        .size:           4
        .value_kind:     hidden_block_count_y
      - .offset:         120
        .size:           4
        .value_kind:     hidden_block_count_z
      - .offset:         124
        .size:           2
        .value_kind:     hidden_group_size_x
      - .offset:         126
        .size:           2
        .value_kind:     hidden_group_size_y
      - .offset:         128
        .size:           2
        .value_kind:     hidden_group_size_z
      - .offset:         130
        .size:           2
        .value_kind:     hidden_remainder_x
      - .offset:         132
        .size:           2
        .value_kind:     hidden_remainder_y
      - .offset:         134
        .size:           2
        .value_kind:     hidden_remainder_z
      - .offset:         152
        .size:           8
        .value_kind:     hidden_global_offset_x
      - .offset:         160
        .size:           8
        .value_kind:     hidden_global_offset_y
      - .offset:         168
        .size:           8
        .value_kind:     hidden_global_offset_z
      - .offset:         176
        .size:           2
        .value_kind:     hidden_grid_dims
    .group_segment_fixed_size: 4800
    .kernarg_segment_align: 8
    .kernarg_segment_size: 368
    .language:       OpenCL C
    .language_version:
      - 2
      - 0
    .max_flat_workgroup_size: 256
    .name:           _ZL26rocblas_hemvn_kernel_lowerILb0ELi64ELi4ELi33ELi32ELi16EifPKPKfPfEviT6_lT7_lT5_lS6_lS7_lS5_lT8_i
    .private_segment_fixed_size: 0
    .sgpr_count:     54
    .sgpr_spill_count: 0
    .symbol:         _ZL26rocblas_hemvn_kernel_lowerILb0ELi64ELi4ELi33ELi32ELi16EifPKPKfPfEviT6_lT7_lT5_lS6_lS7_lS5_lT8_i.kd
    .uniform_work_group_size: 1
    .uses_dynamic_stack: false
    .vgpr_count:     66
    .vgpr_spill_count: 0
    .wavefront_size: 64
  - .agpr_count:     0
    .args:
      - .offset:         0
        .size:           4
        .value_kind:     by_value
      - .offset:         4
        .size:           4
        .value_kind:     by_value
      - .offset:         8
        .size:           8
        .value_kind:     by_value
      - .offset:         16
        .size:           4
        .value_kind:     by_value
      - .offset:         24
        .size:           8
        .value_kind:     by_value
      - .actual_access:  read_only
        .address_space:  global
        .offset:         32
        .size:           8
        .value_kind:     global_buffer
      - .offset:         40
        .size:           8
        .value_kind:     by_value
      - .offset:         48
        .size:           4
        .value_kind:     by_value
      - .offset:         56
        .size:           8
        .value_kind:     by_value
      - .actual_access:  read_only
        .address_space:  global
        .offset:         64
        .size:           8
        .value_kind:     global_buffer
      - .offset:         72
        .size:           4
        .value_kind:     by_value
      - .offset:         80
        .size:           4
        .value_kind:     hidden_block_count_x
      - .offset:         84
        .size:           4
        .value_kind:     hidden_block_count_y
      - .offset:         88
        .size:           4
        .value_kind:     hidden_block_count_z
      - .offset:         92
        .size:           2
        .value_kind:     hidden_group_size_x
      - .offset:         94
        .size:           2
        .value_kind:     hidden_group_size_y
      - .offset:         96
        .size:           2
        .value_kind:     hidden_group_size_z
      - .offset:         98
        .size:           2
        .value_kind:     hidden_remainder_x
      - .offset:         100
        .size:           2
        .value_kind:     hidden_remainder_y
      - .offset:         102
        .size:           2
        .value_kind:     hidden_remainder_z
      - .offset:         120
        .size:           8
        .value_kind:     hidden_global_offset_x
      - .offset:         128
        .size:           8
        .value_kind:     hidden_global_offset_y
      - .offset:         136
        .size:           8
        .value_kind:     hidden_global_offset_z
      - .offset:         144
        .size:           2
        .value_kind:     hidden_grid_dims
    .group_segment_fixed_size: 0
    .kernarg_segment_align: 8
    .kernarg_segment_size: 336
    .language:       OpenCL C
    .language_version:
      - 2
      - 0
    .max_flat_workgroup_size: 64
    .name:           _ZL36rocblas_hemvn_kernel_lower_block_sumILi64EifPKPffEviT1_lS3_lT2_lT0_lPT3_i
    .private_segment_fixed_size: 0
    .sgpr_count:     25
    .sgpr_spill_count: 0
    .symbol:         _ZL36rocblas_hemvn_kernel_lower_block_sumILi64EifPKPffEviT1_lS3_lT2_lT0_lPT3_i.kd
    .uniform_work_group_size: 1
    .uses_dynamic_stack: false
    .vgpr_count:     6
    .vgpr_spill_count: 0
    .wavefront_size: 64
  - .agpr_count:     0
    .args:
      - .offset:         0
        .size:           1
        .value_kind:     by_value
      - .offset:         4
        .size:           4
        .value_kind:     by_value
      - .offset:         8
        .size:           8
        .value_kind:     by_value
      - .offset:         16
        .size:           8
        .value_kind:     by_value
      - .address_space:  global
        .offset:         24
        .size:           8
        .value_kind:     global_buffer
      - .offset:         32
        .size:           8
        .value_kind:     by_value
      - .offset:         40
        .size:           8
        .value_kind:     by_value
      - .offset:         48
        .size:           8
        .value_kind:     by_value
      - .address_space:  global
        .offset:         56
        .size:           8
        .value_kind:     global_buffer
      - .offset:         64
        .size:           8
        .value_kind:     by_value
      - .offset:         72
        .size:           8
        .value_kind:     by_value
      - .offset:         80
        .size:           8
        .value_kind:     by_value
      - .offset:         88
        .size:           8
        .value_kind:     by_value
      - .offset:         96
        .size:           8
        .value_kind:     by_value
      - .actual_access:  read_only
        .address_space:  global
        .offset:         104
        .size:           8
        .value_kind:     global_buffer
      - .offset:         112
        .size:           8
        .value_kind:     by_value
      - .offset:         120
        .size:           8
        .value_kind:     by_value
      - .offset:         128
        .size:           8
        .value_kind:     by_value
      - .offset:         136
        .size:           4
        .value_kind:     by_value
    .group_segment_fixed_size: 10496
    .kernarg_segment_align: 8
    .kernarg_segment_size: 140
    .language:       OpenCL C
    .language_version:
      - 2
      - 0
    .max_flat_workgroup_size: 128
    .name:           _ZL50rocblas_symv_kernel_upper_double_buffered_diagonalILi32ELi4E24rocblas_internal_val_ptrIdEPKPKdPKPdEvbiT1_lT2_lllSA_lllS9_lT3_llli
    .private_segment_fixed_size: 0
    .sgpr_count:     30
    .sgpr_spill_count: 0
    .symbol:         _ZL50rocblas_symv_kernel_upper_double_buffered_diagonalILi32ELi4E24rocblas_internal_val_ptrIdEPKPKdPKPdEvbiT1_lT2_lllSA_lllS9_lT3_llli.kd
    .uniform_work_group_size: 1
    .uses_dynamic_stack: false
    .vgpr_count:     36
    .vgpr_spill_count: 0
    .wavefront_size: 64
  - .agpr_count:     0
    .args:
      - .offset:         0
        .size:           1
        .value_kind:     by_value
      - .offset:         4
        .size:           4
        .value_kind:     by_value
      - .offset:         8
        .size:           8
        .value_kind:     by_value
      - .offset:         16
        .size:           8
        .value_kind:     by_value
      - .address_space:  global
        .offset:         24
        .size:           8
        .value_kind:     global_buffer
      - .offset:         32
        .size:           8
        .value_kind:     by_value
      - .offset:         40
        .size:           8
        .value_kind:     by_value
      - .offset:         48
        .size:           8
        .value_kind:     by_value
      - .address_space:  global
        .offset:         56
        .size:           8
        .value_kind:     global_buffer
      - .offset:         64
        .size:           8
        .value_kind:     by_value
      - .offset:         72
        .size:           8
        .value_kind:     by_value
      - .offset:         80
        .size:           8
        .value_kind:     by_value
      - .actual_access:  read_only
        .address_space:  global
        .offset:         88
        .size:           8
        .value_kind:     global_buffer
      - .offset:         96
        .size:           8
        .value_kind:     by_value
      - .offset:         104
        .size:           8
        .value_kind:     by_value
      - .offset:         112
        .size:           8
        .value_kind:     by_value
      - .offset:         120
        .size:           4
        .value_kind:     by_value
      - .offset:         128
        .size:           4
        .value_kind:     hidden_block_count_x
      - .offset:         132
        .size:           4
        .value_kind:     hidden_block_count_y
      - .offset:         136
        .size:           4
        .value_kind:     hidden_block_count_z
      - .offset:         140
        .size:           2
        .value_kind:     hidden_group_size_x
      - .offset:         142
        .size:           2
        .value_kind:     hidden_group_size_y
      - .offset:         144
        .size:           2
        .value_kind:     hidden_group_size_z
      - .offset:         146
        .size:           2
        .value_kind:     hidden_remainder_x
      - .offset:         148
        .size:           2
        .value_kind:     hidden_remainder_y
      - .offset:         150
        .size:           2
        .value_kind:     hidden_remainder_z
      - .offset:         168
        .size:           8
        .value_kind:     hidden_global_offset_x
      - .offset:         176
        .size:           8
        .value_kind:     hidden_global_offset_y
      - .offset:         184
        .size:           8
        .value_kind:     hidden_global_offset_z
      - .offset:         192
        .size:           2
        .value_kind:     hidden_grid_dims
    .group_segment_fixed_size: 6400
    .kernarg_segment_align: 8
    .kernarg_segment_size: 384
    .language:       OpenCL C
    .language_version:
      - 2
      - 0
    .max_flat_workgroup_size: 128
    .name:           _ZL54rocblas_symv_kernel_upper_double_buffered_non_diagonalILi32ELi4ELi4E24rocblas_internal_val_ptrIdEPKPKdPKPdEvbiT2_lT3_lllSA_lllT4_llli
    .private_segment_fixed_size: 0
    .sgpr_count:     44
    .sgpr_spill_count: 0
    .symbol:         _ZL54rocblas_symv_kernel_upper_double_buffered_non_diagonalILi32ELi4ELi4E24rocblas_internal_val_ptrIdEPKPKdPKPdEvbiT2_lT3_lllSA_lllT4_llli.kd
    .uniform_work_group_size: 1
    .uses_dynamic_stack: false
    .vgpr_count:     82
    .vgpr_spill_count: 0
    .wavefront_size: 64
  - .agpr_count:     0
    .args:
      - .offset:         0
        .size:           1
        .value_kind:     by_value
      - .offset:         4
        .size:           4
        .value_kind:     by_value
      - .offset:         8
        .size:           8
        .value_kind:     by_value
      - .offset:         16
        .size:           8
        .value_kind:     by_value
      - .address_space:  global
        .offset:         24
        .size:           8
        .value_kind:     global_buffer
      - .offset:         32
        .size:           8
        .value_kind:     by_value
      - .offset:         40
        .size:           8
        .value_kind:     by_value
      - .offset:         48
        .size:           8
        .value_kind:     by_value
      - .address_space:  global
        .offset:         56
        .size:           8
        .value_kind:     global_buffer
      - .offset:         64
        .size:           8
        .value_kind:     by_value
      - .offset:         72
        .size:           8
        .value_kind:     by_value
      - .offset:         80
        .size:           8
        .value_kind:     by_value
      - .offset:         88
        .size:           8
        .value_kind:     by_value
      - .offset:         96
        .size:           8
        .value_kind:     by_value
      - .actual_access:  read_only
        .address_space:  global
        .offset:         104
        .size:           8
        .value_kind:     global_buffer
      - .offset:         112
        .size:           8
        .value_kind:     by_value
      - .offset:         120
        .size:           8
        .value_kind:     by_value
      - .offset:         128
        .size:           8
        .value_kind:     by_value
      - .offset:         136
        .size:           4
        .value_kind:     by_value
      - .offset:         140
        .size:           4
        .value_kind:     by_value
      - .offset:         144
        .size:           4
        .value_kind:     hidden_block_count_x
      - .offset:         148
        .size:           4
        .value_kind:     hidden_block_count_y
      - .offset:         152
        .size:           4
        .value_kind:     hidden_block_count_z
      - .offset:         156
        .size:           2
        .value_kind:     hidden_group_size_x
      - .offset:         158
        .size:           2
        .value_kind:     hidden_group_size_y
      - .offset:         160
        .size:           2
        .value_kind:     hidden_group_size_z
      - .offset:         162
        .size:           2
        .value_kind:     hidden_remainder_x
      - .offset:         164
        .size:           2
        .value_kind:     hidden_remainder_y
      - .offset:         166
        .size:           2
        .value_kind:     hidden_remainder_z
      - .offset:         184
        .size:           8
        .value_kind:     hidden_global_offset_x
      - .offset:         192
        .size:           8
        .value_kind:     hidden_global_offset_y
      - .offset:         200
        .size:           8
        .value_kind:     hidden_global_offset_z
      - .offset:         208
        .size:           2
        .value_kind:     hidden_grid_dims
    .group_segment_fixed_size: 12544
    .kernarg_segment_align: 8
    .kernarg_segment_size: 400
    .language:       OpenCL C
    .language_version:
      - 2
      - 0
    .max_flat_workgroup_size: 256
    .name:           _ZL58rocblas_symv_kernel_upper_double_buffered_diagonal_genericILi32ELi8E24rocblas_internal_val_ptrIdEPKPKdPKPdEvbiT1_lT2_lllSA_lllS9_lT3_lllii
    .private_segment_fixed_size: 0
    .sgpr_count:     30
    .sgpr_spill_count: 0
    .symbol:         _ZL58rocblas_symv_kernel_upper_double_buffered_diagonal_genericILi32ELi8E24rocblas_internal_val_ptrIdEPKPKdPKPdEvbiT1_lT2_lllSA_lllS9_lT3_lllii.kd
    .uniform_work_group_size: 1
    .uses_dynamic_stack: false
    .vgpr_count:     36
    .vgpr_spill_count: 0
    .wavefront_size: 64
  - .agpr_count:     0
    .args:
      - .offset:         0
        .size:           1
        .value_kind:     by_value
      - .offset:         4
        .size:           4
        .value_kind:     by_value
      - .offset:         8
        .size:           8
        .value_kind:     by_value
      - .offset:         16
        .size:           8
        .value_kind:     by_value
      - .address_space:  global
        .offset:         24
        .size:           8
        .value_kind:     global_buffer
      - .offset:         32
        .size:           8
        .value_kind:     by_value
      - .offset:         40
        .size:           8
        .value_kind:     by_value
      - .offset:         48
        .size:           8
        .value_kind:     by_value
      - .address_space:  global
        .offset:         56
        .size:           8
        .value_kind:     global_buffer
      - .offset:         64
        .size:           8
        .value_kind:     by_value
      - .offset:         72
        .size:           8
        .value_kind:     by_value
      - .offset:         80
        .size:           8
        .value_kind:     by_value
      - .actual_access:  read_only
        .address_space:  global
        .offset:         88
        .size:           8
        .value_kind:     global_buffer
      - .offset:         96
        .size:           8
        .value_kind:     by_value
      - .offset:         104
        .size:           8
        .value_kind:     by_value
      - .offset:         112
        .size:           8
        .value_kind:     by_value
      - .offset:         120
        .size:           4
        .value_kind:     by_value
      - .offset:         124
        .size:           4
        .value_kind:     by_value
      - .offset:         128
        .size:           4
        .value_kind:     hidden_block_count_x
      - .offset:         132
        .size:           4
        .value_kind:     hidden_block_count_y
      - .offset:         136
        .size:           4
        .value_kind:     hidden_block_count_z
      - .offset:         140
        .size:           2
        .value_kind:     hidden_group_size_x
      - .offset:         142
        .size:           2
        .value_kind:     hidden_group_size_y
      - .offset:         144
        .size:           2
        .value_kind:     hidden_group_size_z
      - .offset:         146
        .size:           2
        .value_kind:     hidden_remainder_x
      - .offset:         148
        .size:           2
        .value_kind:     hidden_remainder_y
      - .offset:         150
        .size:           2
        .value_kind:     hidden_remainder_z
      - .offset:         168
        .size:           8
        .value_kind:     hidden_global_offset_x
      - .offset:         176
        .size:           8
        .value_kind:     hidden_global_offset_y
      - .offset:         184
        .size:           8
        .value_kind:     hidden_global_offset_z
      - .offset:         192
        .size:           2
        .value_kind:     hidden_grid_dims
    .group_segment_fixed_size: 8448
    .kernarg_segment_align: 8
    .kernarg_segment_size: 384
    .language:       OpenCL C
    .language_version:
      - 2
      - 0
    .max_flat_workgroup_size: 256
    .name:           _ZL62rocblas_symv_kernel_upper_double_buffered_non_diagonal_genericILi32ELi8ELi2ELi0E24rocblas_internal_val_ptrIdEPKPKdPKPdEvbiT3_lT4_lllSA_lllT5_lllii
    .private_segment_fixed_size: 0
    .sgpr_count:     47
    .sgpr_spill_count: 0
    .symbol:         _ZL62rocblas_symv_kernel_upper_double_buffered_non_diagonal_genericILi32ELi8ELi2ELi0E24rocblas_internal_val_ptrIdEPKPKdPKPdEvbiT3_lT4_lllSA_lllT5_lllii.kd
    .uniform_work_group_size: 1
    .uses_dynamic_stack: false
    .vgpr_count:     68
    .vgpr_spill_count: 0
    .wavefront_size: 64
  - .agpr_count:     0
    .args:
      - .offset:         0
        .size:           1
        .value_kind:     by_value
      - .offset:         4
        .size:           4
        .value_kind:     by_value
      - .offset:         8
        .size:           8
        .value_kind:     by_value
      - .offset:         16
        .size:           8
        .value_kind:     by_value
      - .address_space:  global
        .offset:         24
        .size:           8
        .value_kind:     global_buffer
      - .offset:         32
        .size:           8
        .value_kind:     by_value
      - .offset:         40
        .size:           8
        .value_kind:     by_value
      - .offset:         48
        .size:           8
        .value_kind:     by_value
      - .address_space:  global
        .offset:         56
        .size:           8
        .value_kind:     global_buffer
      - .offset:         64
        .size:           8
        .value_kind:     by_value
      - .offset:         72
        .size:           8
        .value_kind:     by_value
      - .offset:         80
        .size:           8
        .value_kind:     by_value
      - .actual_access:  read_only
        .address_space:  global
        .offset:         88
        .size:           8
        .value_kind:     global_buffer
      - .offset:         96
        .size:           8
        .value_kind:     by_value
      - .offset:         104
        .size:           8
        .value_kind:     by_value
      - .offset:         112
        .size:           8
        .value_kind:     by_value
      - .offset:         120
        .size:           4
        .value_kind:     by_value
      - .offset:         124
        .size:           4
        .value_kind:     by_value
      - .offset:         128
        .size:           4
        .value_kind:     hidden_block_count_x
      - .offset:         132
        .size:           4
        .value_kind:     hidden_block_count_y
      - .offset:         136
        .size:           4
        .value_kind:     hidden_block_count_z
      - .offset:         140
        .size:           2
        .value_kind:     hidden_group_size_x
      - .offset:         142
        .size:           2
        .value_kind:     hidden_group_size_y
      - .offset:         144
        .size:           2
        .value_kind:     hidden_group_size_z
      - .offset:         146
        .size:           2
        .value_kind:     hidden_remainder_x
      - .offset:         148
        .size:           2
        .value_kind:     hidden_remainder_y
      - .offset:         150
        .size:           2
        .value_kind:     hidden_remainder_z
      - .offset:         168
        .size:           8
        .value_kind:     hidden_global_offset_x
      - .offset:         176
        .size:           8
        .value_kind:     hidden_global_offset_y
      - .offset:         184
        .size:           8
        .value_kind:     hidden_global_offset_z
      - .offset:         192
        .size:           2
        .value_kind:     hidden_grid_dims
    .group_segment_fixed_size: 8448
    .kernarg_segment_align: 8
    .kernarg_segment_size: 384
    .language:       OpenCL C
    .language_version:
      - 2
      - 0
    .max_flat_workgroup_size: 256
    .name:           _ZL62rocblas_symv_kernel_upper_double_buffered_non_diagonal_genericILi32ELi8ELi2ELi1E24rocblas_internal_val_ptrIdEPKPKdPKPdEvbiT3_lT4_lllSA_lllT5_lllii
    .private_segment_fixed_size: 0
    .sgpr_count:     52
    .sgpr_spill_count: 0
    .symbol:         _ZL62rocblas_symv_kernel_upper_double_buffered_non_diagonal_genericILi32ELi8ELi2ELi1E24rocblas_internal_val_ptrIdEPKPKdPKPdEvbiT3_lT4_lllSA_lllT5_lllii.kd
    .uniform_work_group_size: 1
    .uses_dynamic_stack: false
    .vgpr_count:     61
    .vgpr_spill_count: 0
    .wavefront_size: 64
  - .agpr_count:     0
    .args:
      - .offset:         0
        .size:           4
        .value_kind:     by_value
      - .address_space:  global
        .offset:         8
        .size:           8
        .value_kind:     global_buffer
      - .offset:         16
        .size:           8
        .value_kind:     by_value
      - .address_space:  global
        .offset:         24
        .size:           8
        .value_kind:     global_buffer
      - .offset:         32
        .size:           8
        .value_kind:     by_value
      - .offset:         40
        .size:           8
        .value_kind:     by_value
      - .offset:         48
        .size:           8
        .value_kind:     by_value
      - .address_space:  global
        .offset:         56
        .size:           8
        .value_kind:     global_buffer
      - .offset:         64
        .size:           8
        .value_kind:     by_value
      - .offset:         72
        .size:           8
        .value_kind:     by_value
      - .offset:         80
        .size:           8
        .value_kind:     by_value
      - .address_space:  global
        .offset:         88
        .size:           8
        .value_kind:     global_buffer
      - .offset:         96
        .size:           8
        .value_kind:     by_value
      - .address_space:  global
        .offset:         104
        .size:           8
        .value_kind:     global_buffer
      - .offset:         112
        .size:           4
        .value_kind:     by_value
      - .offset:         120
        .size:           4
        .value_kind:     hidden_block_count_x
      - .offset:         124
        .size:           4
        .value_kind:     hidden_block_count_y
      - .offset:         128
        .size:           4
        .value_kind:     hidden_block_count_z
      - .offset:         132
        .size:           2
        .value_kind:     hidden_group_size_x
      - .offset:         134
        .size:           2
        .value_kind:     hidden_group_size_y
      - .offset:         136
        .size:           2
        .value_kind:     hidden_group_size_z
      - .offset:         138
        .size:           2
        .value_kind:     hidden_remainder_x
      - .offset:         140
        .size:           2
        .value_kind:     hidden_remainder_y
      - .offset:         142
        .size:           2
        .value_kind:     hidden_remainder_z
      - .offset:         160
        .size:           8
        .value_kind:     hidden_global_offset_x
      - .offset:         168
        .size:           8
        .value_kind:     hidden_global_offset_y
      - .offset:         176
        .size:           8
        .value_kind:     hidden_global_offset_z
      - .offset:         184
        .size:           2
        .value_kind:     hidden_grid_dims
    .group_segment_fixed_size: 9600
    .kernarg_segment_align: 8
    .kernarg_segment_size: 376
    .language:       OpenCL C
    .language_version:
      - 2
      - 0
    .max_flat_workgroup_size: 256
    .name:           _ZL26rocblas_hemvn_kernel_upperILb0ELi64ELi4ELi33ELi32ELi16ElPKdPKS1_PdEviT6_lT7_lT5_lS6_lS7_lS5_lT8_i
    .private_segment_fixed_size: 0
    .sgpr_count:     44
    .sgpr_spill_count: 0
    .symbol:         _ZL26rocblas_hemvn_kernel_upperILb0ELi64ELi4ELi33ELi32ELi16ElPKdPKS1_PdEviT6_lT7_lT5_lS6_lS7_lS5_lT8_i.kd
    .uniform_work_group_size: 1
    .uses_dynamic_stack: false
    .vgpr_count:     152
    .vgpr_spill_count: 0
    .wavefront_size: 64
  - .agpr_count:     0
    .args:
      - .offset:         0
        .size:           4
        .value_kind:     by_value
      - .address_space:  global
        .offset:         8
        .size:           8
        .value_kind:     global_buffer
      - .offset:         16
        .size:           8
        .value_kind:     by_value
      - .address_space:  global
        .offset:         24
        .size:           8
        .value_kind:     global_buffer
      - .offset:         32
        .size:           8
        .value_kind:     by_value
      - .actual_access:  read_only
        .address_space:  global
        .offset:         40
        .size:           8
        .value_kind:     global_buffer
      - .offset:         48
        .size:           8
        .value_kind:     by_value
      - .offset:         56
        .size:           8
        .value_kind:     by_value
      - .offset:         64
        .size:           8
        .value_kind:     by_value
      - .address_space:  global
        .offset:         72
        .size:           8
        .value_kind:     global_buffer
      - .offset:         80
        .size:           4
        .value_kind:     by_value
      - .offset:         88
        .size:           4
        .value_kind:     hidden_block_count_x
      - .offset:         92
        .size:           4
        .value_kind:     hidden_block_count_y
      - .offset:         96
        .size:           4
        .value_kind:     hidden_block_count_z
      - .offset:         100
        .size:           2
        .value_kind:     hidden_group_size_x
      - .offset:         102
        .size:           2
        .value_kind:     hidden_group_size_y
      - .offset:         104
        .size:           2
        .value_kind:     hidden_group_size_z
      - .offset:         106
        .size:           2
        .value_kind:     hidden_remainder_x
      - .offset:         108
        .size:           2
        .value_kind:     hidden_remainder_y
      - .offset:         110
        .size:           2
        .value_kind:     hidden_remainder_z
      - .offset:         128
        .size:           8
        .value_kind:     hidden_global_offset_x
      - .offset:         136
        .size:           8
        .value_kind:     hidden_global_offset_y
      - .offset:         144
        .size:           8
        .value_kind:     hidden_global_offset_z
      - .offset:         152
        .size:           2
        .value_kind:     hidden_grid_dims
    .group_segment_fixed_size: 0
    .kernarg_segment_align: 8
    .kernarg_segment_size: 344
    .language:       OpenCL C
    .language_version:
      - 2
      - 0
    .max_flat_workgroup_size: 64
    .name:           _ZL36rocblas_hemvn_kernel_upper_block_sumILi64ElPKdPKPddEviT1_lS5_lT2_lT0_lPT3_i
    .private_segment_fixed_size: 0
    .sgpr_count:     30
    .sgpr_spill_count: 0
    .symbol:         _ZL36rocblas_hemvn_kernel_upper_block_sumILi64ElPKdPKPddEviT1_lS5_lT2_lT0_lPT3_i.kd
    .uniform_work_group_size: 1
    .uses_dynamic_stack: false
    .vgpr_count:     9
    .vgpr_spill_count: 0
    .wavefront_size: 64
  - .agpr_count:     0
    .args:
      - .offset:         0
        .size:           4
        .value_kind:     by_value
      - .address_space:  global
        .offset:         8
        .size:           8
        .value_kind:     global_buffer
      - .offset:         16
        .size:           8
        .value_kind:     by_value
      - .address_space:  global
        .offset:         24
        .size:           8
        .value_kind:     global_buffer
      - .offset:         32
        .size:           8
        .value_kind:     by_value
      - .offset:         40
        .size:           4
        .value_kind:     by_value
      - .offset:         48
        .size:           8
        .value_kind:     by_value
      - .address_space:  global
        .offset:         56
        .size:           8
        .value_kind:     global_buffer
      - .offset:         64
        .size:           8
        .value_kind:     by_value
      - .offset:         72
        .size:           4
        .value_kind:     by_value
      - .offset:         80
        .size:           8
        .value_kind:     by_value
      - .address_space:  global
        .offset:         88
        .size:           8
        .value_kind:     global_buffer
      - .offset:         96
        .size:           8
        .value_kind:     by_value
      - .address_space:  global
        .offset:         104
        .size:           8
        .value_kind:     global_buffer
      - .offset:         112
        .size:           4
        .value_kind:     by_value
      - .offset:         120
        .size:           4
        .value_kind:     hidden_block_count_x
      - .offset:         124
        .size:           4
        .value_kind:     hidden_block_count_y
      - .offset:         128
        .size:           4
        .value_kind:     hidden_block_count_z
      - .offset:         132
        .size:           2
        .value_kind:     hidden_group_size_x
      - .offset:         134
        .size:           2
        .value_kind:     hidden_group_size_y
      - .offset:         136
        .size:           2
        .value_kind:     hidden_group_size_z
      - .offset:         138
        .size:           2
        .value_kind:     hidden_remainder_x
      - .offset:         140
        .size:           2
        .value_kind:     hidden_remainder_y
      - .offset:         142
        .size:           2
        .value_kind:     hidden_remainder_z
      - .offset:         160
        .size:           8
        .value_kind:     hidden_global_offset_x
      - .offset:         168
        .size:           8
        .value_kind:     hidden_global_offset_y
      - .offset:         176
        .size:           8
        .value_kind:     hidden_global_offset_z
      - .offset:         184
        .size:           2
        .value_kind:     hidden_grid_dims
    .group_segment_fixed_size: 9600
    .kernarg_segment_align: 8
    .kernarg_segment_size: 376
    .language:       OpenCL C
    .language_version:
      - 2
      - 0
    .max_flat_workgroup_size: 256
    .name:           _ZL26rocblas_hemvn_kernel_upperILb0ELi64ELi4ELi33ELi32ELi16EiPKdPKS1_PdEviT6_lT7_lT5_lS6_lS7_lS5_lT8_i
    .private_segment_fixed_size: 0
    .sgpr_count:     51
    .sgpr_spill_count: 0
    .symbol:         _ZL26rocblas_hemvn_kernel_upperILb0ELi64ELi4ELi33ELi32ELi16EiPKdPKS1_PdEviT6_lT7_lT5_lS6_lS7_lS5_lT8_i.kd
    .uniform_work_group_size: 1
    .uses_dynamic_stack: false
    .vgpr_count:     170
    .vgpr_spill_count: 0
    .wavefront_size: 64
  - .agpr_count:     0
    .args:
      - .offset:         0
        .size:           4
        .value_kind:     by_value
      - .address_space:  global
        .offset:         8
        .size:           8
        .value_kind:     global_buffer
      - .offset:         16
        .size:           8
        .value_kind:     by_value
      - .address_space:  global
        .offset:         24
        .size:           8
        .value_kind:     global_buffer
      - .offset:         32
        .size:           8
        .value_kind:     by_value
      - .actual_access:  read_only
        .address_space:  global
        .offset:         40
        .size:           8
        .value_kind:     global_buffer
      - .offset:         48
        .size:           8
        .value_kind:     by_value
      - .offset:         56
        .size:           4
        .value_kind:     by_value
      - .offset:         64
        .size:           8
        .value_kind:     by_value
      - .address_space:  global
        .offset:         72
        .size:           8
        .value_kind:     global_buffer
      - .offset:         80
        .size:           4
        .value_kind:     by_value
      - .offset:         88
        .size:           4
        .value_kind:     hidden_block_count_x
      - .offset:         92
        .size:           4
        .value_kind:     hidden_block_count_y
      - .offset:         96
        .size:           4
        .value_kind:     hidden_block_count_z
      - .offset:         100
        .size:           2
        .value_kind:     hidden_group_size_x
      - .offset:         102
        .size:           2
        .value_kind:     hidden_group_size_y
      - .offset:         104
        .size:           2
        .value_kind:     hidden_group_size_z
      - .offset:         106
        .size:           2
        .value_kind:     hidden_remainder_x
      - .offset:         108
        .size:           2
        .value_kind:     hidden_remainder_y
      - .offset:         110
        .size:           2
        .value_kind:     hidden_remainder_z
      - .offset:         128
        .size:           8
        .value_kind:     hidden_global_offset_x
      - .offset:         136
        .size:           8
        .value_kind:     hidden_global_offset_y
      - .offset:         144
        .size:           8
        .value_kind:     hidden_global_offset_z
      - .offset:         152
        .size:           2
        .value_kind:     hidden_grid_dims
    .group_segment_fixed_size: 0
    .kernarg_segment_align: 8
    .kernarg_segment_size: 344
    .language:       OpenCL C
    .language_version:
      - 2
      - 0
    .max_flat_workgroup_size: 64
    .name:           _ZL36rocblas_hemvn_kernel_upper_block_sumILi64EiPKdPKPddEviT1_lS5_lT2_lT0_lPT3_i
    .private_segment_fixed_size: 0
    .sgpr_count:     30
    .sgpr_spill_count: 0
    .symbol:         _ZL36rocblas_hemvn_kernel_upper_block_sumILi64EiPKdPKPddEviT1_lS5_lT2_lT0_lPT3_i.kd
    .uniform_work_group_size: 1
    .uses_dynamic_stack: false
    .vgpr_count:     8
    .vgpr_spill_count: 0
    .wavefront_size: 64
  - .agpr_count:     0
    .args:
      - .offset:         0
        .size:           4
        .value_kind:     by_value
      - .offset:         8
        .size:           8
        .value_kind:     by_value
      - .offset:         16
        .size:           8
        .value_kind:     by_value
      - .address_space:  global
        .offset:         24
        .size:           8
        .value_kind:     global_buffer
      - .offset:         32
        .size:           8
        .value_kind:     by_value
      - .offset:         40
        .size:           8
        .value_kind:     by_value
      - .offset:         48
        .size:           8
        .value_kind:     by_value
      - .address_space:  global
        .offset:         56
        .size:           8
        .value_kind:     global_buffer
      - .offset:         64
        .size:           8
        .value_kind:     by_value
      - .offset:         72
        .size:           8
        .value_kind:     by_value
      - .offset:         80
        .size:           8
        .value_kind:     by_value
      - .offset:         88
        .size:           8
        .value_kind:     by_value
      - .offset:         96
        .size:           8
        .value_kind:     by_value
      - .address_space:  global
        .offset:         104
        .size:           8
        .value_kind:     global_buffer
      - .offset:         112
        .size:           4
        .value_kind:     by_value
      - .offset:         120
        .size:           4
        .value_kind:     hidden_block_count_x
      - .offset:         124
        .size:           4
        .value_kind:     hidden_block_count_y
      - .offset:         128
        .size:           4
        .value_kind:     hidden_block_count_z
      - .offset:         132
        .size:           2
        .value_kind:     hidden_group_size_x
      - .offset:         134
        .size:           2
        .value_kind:     hidden_group_size_y
      - .offset:         136
        .size:           2
        .value_kind:     hidden_group_size_z
      - .offset:         138
        .size:           2
        .value_kind:     hidden_remainder_x
      - .offset:         140
        .size:           2
        .value_kind:     hidden_remainder_y
      - .offset:         142
        .size:           2
        .value_kind:     hidden_remainder_z
      - .offset:         160
        .size:           8
        .value_kind:     hidden_global_offset_x
      - .offset:         168
        .size:           8
        .value_kind:     hidden_global_offset_y
      - .offset:         176
        .size:           8
        .value_kind:     hidden_global_offset_z
      - .offset:         184
        .size:           2
        .value_kind:     hidden_grid_dims
    .group_segment_fixed_size: 9600
    .kernarg_segment_align: 8
    .kernarg_segment_size: 376
    .language:       OpenCL C
    .language_version:
      - 2
      - 0
    .max_flat_workgroup_size: 256
    .name:           _ZL26rocblas_hemvn_kernel_upperILb0ELi64ELi4ELi33ELi32ELi16EldPKPKdPdEviT6_lT7_lT5_lS6_lS7_lS5_lT8_i
    .private_segment_fixed_size: 0
    .sgpr_count:     44
    .sgpr_spill_count: 0
    .symbol:         _ZL26rocblas_hemvn_kernel_upperILb0ELi64ELi4ELi33ELi32ELi16EldPKPKdPdEviT6_lT7_lT5_lS6_lS7_lS5_lT8_i.kd
    .uniform_work_group_size: 1
    .uses_dynamic_stack: false
    .vgpr_count:     152
    .vgpr_spill_count: 0
    .wavefront_size: 64
  - .agpr_count:     0
    .args:
      - .offset:         0
        .size:           4
        .value_kind:     by_value
      - .offset:         8
        .size:           8
        .value_kind:     by_value
      - .offset:         16
        .size:           8
        .value_kind:     by_value
      - .offset:         24
        .size:           8
        .value_kind:     by_value
      - .offset:         32
        .size:           8
        .value_kind:     by_value
      - .actual_access:  read_only
        .address_space:  global
        .offset:         40
        .size:           8
        .value_kind:     global_buffer
      - .offset:         48
        .size:           8
        .value_kind:     by_value
      - .offset:         56
        .size:           8
        .value_kind:     by_value
      - .offset:         64
        .size:           8
        .value_kind:     by_value
      - .address_space:  global
        .offset:         72
        .size:           8
        .value_kind:     global_buffer
      - .offset:         80
        .size:           4
        .value_kind:     by_value
      - .offset:         88
        .size:           4
        .value_kind:     hidden_block_count_x
      - .offset:         92
        .size:           4
        .value_kind:     hidden_block_count_y
      - .offset:         96
        .size:           4
        .value_kind:     hidden_block_count_z
      - .offset:         100
        .size:           2
        .value_kind:     hidden_group_size_x
      - .offset:         102
        .size:           2
        .value_kind:     hidden_group_size_y
      - .offset:         104
        .size:           2
        .value_kind:     hidden_group_size_z
      - .offset:         106
        .size:           2
        .value_kind:     hidden_remainder_x
      - .offset:         108
        .size:           2
        .value_kind:     hidden_remainder_y
      - .offset:         110
        .size:           2
        .value_kind:     hidden_remainder_z
      - .offset:         128
        .size:           8
        .value_kind:     hidden_global_offset_x
      - .offset:         136
        .size:           8
        .value_kind:     hidden_global_offset_y
      - .offset:         144
        .size:           8
        .value_kind:     hidden_global_offset_z
      - .offset:         152
        .size:           2
        .value_kind:     hidden_grid_dims
    .group_segment_fixed_size: 0
    .kernarg_segment_align: 8
    .kernarg_segment_size: 344
    .language:       OpenCL C
    .language_version:
      - 2
      - 0
    .max_flat_workgroup_size: 64
    .name:           _ZL36rocblas_hemvn_kernel_upper_block_sumILi64EldPKPddEviT1_lS3_lT2_lT0_lPT3_i
    .private_segment_fixed_size: 0
    .sgpr_count:     30
    .sgpr_spill_count: 0
    .symbol:         _ZL36rocblas_hemvn_kernel_upper_block_sumILi64EldPKPddEviT1_lS3_lT2_lT0_lPT3_i.kd
    .uniform_work_group_size: 1
    .uses_dynamic_stack: false
    .vgpr_count:     9
    .vgpr_spill_count: 0
    .wavefront_size: 64
  - .agpr_count:     0
    .args:
      - .offset:         0
        .size:           4
        .value_kind:     by_value
      - .offset:         8
        .size:           8
        .value_kind:     by_value
      - .offset:         16
        .size:           8
        .value_kind:     by_value
      - .address_space:  global
        .offset:         24
        .size:           8
        .value_kind:     global_buffer
      - .offset:         32
        .size:           8
        .value_kind:     by_value
      - .offset:         40
        .size:           4
        .value_kind:     by_value
      - .offset:         48
        .size:           8
        .value_kind:     by_value
      - .address_space:  global
        .offset:         56
        .size:           8
        .value_kind:     global_buffer
      - .offset:         64
        .size:           8
        .value_kind:     by_value
      - .offset:         72
        .size:           4
        .value_kind:     by_value
      - .offset:         80
        .size:           8
        .value_kind:     by_value
      - .offset:         88
        .size:           8
        .value_kind:     by_value
      - .offset:         96
        .size:           8
        .value_kind:     by_value
      - .address_space:  global
        .offset:         104
        .size:           8
        .value_kind:     global_buffer
      - .offset:         112
        .size:           4
        .value_kind:     by_value
      - .offset:         120
        .size:           4
        .value_kind:     hidden_block_count_x
      - .offset:         124
        .size:           4
        .value_kind:     hidden_block_count_y
      - .offset:         128
        .size:           4
        .value_kind:     hidden_block_count_z
      - .offset:         132
        .size:           2
        .value_kind:     hidden_group_size_x
      - .offset:         134
        .size:           2
        .value_kind:     hidden_group_size_y
      - .offset:         136
        .size:           2
        .value_kind:     hidden_group_size_z
      - .offset:         138
        .size:           2
        .value_kind:     hidden_remainder_x
      - .offset:         140
        .size:           2
        .value_kind:     hidden_remainder_y
      - .offset:         142
        .size:           2
        .value_kind:     hidden_remainder_z
      - .offset:         160
        .size:           8
        .value_kind:     hidden_global_offset_x
      - .offset:         168
        .size:           8
        .value_kind:     hidden_global_offset_y
      - .offset:         176
        .size:           8
        .value_kind:     hidden_global_offset_z
      - .offset:         184
        .size:           2
        .value_kind:     hidden_grid_dims
    .group_segment_fixed_size: 9600
    .kernarg_segment_align: 8
    .kernarg_segment_size: 376
    .language:       OpenCL C
    .language_version:
      - 2
      - 0
    .max_flat_workgroup_size: 256
    .name:           _ZL26rocblas_hemvn_kernel_upperILb0ELi64ELi4ELi33ELi32ELi16EidPKPKdPdEviT6_lT7_lT5_lS6_lS7_lS5_lT8_i
    .private_segment_fixed_size: 0
    .sgpr_count:     51
    .sgpr_spill_count: 0
    .symbol:         _ZL26rocblas_hemvn_kernel_upperILb0ELi64ELi4ELi33ELi32ELi16EidPKPKdPdEviT6_lT7_lT5_lS6_lS7_lS5_lT8_i.kd
    .uniform_work_group_size: 1
    .uses_dynamic_stack: false
    .vgpr_count:     170
    .vgpr_spill_count: 0
    .wavefront_size: 64
  - .agpr_count:     0
    .args:
      - .offset:         0
        .size:           4
        .value_kind:     by_value
      - .offset:         8
        .size:           8
        .value_kind:     by_value
      - .offset:         16
        .size:           8
        .value_kind:     by_value
      - .offset:         24
        .size:           8
        .value_kind:     by_value
      - .offset:         32
        .size:           8
        .value_kind:     by_value
      - .actual_access:  read_only
        .address_space:  global
        .offset:         40
        .size:           8
        .value_kind:     global_buffer
      - .offset:         48
        .size:           8
        .value_kind:     by_value
      - .offset:         56
        .size:           4
        .value_kind:     by_value
      - .offset:         64
        .size:           8
        .value_kind:     by_value
      - .address_space:  global
        .offset:         72
        .size:           8
        .value_kind:     global_buffer
      - .offset:         80
        .size:           4
        .value_kind:     by_value
      - .offset:         88
        .size:           4
        .value_kind:     hidden_block_count_x
      - .offset:         92
        .size:           4
        .value_kind:     hidden_block_count_y
      - .offset:         96
        .size:           4
        .value_kind:     hidden_block_count_z
      - .offset:         100
        .size:           2
        .value_kind:     hidden_group_size_x
      - .offset:         102
        .size:           2
        .value_kind:     hidden_group_size_y
      - .offset:         104
        .size:           2
        .value_kind:     hidden_group_size_z
      - .offset:         106
        .size:           2
        .value_kind:     hidden_remainder_x
      - .offset:         108
        .size:           2
        .value_kind:     hidden_remainder_y
      - .offset:         110
        .size:           2
        .value_kind:     hidden_remainder_z
      - .offset:         128
        .size:           8
        .value_kind:     hidden_global_offset_x
      - .offset:         136
        .size:           8
        .value_kind:     hidden_global_offset_y
      - .offset:         144
        .size:           8
        .value_kind:     hidden_global_offset_z
      - .offset:         152
        .size:           2
        .value_kind:     hidden_grid_dims
    .group_segment_fixed_size: 0
    .kernarg_segment_align: 8
    .kernarg_segment_size: 344
    .language:       OpenCL C
    .language_version:
      - 2
      - 0
    .max_flat_workgroup_size: 64
    .name:           _ZL36rocblas_hemvn_kernel_upper_block_sumILi64EidPKPddEviT1_lS3_lT2_lT0_lPT3_i
    .private_segment_fixed_size: 0
    .sgpr_count:     28
    .sgpr_spill_count: 0
    .symbol:         _ZL36rocblas_hemvn_kernel_upper_block_sumILi64EidPKPddEviT1_lS3_lT2_lT0_lPT3_i.kd
    .uniform_work_group_size: 1
    .uses_dynamic_stack: false
    .vgpr_count:     8
    .vgpr_spill_count: 0
    .wavefront_size: 64
  - .agpr_count:     0
    .args:
      - .offset:         0
        .size:           1
        .value_kind:     by_value
      - .offset:         4
        .size:           4
        .value_kind:     by_value
      - .offset:         8
        .size:           8
        .value_kind:     by_value
      - .offset:         16
        .size:           8
        .value_kind:     by_value
      - .address_space:  global
        .offset:         24
        .size:           8
        .value_kind:     global_buffer
      - .offset:         32
        .size:           8
        .value_kind:     by_value
      - .offset:         40
        .size:           8
        .value_kind:     by_value
      - .offset:         48
        .size:           8
        .value_kind:     by_value
      - .address_space:  global
        .offset:         56
        .size:           8
        .value_kind:     global_buffer
      - .offset:         64
        .size:           8
        .value_kind:     by_value
      - .offset:         72
        .size:           8
        .value_kind:     by_value
      - .offset:         80
        .size:           8
        .value_kind:     by_value
      - .offset:         88
        .size:           8
        .value_kind:     by_value
      - .offset:         96
        .size:           8
        .value_kind:     by_value
      - .actual_access:  read_only
        .address_space:  global
        .offset:         104
        .size:           8
        .value_kind:     global_buffer
      - .offset:         112
        .size:           8
        .value_kind:     by_value
      - .offset:         120
        .size:           8
        .value_kind:     by_value
      - .offset:         128
        .size:           8
        .value_kind:     by_value
      - .offset:         136
        .size:           4
        .value_kind:     by_value
    .group_segment_fixed_size: 10496
    .kernarg_segment_align: 8
    .kernarg_segment_size: 140
    .language:       OpenCL C
    .language_version:
      - 2
      - 0
    .max_flat_workgroup_size: 128
    .name:           _ZL50rocblas_symv_kernel_lower_double_buffered_diagonalILi32ELi4E24rocblas_internal_val_ptrIdEPKPKdPKPdEvbiT1_lT2_lllSA_lllS9_lT3_llli
    .private_segment_fixed_size: 0
    .sgpr_count:     30
    .sgpr_spill_count: 0
    .symbol:         _ZL50rocblas_symv_kernel_lower_double_buffered_diagonalILi32ELi4E24rocblas_internal_val_ptrIdEPKPKdPKPdEvbiT1_lT2_lllSA_lllS9_lT3_llli.kd
    .uniform_work_group_size: 1
    .uses_dynamic_stack: false
    .vgpr_count:     36
    .vgpr_spill_count: 0
    .wavefront_size: 64
  - .agpr_count:     0
    .args:
      - .offset:         0
        .size:           1
        .value_kind:     by_value
      - .offset:         4
        .size:           4
        .value_kind:     by_value
      - .offset:         8
        .size:           8
        .value_kind:     by_value
      - .offset:         16
        .size:           8
        .value_kind:     by_value
      - .address_space:  global
        .offset:         24
        .size:           8
        .value_kind:     global_buffer
      - .offset:         32
        .size:           8
        .value_kind:     by_value
      - .offset:         40
        .size:           8
        .value_kind:     by_value
      - .offset:         48
        .size:           8
        .value_kind:     by_value
      - .address_space:  global
        .offset:         56
        .size:           8
        .value_kind:     global_buffer
      - .offset:         64
        .size:           8
        .value_kind:     by_value
      - .offset:         72
        .size:           8
        .value_kind:     by_value
      - .offset:         80
        .size:           8
        .value_kind:     by_value
      - .actual_access:  read_only
        .address_space:  global
        .offset:         88
        .size:           8
        .value_kind:     global_buffer
      - .offset:         96
        .size:           8
        .value_kind:     by_value
      - .offset:         104
        .size:           8
        .value_kind:     by_value
      - .offset:         112
        .size:           8
        .value_kind:     by_value
      - .offset:         120
        .size:           4
        .value_kind:     by_value
      - .offset:         128
        .size:           4
        .value_kind:     hidden_block_count_x
      - .offset:         132
        .size:           4
        .value_kind:     hidden_block_count_y
      - .offset:         136
        .size:           4
        .value_kind:     hidden_block_count_z
      - .offset:         140
        .size:           2
        .value_kind:     hidden_group_size_x
      - .offset:         142
        .size:           2
        .value_kind:     hidden_group_size_y
      - .offset:         144
        .size:           2
        .value_kind:     hidden_group_size_z
      - .offset:         146
        .size:           2
        .value_kind:     hidden_remainder_x
      - .offset:         148
        .size:           2
        .value_kind:     hidden_remainder_y
      - .offset:         150
        .size:           2
        .value_kind:     hidden_remainder_z
      - .offset:         168
        .size:           8
        .value_kind:     hidden_global_offset_x
      - .offset:         176
        .size:           8
        .value_kind:     hidden_global_offset_y
      - .offset:         184
        .size:           8
        .value_kind:     hidden_global_offset_z
      - .offset:         192
        .size:           2
        .value_kind:     hidden_grid_dims
    .group_segment_fixed_size: 6400
    .kernarg_segment_align: 8
    .kernarg_segment_size: 384
    .language:       OpenCL C
    .language_version:
      - 2
      - 0
    .max_flat_workgroup_size: 128
    .name:           _ZL54rocblas_symv_kernel_lower_double_buffered_non_diagonalILi32ELi4ELi4E24rocblas_internal_val_ptrIdEPKPKdPKPdEvbiT2_lT3_lllSA_lllT4_llli
    .private_segment_fixed_size: 0
    .sgpr_count:     38
    .sgpr_spill_count: 0
    .symbol:         _ZL54rocblas_symv_kernel_lower_double_buffered_non_diagonalILi32ELi4ELi4E24rocblas_internal_val_ptrIdEPKPKdPKPdEvbiT2_lT3_lllSA_lllT4_llli.kd
    .uniform_work_group_size: 1
    .uses_dynamic_stack: false
    .vgpr_count:     80
    .vgpr_spill_count: 0
    .wavefront_size: 64
  - .agpr_count:     0
    .args:
      - .offset:         0
        .size:           1
        .value_kind:     by_value
      - .offset:         4
        .size:           4
        .value_kind:     by_value
      - .offset:         8
        .size:           8
        .value_kind:     by_value
      - .offset:         16
        .size:           8
        .value_kind:     by_value
      - .address_space:  global
        .offset:         24
        .size:           8
        .value_kind:     global_buffer
      - .offset:         32
        .size:           8
        .value_kind:     by_value
      - .offset:         40
        .size:           8
        .value_kind:     by_value
      - .offset:         48
        .size:           8
        .value_kind:     by_value
      - .address_space:  global
        .offset:         56
        .size:           8
        .value_kind:     global_buffer
      - .offset:         64
        .size:           8
        .value_kind:     by_value
      - .offset:         72
        .size:           8
        .value_kind:     by_value
      - .offset:         80
        .size:           8
        .value_kind:     by_value
      - .offset:         88
        .size:           8
        .value_kind:     by_value
      - .offset:         96
        .size:           8
        .value_kind:     by_value
      - .actual_access:  read_only
        .address_space:  global
        .offset:         104
        .size:           8
        .value_kind:     global_buffer
      - .offset:         112
        .size:           8
        .value_kind:     by_value
      - .offset:         120
        .size:           8
        .value_kind:     by_value
      - .offset:         128
        .size:           8
        .value_kind:     by_value
      - .offset:         136
        .size:           4
        .value_kind:     by_value
      - .offset:         140
        .size:           4
        .value_kind:     by_value
      - .offset:         144
        .size:           4
        .value_kind:     hidden_block_count_x
      - .offset:         148
        .size:           4
        .value_kind:     hidden_block_count_y
      - .offset:         152
        .size:           4
        .value_kind:     hidden_block_count_z
      - .offset:         156
        .size:           2
        .value_kind:     hidden_group_size_x
      - .offset:         158
        .size:           2
        .value_kind:     hidden_group_size_y
      - .offset:         160
        .size:           2
        .value_kind:     hidden_group_size_z
      - .offset:         162
        .size:           2
        .value_kind:     hidden_remainder_x
      - .offset:         164
        .size:           2
        .value_kind:     hidden_remainder_y
      - .offset:         166
        .size:           2
        .value_kind:     hidden_remainder_z
      - .offset:         184
        .size:           8
        .value_kind:     hidden_global_offset_x
      - .offset:         192
        .size:           8
        .value_kind:     hidden_global_offset_y
      - .offset:         200
        .size:           8
        .value_kind:     hidden_global_offset_z
      - .offset:         208
        .size:           2
        .value_kind:     hidden_grid_dims
    .group_segment_fixed_size: 10496
    .kernarg_segment_align: 8
    .kernarg_segment_size: 400
    .language:       OpenCL C
    .language_version:
      - 2
      - 0
    .max_flat_workgroup_size: 128
    .name:           _ZL58rocblas_symv_kernel_lower_double_buffered_diagonal_genericILi32ELi4E24rocblas_internal_val_ptrIdEPKPKdPKPdEvbiT1_lT2_lllSA_lllS9_lT3_lllii
    .private_segment_fixed_size: 0
    .sgpr_count:     30
    .sgpr_spill_count: 0
    .symbol:         _ZL58rocblas_symv_kernel_lower_double_buffered_diagonal_genericILi32ELi4E24rocblas_internal_val_ptrIdEPKPKdPKPdEvbiT1_lT2_lllSA_lllS9_lT3_lllii.kd
    .uniform_work_group_size: 1
    .uses_dynamic_stack: false
    .vgpr_count:     46
    .vgpr_spill_count: 0
    .wavefront_size: 64
  - .agpr_count:     0
    .args:
      - .offset:         0
        .size:           1
        .value_kind:     by_value
      - .offset:         4
        .size:           4
        .value_kind:     by_value
      - .offset:         8
        .size:           8
        .value_kind:     by_value
      - .offset:         16
        .size:           8
        .value_kind:     by_value
      - .address_space:  global
        .offset:         24
        .size:           8
        .value_kind:     global_buffer
      - .offset:         32
        .size:           8
        .value_kind:     by_value
      - .offset:         40
        .size:           8
        .value_kind:     by_value
      - .offset:         48
        .size:           8
        .value_kind:     by_value
      - .address_space:  global
        .offset:         56
        .size:           8
        .value_kind:     global_buffer
      - .offset:         64
        .size:           8
        .value_kind:     by_value
      - .offset:         72
        .size:           8
        .value_kind:     by_value
      - .offset:         80
        .size:           8
        .value_kind:     by_value
      - .actual_access:  read_only
        .address_space:  global
        .offset:         88
        .size:           8
        .value_kind:     global_buffer
      - .offset:         96
        .size:           8
        .value_kind:     by_value
      - .offset:         104
        .size:           8
        .value_kind:     by_value
      - .offset:         112
        .size:           8
        .value_kind:     by_value
      - .offset:         120
        .size:           4
        .value_kind:     by_value
      - .offset:         124
        .size:           4
        .value_kind:     by_value
      - .offset:         128
        .size:           4
        .value_kind:     hidden_block_count_x
      - .offset:         132
        .size:           4
        .value_kind:     hidden_block_count_y
      - .offset:         136
        .size:           4
        .value_kind:     hidden_block_count_z
      - .offset:         140
        .size:           2
        .value_kind:     hidden_group_size_x
      - .offset:         142
        .size:           2
        .value_kind:     hidden_group_size_y
      - .offset:         144
        .size:           2
        .value_kind:     hidden_group_size_z
      - .offset:         146
        .size:           2
        .value_kind:     hidden_remainder_x
      - .offset:         148
        .size:           2
        .value_kind:     hidden_remainder_y
      - .offset:         150
        .size:           2
        .value_kind:     hidden_remainder_z
      - .offset:         168
        .size:           8
        .value_kind:     hidden_global_offset_x
      - .offset:         176
        .size:           8
        .value_kind:     hidden_global_offset_y
      - .offset:         184
        .size:           8
        .value_kind:     hidden_global_offset_z
      - .offset:         192
        .size:           2
        .value_kind:     hidden_grid_dims
    .group_segment_fixed_size: 6400
    .kernarg_segment_align: 8
    .kernarg_segment_size: 384
    .language:       OpenCL C
    .language_version:
      - 2
      - 0
    .max_flat_workgroup_size: 128
    .name:           _ZL62rocblas_symv_kernel_lower_double_buffered_non_diagonal_genericILi32ELi4ELi4E24rocblas_internal_val_ptrIdEPKPKdPKPdEvbiT2_lT3_lllSA_lllT4_lllii
    .private_segment_fixed_size: 0
    .sgpr_count:     44
    .sgpr_spill_count: 0
    .symbol:         _ZL62rocblas_symv_kernel_lower_double_buffered_non_diagonal_genericILi32ELi4ELi4E24rocblas_internal_val_ptrIdEPKPKdPKPdEvbiT2_lT3_lllSA_lllT4_lllii.kd
    .uniform_work_group_size: 1
    .uses_dynamic_stack: false
    .vgpr_count:     92
    .vgpr_spill_count: 0
    .wavefront_size: 64
  - .agpr_count:     0
    .args:
      - .offset:         0
        .size:           4
        .value_kind:     by_value
      - .address_space:  global
        .offset:         8
        .size:           8
        .value_kind:     global_buffer
      - .offset:         16
        .size:           8
        .value_kind:     by_value
      - .address_space:  global
        .offset:         24
        .size:           8
        .value_kind:     global_buffer
      - .offset:         32
        .size:           8
        .value_kind:     by_value
      - .offset:         40
        .size:           8
        .value_kind:     by_value
      - .offset:         48
        .size:           8
        .value_kind:     by_value
      - .address_space:  global
        .offset:         56
        .size:           8
        .value_kind:     global_buffer
      - .offset:         64
        .size:           8
        .value_kind:     by_value
      - .offset:         72
        .size:           8
        .value_kind:     by_value
      - .offset:         80
        .size:           8
        .value_kind:     by_value
      - .address_space:  global
        .offset:         88
        .size:           8
        .value_kind:     global_buffer
      - .offset:         96
        .size:           8
        .value_kind:     by_value
      - .address_space:  global
        .offset:         104
        .size:           8
        .value_kind:     global_buffer
      - .offset:         112
        .size:           4
        .value_kind:     by_value
      - .offset:         120
        .size:           4
        .value_kind:     hidden_block_count_x
      - .offset:         124
        .size:           4
        .value_kind:     hidden_block_count_y
      - .offset:         128
        .size:           4
        .value_kind:     hidden_block_count_z
      - .offset:         132
        .size:           2
        .value_kind:     hidden_group_size_x
      - .offset:         134
        .size:           2
        .value_kind:     hidden_group_size_y
      - .offset:         136
        .size:           2
        .value_kind:     hidden_group_size_z
      - .offset:         138
        .size:           2
        .value_kind:     hidden_remainder_x
      - .offset:         140
        .size:           2
        .value_kind:     hidden_remainder_y
      - .offset:         142
        .size:           2
        .value_kind:     hidden_remainder_z
      - .offset:         160
        .size:           8
        .value_kind:     hidden_global_offset_x
      - .offset:         168
        .size:           8
        .value_kind:     hidden_global_offset_y
      - .offset:         176
        .size:           8
        .value_kind:     hidden_global_offset_z
      - .offset:         184
        .size:           2
        .value_kind:     hidden_grid_dims
    .group_segment_fixed_size: 9600
    .kernarg_segment_align: 8
    .kernarg_segment_size: 376
    .language:       OpenCL C
    .language_version:
      - 2
      - 0
    .max_flat_workgroup_size: 256
    .name:           _ZL26rocblas_hemvn_kernel_lowerILb0ELi64ELi4ELi33ELi32ELi16ElPKdPKS1_PdEviT6_lT7_lT5_lS6_lS7_lS5_lT8_i
    .private_segment_fixed_size: 0
    .sgpr_count:     56
    .sgpr_spill_count: 0
    .symbol:         _ZL26rocblas_hemvn_kernel_lowerILb0ELi64ELi4ELi33ELi32ELi16ElPKdPKS1_PdEviT6_lT7_lT5_lS6_lS7_lS5_lT8_i.kd
    .uniform_work_group_size: 1
    .uses_dynamic_stack: false
    .vgpr_count:     110
    .vgpr_spill_count: 0
    .wavefront_size: 64
  - .agpr_count:     0
    .args:
      - .offset:         0
        .size:           4
        .value_kind:     by_value
      - .address_space:  global
        .offset:         8
        .size:           8
        .value_kind:     global_buffer
      - .offset:         16
        .size:           8
        .value_kind:     by_value
      - .address_space:  global
        .offset:         24
        .size:           8
        .value_kind:     global_buffer
      - .offset:         32
        .size:           8
        .value_kind:     by_value
      - .actual_access:  read_only
        .address_space:  global
        .offset:         40
        .size:           8
        .value_kind:     global_buffer
      - .offset:         48
        .size:           8
        .value_kind:     by_value
      - .offset:         56
        .size:           8
        .value_kind:     by_value
      - .offset:         64
        .size:           8
        .value_kind:     by_value
      - .actual_access:  read_only
        .address_space:  global
        .offset:         72
        .size:           8
        .value_kind:     global_buffer
      - .offset:         80
        .size:           4
        .value_kind:     by_value
      - .offset:         88
        .size:           4
        .value_kind:     hidden_block_count_x
      - .offset:         92
        .size:           4
        .value_kind:     hidden_block_count_y
      - .offset:         96
        .size:           4
        .value_kind:     hidden_block_count_z
      - .offset:         100
        .size:           2
        .value_kind:     hidden_group_size_x
      - .offset:         102
        .size:           2
        .value_kind:     hidden_group_size_y
      - .offset:         104
        .size:           2
        .value_kind:     hidden_group_size_z
      - .offset:         106
        .size:           2
        .value_kind:     hidden_remainder_x
      - .offset:         108
        .size:           2
        .value_kind:     hidden_remainder_y
      - .offset:         110
        .size:           2
        .value_kind:     hidden_remainder_z
      - .offset:         128
        .size:           8
        .value_kind:     hidden_global_offset_x
      - .offset:         136
        .size:           8
        .value_kind:     hidden_global_offset_y
      - .offset:         144
        .size:           8
        .value_kind:     hidden_global_offset_z
      - .offset:         152
        .size:           2
        .value_kind:     hidden_grid_dims
    .group_segment_fixed_size: 0
    .kernarg_segment_align: 8
    .kernarg_segment_size: 344
    .language:       OpenCL C
    .language_version:
      - 2
      - 0
    .max_flat_workgroup_size: 64
    .name:           _ZL36rocblas_hemvn_kernel_lower_block_sumILi64ElPKdPKPddEviT1_lS5_lT2_lT0_lPT3_i
    .private_segment_fixed_size: 0
    .sgpr_count:     30
    .sgpr_spill_count: 0
    .symbol:         _ZL36rocblas_hemvn_kernel_lower_block_sumILi64ElPKdPKPddEviT1_lS5_lT2_lT0_lPT3_i.kd
    .uniform_work_group_size: 1
    .uses_dynamic_stack: false
    .vgpr_count:     9
    .vgpr_spill_count: 0
    .wavefront_size: 64
  - .agpr_count:     0
    .args:
      - .offset:         0
        .size:           4
        .value_kind:     by_value
      - .address_space:  global
        .offset:         8
        .size:           8
        .value_kind:     global_buffer
      - .offset:         16
        .size:           8
        .value_kind:     by_value
      - .address_space:  global
        .offset:         24
        .size:           8
        .value_kind:     global_buffer
      - .offset:         32
        .size:           8
        .value_kind:     by_value
      - .offset:         40
        .size:           4
        .value_kind:     by_value
      - .offset:         48
        .size:           8
        .value_kind:     by_value
      - .address_space:  global
        .offset:         56
        .size:           8
        .value_kind:     global_buffer
      - .offset:         64
        .size:           8
        .value_kind:     by_value
      - .offset:         72
        .size:           4
        .value_kind:     by_value
      - .offset:         80
        .size:           8
        .value_kind:     by_value
      - .address_space:  global
        .offset:         88
        .size:           8
        .value_kind:     global_buffer
      - .offset:         96
        .size:           8
        .value_kind:     by_value
      - .address_space:  global
        .offset:         104
        .size:           8
        .value_kind:     global_buffer
      - .offset:         112
        .size:           4
        .value_kind:     by_value
      - .offset:         120
        .size:           4
        .value_kind:     hidden_block_count_x
      - .offset:         124
        .size:           4
        .value_kind:     hidden_block_count_y
      - .offset:         128
        .size:           4
        .value_kind:     hidden_block_count_z
      - .offset:         132
        .size:           2
        .value_kind:     hidden_group_size_x
      - .offset:         134
        .size:           2
        .value_kind:     hidden_group_size_y
      - .offset:         136
        .size:           2
        .value_kind:     hidden_group_size_z
      - .offset:         138
        .size:           2
        .value_kind:     hidden_remainder_x
      - .offset:         140
        .size:           2
        .value_kind:     hidden_remainder_y
      - .offset:         142
        .size:           2
        .value_kind:     hidden_remainder_z
      - .offset:         160
        .size:           8
        .value_kind:     hidden_global_offset_x
      - .offset:         168
        .size:           8
        .value_kind:     hidden_global_offset_y
      - .offset:         176
        .size:           8
        .value_kind:     hidden_global_offset_z
      - .offset:         184
        .size:           2
        .value_kind:     hidden_grid_dims
    .group_segment_fixed_size: 9600
    .kernarg_segment_align: 8
    .kernarg_segment_size: 376
    .language:       OpenCL C
    .language_version:
      - 2
      - 0
    .max_flat_workgroup_size: 256
    .name:           _ZL26rocblas_hemvn_kernel_lowerILb0ELi64ELi4ELi33ELi32ELi16EiPKdPKS1_PdEviT6_lT7_lT5_lS6_lS7_lS5_lT8_i
    .private_segment_fixed_size: 0
    .sgpr_count:     54
    .sgpr_spill_count: 0
    .symbol:         _ZL26rocblas_hemvn_kernel_lowerILb0ELi64ELi4ELi33ELi32ELi16EiPKdPKS1_PdEviT6_lT7_lT5_lS6_lS7_lS5_lT8_i.kd
    .uniform_work_group_size: 1
    .uses_dynamic_stack: false
    .vgpr_count:     108
    .vgpr_spill_count: 0
    .wavefront_size: 64
  - .agpr_count:     0
    .args:
      - .offset:         0
        .size:           4
        .value_kind:     by_value
      - .address_space:  global
        .offset:         8
        .size:           8
        .value_kind:     global_buffer
      - .offset:         16
        .size:           8
        .value_kind:     by_value
      - .address_space:  global
        .offset:         24
        .size:           8
        .value_kind:     global_buffer
      - .offset:         32
        .size:           8
        .value_kind:     by_value
      - .actual_access:  read_only
        .address_space:  global
        .offset:         40
        .size:           8
        .value_kind:     global_buffer
      - .offset:         48
        .size:           8
        .value_kind:     by_value
      - .offset:         56
        .size:           4
        .value_kind:     by_value
      - .offset:         64
        .size:           8
        .value_kind:     by_value
      - .actual_access:  read_only
        .address_space:  global
        .offset:         72
        .size:           8
        .value_kind:     global_buffer
      - .offset:         80
        .size:           4
        .value_kind:     by_value
      - .offset:         88
        .size:           4
        .value_kind:     hidden_block_count_x
      - .offset:         92
        .size:           4
        .value_kind:     hidden_block_count_y
      - .offset:         96
        .size:           4
        .value_kind:     hidden_block_count_z
      - .offset:         100
        .size:           2
        .value_kind:     hidden_group_size_x
      - .offset:         102
        .size:           2
        .value_kind:     hidden_group_size_y
      - .offset:         104
        .size:           2
        .value_kind:     hidden_group_size_z
      - .offset:         106
        .size:           2
        .value_kind:     hidden_remainder_x
      - .offset:         108
        .size:           2
        .value_kind:     hidden_remainder_y
      - .offset:         110
        .size:           2
        .value_kind:     hidden_remainder_z
      - .offset:         128
        .size:           8
        .value_kind:     hidden_global_offset_x
      - .offset:         136
        .size:           8
        .value_kind:     hidden_global_offset_y
      - .offset:         144
        .size:           8
        .value_kind:     hidden_global_offset_z
      - .offset:         152
        .size:           2
        .value_kind:     hidden_grid_dims
    .group_segment_fixed_size: 0
    .kernarg_segment_align: 8
    .kernarg_segment_size: 344
    .language:       OpenCL C
    .language_version:
      - 2
      - 0
    .max_flat_workgroup_size: 64
    .name:           _ZL36rocblas_hemvn_kernel_lower_block_sumILi64EiPKdPKPddEviT1_lS5_lT2_lT0_lPT3_i
    .private_segment_fixed_size: 0
    .sgpr_count:     30
    .sgpr_spill_count: 0
    .symbol:         _ZL36rocblas_hemvn_kernel_lower_block_sumILi64EiPKdPKPddEviT1_lS5_lT2_lT0_lPT3_i.kd
    .uniform_work_group_size: 1
    .uses_dynamic_stack: false
    .vgpr_count:     7
    .vgpr_spill_count: 0
    .wavefront_size: 64
  - .agpr_count:     0
    .args:
      - .offset:         0
        .size:           4
        .value_kind:     by_value
      - .offset:         8
        .size:           8
        .value_kind:     by_value
      - .offset:         16
        .size:           8
        .value_kind:     by_value
      - .address_space:  global
        .offset:         24
        .size:           8
        .value_kind:     global_buffer
      - .offset:         32
        .size:           8
        .value_kind:     by_value
      - .offset:         40
        .size:           8
        .value_kind:     by_value
      - .offset:         48
        .size:           8
        .value_kind:     by_value
      - .address_space:  global
        .offset:         56
        .size:           8
        .value_kind:     global_buffer
      - .offset:         64
        .size:           8
        .value_kind:     by_value
      - .offset:         72
        .size:           8
        .value_kind:     by_value
      - .offset:         80
        .size:           8
        .value_kind:     by_value
      - .offset:         88
        .size:           8
        .value_kind:     by_value
      - .offset:         96
        .size:           8
        .value_kind:     by_value
      - .address_space:  global
        .offset:         104
        .size:           8
        .value_kind:     global_buffer
      - .offset:         112
        .size:           4
        .value_kind:     by_value
      - .offset:         120
        .size:           4
        .value_kind:     hidden_block_count_x
      - .offset:         124
        .size:           4
        .value_kind:     hidden_block_count_y
      - .offset:         128
        .size:           4
        .value_kind:     hidden_block_count_z
      - .offset:         132
        .size:           2
        .value_kind:     hidden_group_size_x
      - .offset:         134
        .size:           2
        .value_kind:     hidden_group_size_y
      - .offset:         136
        .size:           2
        .value_kind:     hidden_group_size_z
      - .offset:         138
        .size:           2
        .value_kind:     hidden_remainder_x
      - .offset:         140
        .size:           2
        .value_kind:     hidden_remainder_y
      - .offset:         142
        .size:           2
        .value_kind:     hidden_remainder_z
      - .offset:         160
        .size:           8
        .value_kind:     hidden_global_offset_x
      - .offset:         168
        .size:           8
        .value_kind:     hidden_global_offset_y
      - .offset:         176
        .size:           8
        .value_kind:     hidden_global_offset_z
      - .offset:         184
        .size:           2
        .value_kind:     hidden_grid_dims
    .group_segment_fixed_size: 9600
    .kernarg_segment_align: 8
    .kernarg_segment_size: 376
    .language:       OpenCL C
    .language_version:
      - 2
      - 0
    .max_flat_workgroup_size: 256
    .name:           _ZL26rocblas_hemvn_kernel_lowerILb0ELi64ELi4ELi33ELi32ELi16EldPKPKdPdEviT6_lT7_lT5_lS6_lS7_lS5_lT8_i
    .private_segment_fixed_size: 0
    .sgpr_count:     56
    .sgpr_spill_count: 0
    .symbol:         _ZL26rocblas_hemvn_kernel_lowerILb0ELi64ELi4ELi33ELi32ELi16EldPKPKdPdEviT6_lT7_lT5_lS6_lS7_lS5_lT8_i.kd
    .uniform_work_group_size: 1
    .uses_dynamic_stack: false
    .vgpr_count:     110
    .vgpr_spill_count: 0
    .wavefront_size: 64
  - .agpr_count:     0
    .args:
      - .offset:         0
        .size:           4
        .value_kind:     by_value
      - .offset:         8
        .size:           8
        .value_kind:     by_value
      - .offset:         16
        .size:           8
        .value_kind:     by_value
      - .offset:         24
        .size:           8
        .value_kind:     by_value
      - .offset:         32
        .size:           8
        .value_kind:     by_value
      - .actual_access:  read_only
        .address_space:  global
        .offset:         40
        .size:           8
        .value_kind:     global_buffer
      - .offset:         48
        .size:           8
        .value_kind:     by_value
      - .offset:         56
        .size:           8
        .value_kind:     by_value
      - .offset:         64
        .size:           8
        .value_kind:     by_value
      - .actual_access:  read_only
        .address_space:  global
        .offset:         72
        .size:           8
        .value_kind:     global_buffer
      - .offset:         80
        .size:           4
        .value_kind:     by_value
      - .offset:         88
        .size:           4
        .value_kind:     hidden_block_count_x
      - .offset:         92
        .size:           4
        .value_kind:     hidden_block_count_y
      - .offset:         96
        .size:           4
        .value_kind:     hidden_block_count_z
      - .offset:         100
        .size:           2
        .value_kind:     hidden_group_size_x
      - .offset:         102
        .size:           2
        .value_kind:     hidden_group_size_y
      - .offset:         104
        .size:           2
        .value_kind:     hidden_group_size_z
      - .offset:         106
        .size:           2
        .value_kind:     hidden_remainder_x
      - .offset:         108
        .size:           2
        .value_kind:     hidden_remainder_y
      - .offset:         110
        .size:           2
        .value_kind:     hidden_remainder_z
      - .offset:         128
        .size:           8
        .value_kind:     hidden_global_offset_x
      - .offset:         136
        .size:           8
        .value_kind:     hidden_global_offset_y
      - .offset:         144
        .size:           8
        .value_kind:     hidden_global_offset_z
      - .offset:         152
        .size:           2
        .value_kind:     hidden_grid_dims
    .group_segment_fixed_size: 0
    .kernarg_segment_align: 8
    .kernarg_segment_size: 344
    .language:       OpenCL C
    .language_version:
      - 2
      - 0
    .max_flat_workgroup_size: 64
    .name:           _ZL36rocblas_hemvn_kernel_lower_block_sumILi64EldPKPddEviT1_lS3_lT2_lT0_lPT3_i
    .private_segment_fixed_size: 0
    .sgpr_count:     30
    .sgpr_spill_count: 0
    .symbol:         _ZL36rocblas_hemvn_kernel_lower_block_sumILi64EldPKPddEviT1_lS3_lT2_lT0_lPT3_i.kd
    .uniform_work_group_size: 1
    .uses_dynamic_stack: false
    .vgpr_count:     9
    .vgpr_spill_count: 0
    .wavefront_size: 64
  - .agpr_count:     0
    .args:
      - .offset:         0
        .size:           4
        .value_kind:     by_value
      - .offset:         8
        .size:           8
        .value_kind:     by_value
      - .offset:         16
        .size:           8
        .value_kind:     by_value
      - .address_space:  global
        .offset:         24
        .size:           8
        .value_kind:     global_buffer
      - .offset:         32
        .size:           8
        .value_kind:     by_value
      - .offset:         40
        .size:           4
        .value_kind:     by_value
      - .offset:         48
        .size:           8
        .value_kind:     by_value
      - .address_space:  global
        .offset:         56
        .size:           8
        .value_kind:     global_buffer
      - .offset:         64
        .size:           8
        .value_kind:     by_value
      - .offset:         72
        .size:           4
        .value_kind:     by_value
      - .offset:         80
        .size:           8
        .value_kind:     by_value
      - .offset:         88
        .size:           8
        .value_kind:     by_value
      - .offset:         96
        .size:           8
        .value_kind:     by_value
      - .address_space:  global
        .offset:         104
        .size:           8
        .value_kind:     global_buffer
      - .offset:         112
        .size:           4
        .value_kind:     by_value
      - .offset:         120
        .size:           4
        .value_kind:     hidden_block_count_x
      - .offset:         124
        .size:           4
        .value_kind:     hidden_block_count_y
      - .offset:         128
        .size:           4
        .value_kind:     hidden_block_count_z
      - .offset:         132
        .size:           2
        .value_kind:     hidden_group_size_x
      - .offset:         134
        .size:           2
        .value_kind:     hidden_group_size_y
      - .offset:         136
        .size:           2
        .value_kind:     hidden_group_size_z
      - .offset:         138
        .size:           2
        .value_kind:     hidden_remainder_x
      - .offset:         140
        .size:           2
        .value_kind:     hidden_remainder_y
      - .offset:         142
        .size:           2
        .value_kind:     hidden_remainder_z
      - .offset:         160
        .size:           8
        .value_kind:     hidden_global_offset_x
      - .offset:         168
        .size:           8
        .value_kind:     hidden_global_offset_y
      - .offset:         176
        .size:           8
        .value_kind:     hidden_global_offset_z
      - .offset:         184
        .size:           2
        .value_kind:     hidden_grid_dims
    .group_segment_fixed_size: 9600
    .kernarg_segment_align: 8
    .kernarg_segment_size: 376
    .language:       OpenCL C
    .language_version:
      - 2
      - 0
    .max_flat_workgroup_size: 256
    .name:           _ZL26rocblas_hemvn_kernel_lowerILb0ELi64ELi4ELi33ELi32ELi16EidPKPKdPdEviT6_lT7_lT5_lS6_lS7_lS5_lT8_i
    .private_segment_fixed_size: 0
    .sgpr_count:     54
    .sgpr_spill_count: 0
    .symbol:         _ZL26rocblas_hemvn_kernel_lowerILb0ELi64ELi4ELi33ELi32ELi16EidPKPKdPdEviT6_lT7_lT5_lS6_lS7_lS5_lT8_i.kd
    .uniform_work_group_size: 1
    .uses_dynamic_stack: false
    .vgpr_count:     108
    .vgpr_spill_count: 0
    .wavefront_size: 64
  - .agpr_count:     0
    .args:
      - .offset:         0
        .size:           4
        .value_kind:     by_value
      - .offset:         8
        .size:           8
        .value_kind:     by_value
      - .offset:         16
        .size:           8
        .value_kind:     by_value
      - .offset:         24
        .size:           8
        .value_kind:     by_value
      - .offset:         32
        .size:           8
        .value_kind:     by_value
      - .actual_access:  read_only
        .address_space:  global
        .offset:         40
        .size:           8
        .value_kind:     global_buffer
      - .offset:         48
        .size:           8
        .value_kind:     by_value
      - .offset:         56
        .size:           4
        .value_kind:     by_value
      - .offset:         64
        .size:           8
        .value_kind:     by_value
      - .actual_access:  read_only
        .address_space:  global
        .offset:         72
        .size:           8
        .value_kind:     global_buffer
      - .offset:         80
        .size:           4
        .value_kind:     by_value
      - .offset:         88
        .size:           4
        .value_kind:     hidden_block_count_x
      - .offset:         92
        .size:           4
        .value_kind:     hidden_block_count_y
      - .offset:         96
        .size:           4
        .value_kind:     hidden_block_count_z
      - .offset:         100
        .size:           2
        .value_kind:     hidden_group_size_x
      - .offset:         102
        .size:           2
        .value_kind:     hidden_group_size_y
      - .offset:         104
        .size:           2
        .value_kind:     hidden_group_size_z
      - .offset:         106
        .size:           2
        .value_kind:     hidden_remainder_x
      - .offset:         108
        .size:           2
        .value_kind:     hidden_remainder_y
      - .offset:         110
        .size:           2
        .value_kind:     hidden_remainder_z
      - .offset:         128
        .size:           8
        .value_kind:     hidden_global_offset_x
      - .offset:         136
        .size:           8
        .value_kind:     hidden_global_offset_y
      - .offset:         144
        .size:           8
        .value_kind:     hidden_global_offset_z
      - .offset:         152
        .size:           2
        .value_kind:     hidden_grid_dims
    .group_segment_fixed_size: 0
    .kernarg_segment_align: 8
    .kernarg_segment_size: 344
    .language:       OpenCL C
    .language_version:
      - 2
      - 0
    .max_flat_workgroup_size: 64
    .name:           _ZL36rocblas_hemvn_kernel_lower_block_sumILi64EidPKPddEviT1_lS3_lT2_lT0_lPT3_i
    .private_segment_fixed_size: 0
    .sgpr_count:     28
    .sgpr_spill_count: 0
    .symbol:         _ZL36rocblas_hemvn_kernel_lower_block_sumILi64EidPKPddEviT1_lS3_lT2_lT0_lPT3_i.kd
    .uniform_work_group_size: 1
    .uses_dynamic_stack: false
    .vgpr_count:     7
    .vgpr_spill_count: 0
    .wavefront_size: 64
  - .agpr_count:     0
    .args:
      - .offset:         0
        .size:           4
        .value_kind:     by_value
      - .address_space:  global
        .offset:         8
        .size:           8
        .value_kind:     global_buffer
      - .offset:         16
        .size:           8
        .value_kind:     by_value
      - .address_space:  global
        .offset:         24
        .size:           8
        .value_kind:     global_buffer
      - .offset:         32
        .size:           8
        .value_kind:     by_value
      - .offset:         40
        .size:           8
        .value_kind:     by_value
      - .offset:         48
        .size:           8
        .value_kind:     by_value
      - .address_space:  global
        .offset:         56
        .size:           8
        .value_kind:     global_buffer
      - .offset:         64
        .size:           8
        .value_kind:     by_value
      - .offset:         72
        .size:           8
        .value_kind:     by_value
      - .offset:         80
        .size:           8
        .value_kind:     by_value
      - .address_space:  global
        .offset:         88
        .size:           8
        .value_kind:     global_buffer
      - .offset:         96
        .size:           8
        .value_kind:     by_value
      - .address_space:  global
        .offset:         104
        .size:           8
        .value_kind:     global_buffer
      - .offset:         112
        .size:           4
        .value_kind:     by_value
      - .offset:         120
        .size:           4
        .value_kind:     hidden_block_count_x
      - .offset:         124
        .size:           4
        .value_kind:     hidden_block_count_y
      - .offset:         128
        .size:           4
        .value_kind:     hidden_block_count_z
      - .offset:         132
        .size:           2
        .value_kind:     hidden_group_size_x
      - .offset:         134
        .size:           2
        .value_kind:     hidden_group_size_y
      - .offset:         136
        .size:           2
        .value_kind:     hidden_group_size_z
      - .offset:         138
        .size:           2
        .value_kind:     hidden_remainder_x
      - .offset:         140
        .size:           2
        .value_kind:     hidden_remainder_y
      - .offset:         142
        .size:           2
        .value_kind:     hidden_remainder_z
      - .offset:         160
        .size:           8
        .value_kind:     hidden_global_offset_x
      - .offset:         168
        .size:           8
        .value_kind:     hidden_global_offset_y
      - .offset:         176
        .size:           8
        .value_kind:     hidden_global_offset_z
      - .offset:         184
        .size:           2
        .value_kind:     hidden_grid_dims
    .group_segment_fixed_size: 9600
    .kernarg_segment_align: 8
    .kernarg_segment_size: 376
    .language:       OpenCL C
    .language_version:
      - 2
      - 0
    .max_flat_workgroup_size: 256
    .name:           _ZL26rocblas_hemvn_kernel_upperILb0ELi64ELi4ELi33ELi32ELi16ElPK19rocblas_complex_numIfEPKS3_PS1_EviT6_lT7_lT5_lS8_lS9_lS7_lT8_i
    .private_segment_fixed_size: 0
    .sgpr_count:     44
    .sgpr_spill_count: 0
    .symbol:         _ZL26rocblas_hemvn_kernel_upperILb0ELi64ELi4ELi33ELi32ELi16ElPK19rocblas_complex_numIfEPKS3_PS1_EviT6_lT7_lT5_lS8_lS9_lS7_lT8_i.kd
    .uniform_work_group_size: 1
    .uses_dynamic_stack: false
    .vgpr_count:     150
    .vgpr_spill_count: 0
    .wavefront_size: 64
  - .agpr_count:     0
    .args:
      - .offset:         0
        .size:           4
        .value_kind:     by_value
      - .address_space:  global
        .offset:         8
        .size:           8
        .value_kind:     global_buffer
      - .offset:         16
        .size:           8
        .value_kind:     by_value
      - .address_space:  global
        .offset:         24
        .size:           8
        .value_kind:     global_buffer
      - .offset:         32
        .size:           8
        .value_kind:     by_value
      - .offset:         40
        .size:           4
        .value_kind:     by_value
      - .offset:         48
        .size:           8
        .value_kind:     by_value
      - .address_space:  global
        .offset:         56
        .size:           8
        .value_kind:     global_buffer
      - .offset:         64
        .size:           8
        .value_kind:     by_value
      - .offset:         72
        .size:           4
        .value_kind:     by_value
      - .offset:         80
        .size:           8
        .value_kind:     by_value
      - .address_space:  global
        .offset:         88
        .size:           8
        .value_kind:     global_buffer
      - .offset:         96
        .size:           8
        .value_kind:     by_value
      - .address_space:  global
        .offset:         104
        .size:           8
        .value_kind:     global_buffer
      - .offset:         112
        .size:           4
        .value_kind:     by_value
      - .offset:         120
        .size:           4
        .value_kind:     hidden_block_count_x
      - .offset:         124
        .size:           4
        .value_kind:     hidden_block_count_y
      - .offset:         128
        .size:           4
        .value_kind:     hidden_block_count_z
      - .offset:         132
        .size:           2
        .value_kind:     hidden_group_size_x
      - .offset:         134
        .size:           2
        .value_kind:     hidden_group_size_y
      - .offset:         136
        .size:           2
        .value_kind:     hidden_group_size_z
      - .offset:         138
        .size:           2
        .value_kind:     hidden_remainder_x
      - .offset:         140
        .size:           2
        .value_kind:     hidden_remainder_y
      - .offset:         142
        .size:           2
        .value_kind:     hidden_remainder_z
      - .offset:         160
        .size:           8
        .value_kind:     hidden_global_offset_x
      - .offset:         168
        .size:           8
        .value_kind:     hidden_global_offset_y
      - .offset:         176
        .size:           8
        .value_kind:     hidden_global_offset_z
      - .offset:         184
        .size:           2
        .value_kind:     hidden_grid_dims
    .group_segment_fixed_size: 9600
    .kernarg_segment_align: 8
    .kernarg_segment_size: 376
    .language:       OpenCL C
    .language_version:
      - 2
      - 0
    .max_flat_workgroup_size: 256
    .name:           _ZL26rocblas_hemvn_kernel_upperILb0ELi64ELi4ELi33ELi32ELi16EiPK19rocblas_complex_numIfEPKS3_PS1_EviT6_lT7_lT5_lS8_lS9_lS7_lT8_i
    .private_segment_fixed_size: 0
    .sgpr_count:     50
    .sgpr_spill_count: 0
    .symbol:         _ZL26rocblas_hemvn_kernel_upperILb0ELi64ELi4ELi33ELi32ELi16EiPK19rocblas_complex_numIfEPKS3_PS1_EviT6_lT7_lT5_lS8_lS9_lS7_lT8_i.kd
    .uniform_work_group_size: 1
    .uses_dynamic_stack: false
    .vgpr_count:     160
    .vgpr_spill_count: 0
    .wavefront_size: 64
  - .agpr_count:     0
    .args:
      - .offset:         0
        .size:           4
        .value_kind:     by_value
      - .offset:         4
        .size:           8
        .value_kind:     by_value
      - .offset:         16
        .size:           8
        .value_kind:     by_value
      - .address_space:  global
        .offset:         24
        .size:           8
        .value_kind:     global_buffer
      - .offset:         32
        .size:           8
        .value_kind:     by_value
      - .offset:         40
        .size:           8
        .value_kind:     by_value
      - .offset:         48
        .size:           8
        .value_kind:     by_value
      - .address_space:  global
        .offset:         56
        .size:           8
        .value_kind:     global_buffer
      - .offset:         64
        .size:           8
        .value_kind:     by_value
      - .offset:         72
        .size:           8
        .value_kind:     by_value
      - .offset:         80
        .size:           8
        .value_kind:     by_value
      - .offset:         88
        .size:           8
        .value_kind:     by_value
      - .offset:         96
        .size:           8
        .value_kind:     by_value
      - .address_space:  global
        .offset:         104
        .size:           8
        .value_kind:     global_buffer
      - .offset:         112
        .size:           4
        .value_kind:     by_value
      - .offset:         120
        .size:           4
        .value_kind:     hidden_block_count_x
      - .offset:         124
        .size:           4
        .value_kind:     hidden_block_count_y
      - .offset:         128
        .size:           4
        .value_kind:     hidden_block_count_z
      - .offset:         132
        .size:           2
        .value_kind:     hidden_group_size_x
      - .offset:         134
        .size:           2
        .value_kind:     hidden_group_size_y
      - .offset:         136
        .size:           2
        .value_kind:     hidden_group_size_z
      - .offset:         138
        .size:           2
        .value_kind:     hidden_remainder_x
      - .offset:         140
        .size:           2
        .value_kind:     hidden_remainder_y
      - .offset:         142
        .size:           2
        .value_kind:     hidden_remainder_z
      - .offset:         160
        .size:           8
        .value_kind:     hidden_global_offset_x
      - .offset:         168
        .size:           8
        .value_kind:     hidden_global_offset_y
      - .offset:         176
        .size:           8
        .value_kind:     hidden_global_offset_z
      - .offset:         184
        .size:           2
        .value_kind:     hidden_grid_dims
    .group_segment_fixed_size: 9600
    .kernarg_segment_align: 8
    .kernarg_segment_size: 376
    .language:       OpenCL C
    .language_version:
      - 2
      - 0
    .max_flat_workgroup_size: 256
    .name:           _ZL26rocblas_hemvn_kernel_upperILb0ELi64ELi4ELi33ELi32ELi16El19rocblas_complex_numIfEPKPKS1_PS1_EviT6_lT7_lT5_lS8_lS9_lS7_lT8_i
    .private_segment_fixed_size: 0
    .sgpr_count:     44
    .sgpr_spill_count: 0
    .symbol:         _ZL26rocblas_hemvn_kernel_upperILb0ELi64ELi4ELi33ELi32ELi16El19rocblas_complex_numIfEPKPKS1_PS1_EviT6_lT7_lT5_lS8_lS9_lS7_lT8_i.kd
    .uniform_work_group_size: 1
    .uses_dynamic_stack: false
    .vgpr_count:     150
    .vgpr_spill_count: 0
    .wavefront_size: 64
  - .agpr_count:     0
    .args:
      - .offset:         0
        .size:           4
        .value_kind:     by_value
      - .offset:         4
        .size:           8
        .value_kind:     by_value
      - .offset:         16
        .size:           8
        .value_kind:     by_value
      - .address_space:  global
        .offset:         24
        .size:           8
        .value_kind:     global_buffer
      - .offset:         32
        .size:           8
        .value_kind:     by_value
      - .offset:         40
        .size:           4
        .value_kind:     by_value
      - .offset:         48
        .size:           8
        .value_kind:     by_value
      - .address_space:  global
        .offset:         56
        .size:           8
        .value_kind:     global_buffer
      - .offset:         64
        .size:           8
        .value_kind:     by_value
      - .offset:         72
        .size:           4
        .value_kind:     by_value
      - .offset:         80
        .size:           8
        .value_kind:     by_value
      - .offset:         88
        .size:           8
        .value_kind:     by_value
      - .offset:         96
        .size:           8
        .value_kind:     by_value
      - .address_space:  global
        .offset:         104
        .size:           8
        .value_kind:     global_buffer
      - .offset:         112
        .size:           4
        .value_kind:     by_value
      - .offset:         120
        .size:           4
        .value_kind:     hidden_block_count_x
      - .offset:         124
        .size:           4
        .value_kind:     hidden_block_count_y
      - .offset:         128
        .size:           4
        .value_kind:     hidden_block_count_z
      - .offset:         132
        .size:           2
        .value_kind:     hidden_group_size_x
      - .offset:         134
        .size:           2
        .value_kind:     hidden_group_size_y
      - .offset:         136
        .size:           2
        .value_kind:     hidden_group_size_z
      - .offset:         138
        .size:           2
        .value_kind:     hidden_remainder_x
      - .offset:         140
        .size:           2
        .value_kind:     hidden_remainder_y
      - .offset:         142
        .size:           2
        .value_kind:     hidden_remainder_z
      - .offset:         160
        .size:           8
        .value_kind:     hidden_global_offset_x
      - .offset:         168
        .size:           8
        .value_kind:     hidden_global_offset_y
      - .offset:         176
        .size:           8
        .value_kind:     hidden_global_offset_z
      - .offset:         184
        .size:           2
        .value_kind:     hidden_grid_dims
    .group_segment_fixed_size: 9600
    .kernarg_segment_align: 8
    .kernarg_segment_size: 376
    .language:       OpenCL C
    .language_version:
      - 2
      - 0
    .max_flat_workgroup_size: 256
    .name:           _ZL26rocblas_hemvn_kernel_upperILb0ELi64ELi4ELi33ELi32ELi16Ei19rocblas_complex_numIfEPKPKS1_PS1_EviT6_lT7_lT5_lS8_lS9_lS7_lT8_i
    .private_segment_fixed_size: 0
    .sgpr_count:     50
    .sgpr_spill_count: 0
    .symbol:         _ZL26rocblas_hemvn_kernel_upperILb0ELi64ELi4ELi33ELi32ELi16Ei19rocblas_complex_numIfEPKPKS1_PS1_EviT6_lT7_lT5_lS8_lS9_lS7_lT8_i.kd
    .uniform_work_group_size: 1
    .uses_dynamic_stack: false
    .vgpr_count:     160
    .vgpr_spill_count: 0
    .wavefront_size: 64
  - .agpr_count:     0
    .args:
      - .offset:         0
        .size:           4
        .value_kind:     by_value
      - .address_space:  global
        .offset:         8
        .size:           8
        .value_kind:     global_buffer
      - .offset:         16
        .size:           8
        .value_kind:     by_value
      - .address_space:  global
        .offset:         24
        .size:           8
        .value_kind:     global_buffer
      - .offset:         32
        .size:           8
        .value_kind:     by_value
      - .offset:         40
        .size:           8
        .value_kind:     by_value
      - .offset:         48
        .size:           8
        .value_kind:     by_value
      - .address_space:  global
        .offset:         56
        .size:           8
        .value_kind:     global_buffer
      - .offset:         64
        .size:           8
        .value_kind:     by_value
      - .offset:         72
        .size:           8
        .value_kind:     by_value
      - .offset:         80
        .size:           8
        .value_kind:     by_value
      - .address_space:  global
        .offset:         88
        .size:           8
        .value_kind:     global_buffer
      - .offset:         96
        .size:           8
        .value_kind:     by_value
      - .address_space:  global
        .offset:         104
        .size:           8
        .value_kind:     global_buffer
      - .offset:         112
        .size:           4
        .value_kind:     by_value
      - .offset:         120
        .size:           4
        .value_kind:     hidden_block_count_x
      - .offset:         124
        .size:           4
        .value_kind:     hidden_block_count_y
      - .offset:         128
        .size:           4
        .value_kind:     hidden_block_count_z
      - .offset:         132
        .size:           2
        .value_kind:     hidden_group_size_x
      - .offset:         134
        .size:           2
        .value_kind:     hidden_group_size_y
      - .offset:         136
        .size:           2
        .value_kind:     hidden_group_size_z
      - .offset:         138
        .size:           2
        .value_kind:     hidden_remainder_x
      - .offset:         140
        .size:           2
        .value_kind:     hidden_remainder_y
      - .offset:         142
        .size:           2
        .value_kind:     hidden_remainder_z
      - .offset:         160
        .size:           8
        .value_kind:     hidden_global_offset_x
      - .offset:         168
        .size:           8
        .value_kind:     hidden_global_offset_y
      - .offset:         176
        .size:           8
        .value_kind:     hidden_global_offset_z
      - .offset:         184
        .size:           2
        .value_kind:     hidden_grid_dims
    .group_segment_fixed_size: 9600
    .kernarg_segment_align: 8
    .kernarg_segment_size: 376
    .language:       OpenCL C
    .language_version:
      - 2
      - 0
    .max_flat_workgroup_size: 256
    .name:           _ZL26rocblas_hemvn_kernel_lowerILb0ELi64ELi4ELi33ELi32ELi16ElPK19rocblas_complex_numIfEPKS3_PS1_EviT6_lT7_lT5_lS8_lS9_lS7_lT8_i
    .private_segment_fixed_size: 0
    .sgpr_count:     56
    .sgpr_spill_count: 0
    .symbol:         _ZL26rocblas_hemvn_kernel_lowerILb0ELi64ELi4ELi33ELi32ELi16ElPK19rocblas_complex_numIfEPKS3_PS1_EviT6_lT7_lT5_lS8_lS9_lS7_lT8_i.kd
    .uniform_work_group_size: 1
    .uses_dynamic_stack: false
    .vgpr_count:     106
    .vgpr_spill_count: 0
    .wavefront_size: 64
  - .agpr_count:     0
    .args:
      - .offset:         0
        .size:           4
        .value_kind:     by_value
      - .address_space:  global
        .offset:         8
        .size:           8
        .value_kind:     global_buffer
      - .offset:         16
        .size:           8
        .value_kind:     by_value
      - .address_space:  global
        .offset:         24
        .size:           8
        .value_kind:     global_buffer
      - .offset:         32
        .size:           8
        .value_kind:     by_value
      - .offset:         40
        .size:           4
        .value_kind:     by_value
      - .offset:         48
        .size:           8
        .value_kind:     by_value
      - .address_space:  global
        .offset:         56
        .size:           8
        .value_kind:     global_buffer
      - .offset:         64
        .size:           8
        .value_kind:     by_value
      - .offset:         72
        .size:           4
        .value_kind:     by_value
      - .offset:         80
        .size:           8
        .value_kind:     by_value
      - .address_space:  global
        .offset:         88
        .size:           8
        .value_kind:     global_buffer
      - .offset:         96
        .size:           8
        .value_kind:     by_value
      - .address_space:  global
        .offset:         104
        .size:           8
        .value_kind:     global_buffer
      - .offset:         112
        .size:           4
        .value_kind:     by_value
      - .offset:         120
        .size:           4
        .value_kind:     hidden_block_count_x
      - .offset:         124
        .size:           4
        .value_kind:     hidden_block_count_y
      - .offset:         128
        .size:           4
        .value_kind:     hidden_block_count_z
      - .offset:         132
        .size:           2
        .value_kind:     hidden_group_size_x
      - .offset:         134
        .size:           2
        .value_kind:     hidden_group_size_y
      - .offset:         136
        .size:           2
        .value_kind:     hidden_group_size_z
      - .offset:         138
        .size:           2
        .value_kind:     hidden_remainder_x
      - .offset:         140
        .size:           2
        .value_kind:     hidden_remainder_y
      - .offset:         142
        .size:           2
        .value_kind:     hidden_remainder_z
      - .offset:         160
        .size:           8
        .value_kind:     hidden_global_offset_x
      - .offset:         168
        .size:           8
        .value_kind:     hidden_global_offset_y
      - .offset:         176
        .size:           8
        .value_kind:     hidden_global_offset_z
      - .offset:         184
        .size:           2
        .value_kind:     hidden_grid_dims
    .group_segment_fixed_size: 9600
    .kernarg_segment_align: 8
    .kernarg_segment_size: 376
    .language:       OpenCL C
    .language_version:
      - 2
      - 0
    .max_flat_workgroup_size: 256
    .name:           _ZL26rocblas_hemvn_kernel_lowerILb0ELi64ELi4ELi33ELi32ELi16EiPK19rocblas_complex_numIfEPKS3_PS1_EviT6_lT7_lT5_lS8_lS9_lS7_lT8_i
    .private_segment_fixed_size: 0
    .sgpr_count:     54
    .sgpr_spill_count: 0
    .symbol:         _ZL26rocblas_hemvn_kernel_lowerILb0ELi64ELi4ELi33ELi32ELi16EiPK19rocblas_complex_numIfEPKS3_PS1_EviT6_lT7_lT5_lS8_lS9_lS7_lT8_i.kd
    .uniform_work_group_size: 1
    .uses_dynamic_stack: false
    .vgpr_count:     104
    .vgpr_spill_count: 0
    .wavefront_size: 64
  - .agpr_count:     0
    .args:
      - .offset:         0
        .size:           4
        .value_kind:     by_value
      - .offset:         4
        .size:           8
        .value_kind:     by_value
      - .offset:         16
        .size:           8
        .value_kind:     by_value
      - .address_space:  global
        .offset:         24
        .size:           8
        .value_kind:     global_buffer
      - .offset:         32
        .size:           8
        .value_kind:     by_value
      - .offset:         40
        .size:           8
        .value_kind:     by_value
      - .offset:         48
        .size:           8
        .value_kind:     by_value
      - .address_space:  global
        .offset:         56
        .size:           8
        .value_kind:     global_buffer
      - .offset:         64
        .size:           8
        .value_kind:     by_value
      - .offset:         72
        .size:           8
        .value_kind:     by_value
      - .offset:         80
        .size:           8
        .value_kind:     by_value
      - .offset:         88
        .size:           8
        .value_kind:     by_value
      - .offset:         96
        .size:           8
        .value_kind:     by_value
      - .address_space:  global
        .offset:         104
        .size:           8
        .value_kind:     global_buffer
      - .offset:         112
        .size:           4
        .value_kind:     by_value
      - .offset:         120
        .size:           4
        .value_kind:     hidden_block_count_x
      - .offset:         124
        .size:           4
        .value_kind:     hidden_block_count_y
      - .offset:         128
        .size:           4
        .value_kind:     hidden_block_count_z
      - .offset:         132
        .size:           2
        .value_kind:     hidden_group_size_x
      - .offset:         134
        .size:           2
        .value_kind:     hidden_group_size_y
      - .offset:         136
        .size:           2
        .value_kind:     hidden_group_size_z
      - .offset:         138
        .size:           2
        .value_kind:     hidden_remainder_x
      - .offset:         140
        .size:           2
        .value_kind:     hidden_remainder_y
      - .offset:         142
        .size:           2
        .value_kind:     hidden_remainder_z
      - .offset:         160
        .size:           8
        .value_kind:     hidden_global_offset_x
      - .offset:         168
        .size:           8
        .value_kind:     hidden_global_offset_y
      - .offset:         176
        .size:           8
        .value_kind:     hidden_global_offset_z
      - .offset:         184
        .size:           2
        .value_kind:     hidden_grid_dims
    .group_segment_fixed_size: 9600
    .kernarg_segment_align: 8
    .kernarg_segment_size: 376
    .language:       OpenCL C
    .language_version:
      - 2
      - 0
    .max_flat_workgroup_size: 256
    .name:           _ZL26rocblas_hemvn_kernel_lowerILb0ELi64ELi4ELi33ELi32ELi16El19rocblas_complex_numIfEPKPKS1_PS1_EviT6_lT7_lT5_lS8_lS9_lS7_lT8_i
    .private_segment_fixed_size: 0
    .sgpr_count:     56
    .sgpr_spill_count: 0
    .symbol:         _ZL26rocblas_hemvn_kernel_lowerILb0ELi64ELi4ELi33ELi32ELi16El19rocblas_complex_numIfEPKPKS1_PS1_EviT6_lT7_lT5_lS8_lS9_lS7_lT8_i.kd
    .uniform_work_group_size: 1
    .uses_dynamic_stack: false
    .vgpr_count:     106
    .vgpr_spill_count: 0
    .wavefront_size: 64
  - .agpr_count:     0
    .args:
      - .offset:         0
        .size:           4
        .value_kind:     by_value
      - .offset:         4
        .size:           8
        .value_kind:     by_value
      - .offset:         16
        .size:           8
        .value_kind:     by_value
      - .address_space:  global
        .offset:         24
        .size:           8
        .value_kind:     global_buffer
      - .offset:         32
        .size:           8
        .value_kind:     by_value
      - .offset:         40
        .size:           4
        .value_kind:     by_value
      - .offset:         48
        .size:           8
        .value_kind:     by_value
      - .address_space:  global
        .offset:         56
        .size:           8
        .value_kind:     global_buffer
      - .offset:         64
        .size:           8
        .value_kind:     by_value
      - .offset:         72
        .size:           4
        .value_kind:     by_value
      - .offset:         80
        .size:           8
        .value_kind:     by_value
      - .offset:         88
        .size:           8
        .value_kind:     by_value
      - .offset:         96
        .size:           8
        .value_kind:     by_value
      - .address_space:  global
        .offset:         104
        .size:           8
        .value_kind:     global_buffer
      - .offset:         112
        .size:           4
        .value_kind:     by_value
      - .offset:         120
        .size:           4
        .value_kind:     hidden_block_count_x
      - .offset:         124
        .size:           4
        .value_kind:     hidden_block_count_y
      - .offset:         128
        .size:           4
        .value_kind:     hidden_block_count_z
      - .offset:         132
        .size:           2
        .value_kind:     hidden_group_size_x
      - .offset:         134
        .size:           2
        .value_kind:     hidden_group_size_y
      - .offset:         136
        .size:           2
        .value_kind:     hidden_group_size_z
      - .offset:         138
        .size:           2
        .value_kind:     hidden_remainder_x
      - .offset:         140
        .size:           2
        .value_kind:     hidden_remainder_y
      - .offset:         142
        .size:           2
        .value_kind:     hidden_remainder_z
      - .offset:         160
        .size:           8
        .value_kind:     hidden_global_offset_x
      - .offset:         168
        .size:           8
        .value_kind:     hidden_global_offset_y
      - .offset:         176
        .size:           8
        .value_kind:     hidden_global_offset_z
      - .offset:         184
        .size:           2
        .value_kind:     hidden_grid_dims
    .group_segment_fixed_size: 9600
    .kernarg_segment_align: 8
    .kernarg_segment_size: 376
    .language:       OpenCL C
    .language_version:
      - 2
      - 0
    .max_flat_workgroup_size: 256
    .name:           _ZL26rocblas_hemvn_kernel_lowerILb0ELi64ELi4ELi33ELi32ELi16Ei19rocblas_complex_numIfEPKPKS1_PS1_EviT6_lT7_lT5_lS8_lS9_lS7_lT8_i
    .private_segment_fixed_size: 0
    .sgpr_count:     54
    .sgpr_spill_count: 0
    .symbol:         _ZL26rocblas_hemvn_kernel_lowerILb0ELi64ELi4ELi33ELi32ELi16Ei19rocblas_complex_numIfEPKPKS1_PS1_EviT6_lT7_lT5_lS8_lS9_lS7_lT8_i.kd
    .uniform_work_group_size: 1
    .uses_dynamic_stack: false
    .vgpr_count:     104
    .vgpr_spill_count: 0
    .wavefront_size: 64
  - .agpr_count:     0
    .args:
      - .offset:         0
        .size:           4
        .value_kind:     by_value
      - .address_space:  global
        .offset:         8
        .size:           8
        .value_kind:     global_buffer
      - .offset:         16
        .size:           8
        .value_kind:     by_value
      - .address_space:  global
        .offset:         24
        .size:           8
        .value_kind:     global_buffer
      - .offset:         32
        .size:           8
        .value_kind:     by_value
      - .offset:         40
        .size:           8
        .value_kind:     by_value
      - .offset:         48
        .size:           8
        .value_kind:     by_value
      - .address_space:  global
        .offset:         56
        .size:           8
        .value_kind:     global_buffer
      - .offset:         64
        .size:           8
        .value_kind:     by_value
      - .offset:         72
        .size:           8
        .value_kind:     by_value
      - .offset:         80
        .size:           8
        .value_kind:     by_value
      - .address_space:  global
        .offset:         88
        .size:           8
        .value_kind:     global_buffer
      - .offset:         96
        .size:           8
        .value_kind:     by_value
      - .address_space:  global
        .offset:         104
        .size:           8
        .value_kind:     global_buffer
      - .offset:         112
        .size:           4
        .value_kind:     by_value
      - .offset:         120
        .size:           4
        .value_kind:     hidden_block_count_x
      - .offset:         124
        .size:           4
        .value_kind:     hidden_block_count_y
      - .offset:         128
        .size:           4
        .value_kind:     hidden_block_count_z
      - .offset:         132
        .size:           2
        .value_kind:     hidden_group_size_x
      - .offset:         134
        .size:           2
        .value_kind:     hidden_group_size_y
      - .offset:         136
        .size:           2
        .value_kind:     hidden_group_size_z
      - .offset:         138
        .size:           2
        .value_kind:     hidden_remainder_x
      - .offset:         140
        .size:           2
        .value_kind:     hidden_remainder_y
      - .offset:         142
        .size:           2
        .value_kind:     hidden_remainder_z
      - .offset:         160
        .size:           8
        .value_kind:     hidden_global_offset_x
      - .offset:         168
        .size:           8
        .value_kind:     hidden_global_offset_y
      - .offset:         176
        .size:           8
        .value_kind:     hidden_global_offset_z
      - .offset:         184
        .size:           2
        .value_kind:     hidden_grid_dims
    .group_segment_fixed_size: 19200
    .kernarg_segment_align: 8
    .kernarg_segment_size: 376
    .language:       OpenCL C
    .language_version:
      - 2
      - 0
    .max_flat_workgroup_size: 256
    .name:           _ZL26rocblas_hemvn_kernel_upperILb0ELi64ELi4ELi33ELi32ELi16ElPK19rocblas_complex_numIdEPKS3_PS1_EviT6_lT7_lT5_lS8_lS9_lS7_lT8_i
    .private_segment_fixed_size: 0
    .sgpr_count:     44
    .sgpr_spill_count: 0
    .symbol:         _ZL26rocblas_hemvn_kernel_upperILb0ELi64ELi4ELi33ELi32ELi16ElPK19rocblas_complex_numIdEPKS3_PS1_EviT6_lT7_lT5_lS8_lS9_lS7_lT8_i.kd
    .uniform_work_group_size: 1
    .uses_dynamic_stack: false
    .vgpr_count:     232
    .vgpr_spill_count: 0
    .wavefront_size: 64
  - .agpr_count:     0
    .args:
      - .offset:         0
        .size:           4
        .value_kind:     by_value
      - .address_space:  global
        .offset:         8
        .size:           8
        .value_kind:     global_buffer
      - .offset:         16
        .size:           8
        .value_kind:     by_value
      - .address_space:  global
        .offset:         24
        .size:           8
        .value_kind:     global_buffer
      - .offset:         32
        .size:           8
        .value_kind:     by_value
      - .offset:         40
        .size:           4
        .value_kind:     by_value
      - .offset:         48
        .size:           8
        .value_kind:     by_value
      - .address_space:  global
        .offset:         56
        .size:           8
        .value_kind:     global_buffer
      - .offset:         64
        .size:           8
        .value_kind:     by_value
      - .offset:         72
        .size:           4
        .value_kind:     by_value
      - .offset:         80
        .size:           8
        .value_kind:     by_value
      - .address_space:  global
        .offset:         88
        .size:           8
        .value_kind:     global_buffer
      - .offset:         96
        .size:           8
        .value_kind:     by_value
      - .address_space:  global
        .offset:         104
        .size:           8
        .value_kind:     global_buffer
      - .offset:         112
        .size:           4
        .value_kind:     by_value
      - .offset:         120
        .size:           4
        .value_kind:     hidden_block_count_x
      - .offset:         124
        .size:           4
        .value_kind:     hidden_block_count_y
      - .offset:         128
        .size:           4
        .value_kind:     hidden_block_count_z
      - .offset:         132
        .size:           2
        .value_kind:     hidden_group_size_x
      - .offset:         134
        .size:           2
        .value_kind:     hidden_group_size_y
      - .offset:         136
        .size:           2
        .value_kind:     hidden_group_size_z
      - .offset:         138
        .size:           2
        .value_kind:     hidden_remainder_x
      - .offset:         140
        .size:           2
        .value_kind:     hidden_remainder_y
      - .offset:         142
        .size:           2
        .value_kind:     hidden_remainder_z
      - .offset:         160
        .size:           8
        .value_kind:     hidden_global_offset_x
      - .offset:         168
        .size:           8
        .value_kind:     hidden_global_offset_y
      - .offset:         176
        .size:           8
        .value_kind:     hidden_global_offset_z
      - .offset:         184
        .size:           2
        .value_kind:     hidden_grid_dims
    .group_segment_fixed_size: 19200
    .kernarg_segment_align: 8
    .kernarg_segment_size: 376
    .language:       OpenCL C
    .language_version:
      - 2
      - 0
    .max_flat_workgroup_size: 256
    .name:           _ZL26rocblas_hemvn_kernel_upperILb0ELi64ELi4ELi33ELi32ELi16EiPK19rocblas_complex_numIdEPKS3_PS1_EviT6_lT7_lT5_lS8_lS9_lS7_lT8_i
    .private_segment_fixed_size: 0
    .sgpr_count:     46
    .sgpr_spill_count: 0
    .symbol:         _ZL26rocblas_hemvn_kernel_upperILb0ELi64ELi4ELi33ELi32ELi16EiPK19rocblas_complex_numIdEPKS3_PS1_EviT6_lT7_lT5_lS8_lS9_lS7_lT8_i.kd
    .uniform_work_group_size: 1
    .uses_dynamic_stack: false
    .vgpr_count:     242
    .vgpr_spill_count: 0
    .wavefront_size: 64
  - .agpr_count:     0
    .args:
      - .offset:         0
        .size:           4
        .value_kind:     by_value
      - .offset:         8
        .size:           16
        .value_kind:     by_value
      - .offset:         24
        .size:           8
        .value_kind:     by_value
      - .address_space:  global
        .offset:         32
        .size:           8
        .value_kind:     global_buffer
      - .offset:         40
        .size:           8
        .value_kind:     by_value
      - .offset:         48
        .size:           8
        .value_kind:     by_value
      - .offset:         56
        .size:           8
        .value_kind:     by_value
      - .address_space:  global
        .offset:         64
        .size:           8
        .value_kind:     global_buffer
      - .offset:         72
        .size:           8
        .value_kind:     by_value
      - .offset:         80
        .size:           8
        .value_kind:     by_value
      - .offset:         88
        .size:           8
        .value_kind:     by_value
      - .offset:         96
        .size:           16
        .value_kind:     by_value
      - .offset:         112
        .size:           8
        .value_kind:     by_value
      - .address_space:  global
        .offset:         120
        .size:           8
        .value_kind:     global_buffer
      - .offset:         128
        .size:           4
        .value_kind:     by_value
      - .offset:         136
        .size:           4
        .value_kind:     hidden_block_count_x
      - .offset:         140
        .size:           4
        .value_kind:     hidden_block_count_y
      - .offset:         144
        .size:           4
        .value_kind:     hidden_block_count_z
      - .offset:         148
        .size:           2
        .value_kind:     hidden_group_size_x
      - .offset:         150
        .size:           2
        .value_kind:     hidden_group_size_y
      - .offset:         152
        .size:           2
        .value_kind:     hidden_group_size_z
      - .offset:         154
        .size:           2
        .value_kind:     hidden_remainder_x
      - .offset:         156
        .size:           2
        .value_kind:     hidden_remainder_y
      - .offset:         158
        .size:           2
        .value_kind:     hidden_remainder_z
      - .offset:         176
        .size:           8
        .value_kind:     hidden_global_offset_x
      - .offset:         184
        .size:           8
        .value_kind:     hidden_global_offset_y
      - .offset:         192
        .size:           8
        .value_kind:     hidden_global_offset_z
      - .offset:         200
        .size:           2
        .value_kind:     hidden_grid_dims
    .group_segment_fixed_size: 19200
    .kernarg_segment_align: 8
    .kernarg_segment_size: 392
    .language:       OpenCL C
    .language_version:
      - 2
      - 0
    .max_flat_workgroup_size: 256
    .name:           _ZL26rocblas_hemvn_kernel_upperILb0ELi64ELi4ELi33ELi32ELi16El19rocblas_complex_numIdEPKPKS1_PS1_EviT6_lT7_lT5_lS8_lS9_lS7_lT8_i
    .private_segment_fixed_size: 0
    .sgpr_count:     44
    .sgpr_spill_count: 0
    .symbol:         _ZL26rocblas_hemvn_kernel_upperILb0ELi64ELi4ELi33ELi32ELi16El19rocblas_complex_numIdEPKPKS1_PS1_EviT6_lT7_lT5_lS8_lS9_lS7_lT8_i.kd
    .uniform_work_group_size: 1
    .uses_dynamic_stack: false
    .vgpr_count:     232
    .vgpr_spill_count: 0
    .wavefront_size: 64
  - .agpr_count:     0
    .args:
      - .offset:         0
        .size:           4
        .value_kind:     by_value
      - .offset:         8
        .size:           16
        .value_kind:     by_value
      - .offset:         24
        .size:           8
        .value_kind:     by_value
      - .address_space:  global
        .offset:         32
        .size:           8
        .value_kind:     global_buffer
      - .offset:         40
        .size:           8
        .value_kind:     by_value
      - .offset:         48
        .size:           4
        .value_kind:     by_value
      - .offset:         56
        .size:           8
        .value_kind:     by_value
      - .address_space:  global
        .offset:         64
        .size:           8
        .value_kind:     global_buffer
      - .offset:         72
        .size:           8
        .value_kind:     by_value
      - .offset:         80
        .size:           4
        .value_kind:     by_value
      - .offset:         88
        .size:           8
        .value_kind:     by_value
      - .offset:         96
        .size:           16
        .value_kind:     by_value
      - .offset:         112
        .size:           8
        .value_kind:     by_value
      - .address_space:  global
        .offset:         120
        .size:           8
        .value_kind:     global_buffer
      - .offset:         128
        .size:           4
        .value_kind:     by_value
      - .offset:         136
        .size:           4
        .value_kind:     hidden_block_count_x
      - .offset:         140
        .size:           4
        .value_kind:     hidden_block_count_y
      - .offset:         144
        .size:           4
        .value_kind:     hidden_block_count_z
      - .offset:         148
        .size:           2
        .value_kind:     hidden_group_size_x
      - .offset:         150
        .size:           2
        .value_kind:     hidden_group_size_y
      - .offset:         152
        .size:           2
        .value_kind:     hidden_group_size_z
      - .offset:         154
        .size:           2
        .value_kind:     hidden_remainder_x
      - .offset:         156
        .size:           2
        .value_kind:     hidden_remainder_y
      - .offset:         158
        .size:           2
        .value_kind:     hidden_remainder_z
      - .offset:         176
        .size:           8
        .value_kind:     hidden_global_offset_x
      - .offset:         184
        .size:           8
        .value_kind:     hidden_global_offset_y
      - .offset:         192
        .size:           8
        .value_kind:     hidden_global_offset_z
      - .offset:         200
        .size:           2
        .value_kind:     hidden_grid_dims
    .group_segment_fixed_size: 19200
    .kernarg_segment_align: 8
    .kernarg_segment_size: 392
    .language:       OpenCL C
    .language_version:
      - 2
      - 0
    .max_flat_workgroup_size: 256
    .name:           _ZL26rocblas_hemvn_kernel_upperILb0ELi64ELi4ELi33ELi32ELi16Ei19rocblas_complex_numIdEPKPKS1_PS1_EviT6_lT7_lT5_lS8_lS9_lS7_lT8_i
    .private_segment_fixed_size: 0
    .sgpr_count:     46
    .sgpr_spill_count: 0
    .symbol:         _ZL26rocblas_hemvn_kernel_upperILb0ELi64ELi4ELi33ELi32ELi16Ei19rocblas_complex_numIdEPKPKS1_PS1_EviT6_lT7_lT5_lS8_lS9_lS7_lT8_i.kd
    .uniform_work_group_size: 1
    .uses_dynamic_stack: false
    .vgpr_count:     242
    .vgpr_spill_count: 0
    .wavefront_size: 64
  - .agpr_count:     0
    .args:
      - .offset:         0
        .size:           4
        .value_kind:     by_value
      - .address_space:  global
        .offset:         8
        .size:           8
        .value_kind:     global_buffer
      - .offset:         16
        .size:           8
        .value_kind:     by_value
      - .address_space:  global
        .offset:         24
        .size:           8
        .value_kind:     global_buffer
      - .offset:         32
        .size:           8
        .value_kind:     by_value
      - .offset:         40
        .size:           8
        .value_kind:     by_value
      - .offset:         48
        .size:           8
        .value_kind:     by_value
      - .address_space:  global
        .offset:         56
        .size:           8
        .value_kind:     global_buffer
      - .offset:         64
        .size:           8
        .value_kind:     by_value
      - .offset:         72
        .size:           8
        .value_kind:     by_value
      - .offset:         80
        .size:           8
        .value_kind:     by_value
      - .address_space:  global
        .offset:         88
        .size:           8
        .value_kind:     global_buffer
      - .offset:         96
        .size:           8
        .value_kind:     by_value
      - .address_space:  global
        .offset:         104
        .size:           8
        .value_kind:     global_buffer
      - .offset:         112
        .size:           4
        .value_kind:     by_value
      - .offset:         120
        .size:           4
        .value_kind:     hidden_block_count_x
      - .offset:         124
        .size:           4
        .value_kind:     hidden_block_count_y
      - .offset:         128
        .size:           4
        .value_kind:     hidden_block_count_z
      - .offset:         132
        .size:           2
        .value_kind:     hidden_group_size_x
      - .offset:         134
        .size:           2
        .value_kind:     hidden_group_size_y
      - .offset:         136
        .size:           2
        .value_kind:     hidden_group_size_z
      - .offset:         138
        .size:           2
        .value_kind:     hidden_remainder_x
      - .offset:         140
        .size:           2
        .value_kind:     hidden_remainder_y
      - .offset:         142
        .size:           2
        .value_kind:     hidden_remainder_z
      - .offset:         160
        .size:           8
        .value_kind:     hidden_global_offset_x
      - .offset:         168
        .size:           8
        .value_kind:     hidden_global_offset_y
      - .offset:         176
        .size:           8
        .value_kind:     hidden_global_offset_z
      - .offset:         184
        .size:           2
        .value_kind:     hidden_grid_dims
    .group_segment_fixed_size: 19200
    .kernarg_segment_align: 8
    .kernarg_segment_size: 376
    .language:       OpenCL C
    .language_version:
      - 2
      - 0
    .max_flat_workgroup_size: 256
    .name:           _ZL26rocblas_hemvn_kernel_lowerILb0ELi64ELi4ELi33ELi32ELi16ElPK19rocblas_complex_numIdEPKS3_PS1_EviT6_lT7_lT5_lS8_lS9_lS7_lT8_i
    .private_segment_fixed_size: 0
    .sgpr_count:     48
    .sgpr_spill_count: 0
    .symbol:         _ZL26rocblas_hemvn_kernel_lowerILb0ELi64ELi4ELi33ELi32ELi16ElPK19rocblas_complex_numIdEPKS3_PS1_EviT6_lT7_lT5_lS8_lS9_lS7_lT8_i.kd
    .uniform_work_group_size: 1
    .uses_dynamic_stack: false
    .vgpr_count:     188
    .vgpr_spill_count: 0
    .wavefront_size: 64
  - .agpr_count:     0
    .args:
      - .offset:         0
        .size:           4
        .value_kind:     by_value
      - .address_space:  global
        .offset:         8
        .size:           8
        .value_kind:     global_buffer
      - .offset:         16
        .size:           8
        .value_kind:     by_value
      - .address_space:  global
        .offset:         24
        .size:           8
        .value_kind:     global_buffer
      - .offset:         32
        .size:           8
        .value_kind:     by_value
      - .offset:         40
        .size:           4
        .value_kind:     by_value
      - .offset:         48
        .size:           8
        .value_kind:     by_value
      - .address_space:  global
        .offset:         56
        .size:           8
        .value_kind:     global_buffer
      - .offset:         64
        .size:           8
        .value_kind:     by_value
      - .offset:         72
        .size:           4
        .value_kind:     by_value
      - .offset:         80
        .size:           8
        .value_kind:     by_value
      - .address_space:  global
        .offset:         88
        .size:           8
        .value_kind:     global_buffer
      - .offset:         96
        .size:           8
        .value_kind:     by_value
      - .address_space:  global
        .offset:         104
        .size:           8
        .value_kind:     global_buffer
      - .offset:         112
        .size:           4
        .value_kind:     by_value
      - .offset:         120
        .size:           4
        .value_kind:     hidden_block_count_x
      - .offset:         124
        .size:           4
        .value_kind:     hidden_block_count_y
      - .offset:         128
        .size:           4
        .value_kind:     hidden_block_count_z
      - .offset:         132
        .size:           2
        .value_kind:     hidden_group_size_x
      - .offset:         134
        .size:           2
        .value_kind:     hidden_group_size_y
      - .offset:         136
        .size:           2
        .value_kind:     hidden_group_size_z
      - .offset:         138
        .size:           2
        .value_kind:     hidden_remainder_x
      - .offset:         140
        .size:           2
        .value_kind:     hidden_remainder_y
      - .offset:         142
        .size:           2
        .value_kind:     hidden_remainder_z
      - .offset:         160
        .size:           8
        .value_kind:     hidden_global_offset_x
      - .offset:         168
        .size:           8
        .value_kind:     hidden_global_offset_y
      - .offset:         176
        .size:           8
        .value_kind:     hidden_global_offset_z
      - .offset:         184
        .size:           2
        .value_kind:     hidden_grid_dims
    .group_segment_fixed_size: 19200
    .kernarg_segment_align: 8
    .kernarg_segment_size: 376
    .language:       OpenCL C
    .language_version:
      - 2
      - 0
    .max_flat_workgroup_size: 256
    .name:           _ZL26rocblas_hemvn_kernel_lowerILb0ELi64ELi4ELi33ELi32ELi16EiPK19rocblas_complex_numIdEPKS3_PS1_EviT6_lT7_lT5_lS8_lS9_lS7_lT8_i
    .private_segment_fixed_size: 0
    .sgpr_count:     47
    .sgpr_spill_count: 0
    .symbol:         _ZL26rocblas_hemvn_kernel_lowerILb0ELi64ELi4ELi33ELi32ELi16EiPK19rocblas_complex_numIdEPKS3_PS1_EviT6_lT7_lT5_lS8_lS9_lS7_lT8_i.kd
    .uniform_work_group_size: 1
    .uses_dynamic_stack: false
    .vgpr_count:     186
    .vgpr_spill_count: 0
    .wavefront_size: 64
  - .agpr_count:     0
    .args:
      - .offset:         0
        .size:           4
        .value_kind:     by_value
      - .offset:         8
        .size:           16
        .value_kind:     by_value
      - .offset:         24
        .size:           8
        .value_kind:     by_value
      - .address_space:  global
        .offset:         32
        .size:           8
        .value_kind:     global_buffer
      - .offset:         40
        .size:           8
        .value_kind:     by_value
      - .offset:         48
        .size:           8
        .value_kind:     by_value
      - .offset:         56
        .size:           8
        .value_kind:     by_value
      - .address_space:  global
        .offset:         64
        .size:           8
        .value_kind:     global_buffer
      - .offset:         72
        .size:           8
        .value_kind:     by_value
      - .offset:         80
        .size:           8
        .value_kind:     by_value
      - .offset:         88
        .size:           8
        .value_kind:     by_value
      - .offset:         96
        .size:           16
        .value_kind:     by_value
      - .offset:         112
        .size:           8
        .value_kind:     by_value
      - .address_space:  global
        .offset:         120
        .size:           8
        .value_kind:     global_buffer
      - .offset:         128
        .size:           4
        .value_kind:     by_value
      - .offset:         136
        .size:           4
        .value_kind:     hidden_block_count_x
      - .offset:         140
        .size:           4
        .value_kind:     hidden_block_count_y
      - .offset:         144
        .size:           4
        .value_kind:     hidden_block_count_z
      - .offset:         148
        .size:           2
        .value_kind:     hidden_group_size_x
      - .offset:         150
        .size:           2
        .value_kind:     hidden_group_size_y
      - .offset:         152
        .size:           2
        .value_kind:     hidden_group_size_z
      - .offset:         154
        .size:           2
        .value_kind:     hidden_remainder_x
      - .offset:         156
        .size:           2
        .value_kind:     hidden_remainder_y
      - .offset:         158
        .size:           2
        .value_kind:     hidden_remainder_z
      - .offset:         176
        .size:           8
        .value_kind:     hidden_global_offset_x
      - .offset:         184
        .size:           8
        .value_kind:     hidden_global_offset_y
      - .offset:         192
        .size:           8
        .value_kind:     hidden_global_offset_z
      - .offset:         200
        .size:           2
        .value_kind:     hidden_grid_dims
    .group_segment_fixed_size: 19200
    .kernarg_segment_align: 8
    .kernarg_segment_size: 392
    .language:       OpenCL C
    .language_version:
      - 2
      - 0
    .max_flat_workgroup_size: 256
    .name:           _ZL26rocblas_hemvn_kernel_lowerILb0ELi64ELi4ELi33ELi32ELi16El19rocblas_complex_numIdEPKPKS1_PS1_EviT6_lT7_lT5_lS8_lS9_lS7_lT8_i
    .private_segment_fixed_size: 0
    .sgpr_count:     48
    .sgpr_spill_count: 0
    .symbol:         _ZL26rocblas_hemvn_kernel_lowerILb0ELi64ELi4ELi33ELi32ELi16El19rocblas_complex_numIdEPKPKS1_PS1_EviT6_lT7_lT5_lS8_lS9_lS7_lT8_i.kd
    .uniform_work_group_size: 1
    .uses_dynamic_stack: false
    .vgpr_count:     188
    .vgpr_spill_count: 0
    .wavefront_size: 64
  - .agpr_count:     0
    .args:
      - .offset:         0
        .size:           4
        .value_kind:     by_value
      - .offset:         8
        .size:           16
        .value_kind:     by_value
      - .offset:         24
        .size:           8
        .value_kind:     by_value
      - .address_space:  global
        .offset:         32
        .size:           8
        .value_kind:     global_buffer
      - .offset:         40
        .size:           8
        .value_kind:     by_value
      - .offset:         48
        .size:           4
        .value_kind:     by_value
      - .offset:         56
        .size:           8
        .value_kind:     by_value
      - .address_space:  global
        .offset:         64
        .size:           8
        .value_kind:     global_buffer
      - .offset:         72
        .size:           8
        .value_kind:     by_value
      - .offset:         80
        .size:           4
        .value_kind:     by_value
      - .offset:         88
        .size:           8
        .value_kind:     by_value
      - .offset:         96
        .size:           16
        .value_kind:     by_value
      - .offset:         112
        .size:           8
        .value_kind:     by_value
      - .address_space:  global
        .offset:         120
        .size:           8
        .value_kind:     global_buffer
      - .offset:         128
        .size:           4
        .value_kind:     by_value
      - .offset:         136
        .size:           4
        .value_kind:     hidden_block_count_x
      - .offset:         140
        .size:           4
        .value_kind:     hidden_block_count_y
      - .offset:         144
        .size:           4
        .value_kind:     hidden_block_count_z
      - .offset:         148
        .size:           2
        .value_kind:     hidden_group_size_x
      - .offset:         150
        .size:           2
        .value_kind:     hidden_group_size_y
      - .offset:         152
        .size:           2
        .value_kind:     hidden_group_size_z
      - .offset:         154
        .size:           2
        .value_kind:     hidden_remainder_x
      - .offset:         156
        .size:           2
        .value_kind:     hidden_remainder_y
      - .offset:         158
        .size:           2
        .value_kind:     hidden_remainder_z
      - .offset:         176
        .size:           8
        .value_kind:     hidden_global_offset_x
      - .offset:         184
        .size:           8
        .value_kind:     hidden_global_offset_y
      - .offset:         192
        .size:           8
        .value_kind:     hidden_global_offset_z
      - .offset:         200
        .size:           2
        .value_kind:     hidden_grid_dims
    .group_segment_fixed_size: 19200
    .kernarg_segment_align: 8
    .kernarg_segment_size: 392
    .language:       OpenCL C
    .language_version:
      - 2
      - 0
    .max_flat_workgroup_size: 256
    .name:           _ZL26rocblas_hemvn_kernel_lowerILb0ELi64ELi4ELi33ELi32ELi16Ei19rocblas_complex_numIdEPKPKS1_PS1_EviT6_lT7_lT5_lS8_lS9_lS7_lT8_i
    .private_segment_fixed_size: 0
    .sgpr_count:     48
    .sgpr_spill_count: 0
    .symbol:         _ZL26rocblas_hemvn_kernel_lowerILb0ELi64ELi4ELi33ELi32ELi16Ei19rocblas_complex_numIdEPKPKS1_PS1_EviT6_lT7_lT5_lS8_lS9_lS7_lT8_i.kd
    .uniform_work_group_size: 1
    .uses_dynamic_stack: false
    .vgpr_count:     186
    .vgpr_spill_count: 0
    .wavefront_size: 64
amdhsa.target:   amdgcn-amd-amdhsa--gfx950
amdhsa.version:
  - 1
  - 2
...

	.end_amdgpu_metadata
